;; amdgpu-corpus repo=ggml-org/llama.cpp kind=compiled arch=gfx1100 opt=O3
	.text
	.amdgcn_target "amdgcn-amd-amdhsa--gfx1100"
	.amdhsa_code_object_version 6
	.section	.text._ZL15flash_attn_tileILi512ELi512ELi4ELi8ELb0EEvPKcS1_S1_S1_S1_PKiPfP15HIP_vector_typeIfLj2EEffffjfiS5_IjLj3EEiiiiiiiiiiiliiliiiiil,"axG",@progbits,_ZL15flash_attn_tileILi512ELi512ELi4ELi8ELb0EEvPKcS1_S1_S1_S1_PKiPfP15HIP_vector_typeIfLj2EEffffjfiS5_IjLj3EEiiiiiiiiiiiliiliiiiil,comdat
	.globl	_ZL15flash_attn_tileILi512ELi512ELi4ELi8ELb0EEvPKcS1_S1_S1_S1_PKiPfP15HIP_vector_typeIfLj2EEffffjfiS5_IjLj3EEiiiiiiiiiiiliiliiiiil ; -- Begin function _ZL15flash_attn_tileILi512ELi512ELi4ELi8ELb0EEvPKcS1_S1_S1_S1_PKiPfP15HIP_vector_typeIfLj2EEffffjfiS5_IjLj3EEiiiiiiiiiiiliiliiiiil
	.p2align	8
	.type	_ZL15flash_attn_tileILi512ELi512ELi4ELi8ELb0EEvPKcS1_S1_S1_S1_PKiPfP15HIP_vector_typeIfLj2EEffffjfiS5_IjLj3EEiiiiiiiiiiiliiliiiiil,@function
_ZL15flash_attn_tileILi512ELi512ELi4ELi8ELb0EEvPKcS1_S1_S1_S1_PKiPfP15HIP_vector_typeIfLj2EEffffjfiS5_IjLj3EEiiiiiiiiiiiliiliiiiil: ; @_ZL15flash_attn_tileILi512ELi512ELi4ELi8ELb0EEvPKcS1_S1_S1_S1_PKiPfP15HIP_vector_typeIfLj2EEffffjfiS5_IjLj3EEiiiiiiiiiiiliiliiiiil
; %bb.0:
	s_clause 0x3
	s_load_b128 s[4:7], s[0:1], 0x5c
	s_load_b64 s[2:3], s[0:1], 0x80
	s_load_b512 s[16:31], s[0:1], 0x0
	s_load_b64 s[36:37], s[0:1], 0xb8
	s_mov_b64 s[34:35], 0
	s_waitcnt lgkmcnt(0)
	s_ashr_i32 s8, s7, 31
	s_delay_alu instid0(SALU_CYCLE_1) | instskip(NEXT) | instid1(SALU_CYCLE_1)
	s_lshr_b32 s8, s8, 29
	s_add_i32 s8, s7, s8
	s_delay_alu instid0(SALU_CYCLE_1) | instskip(NEXT) | instid1(SALU_CYCLE_1)
	s_ashr_i32 s8, s8, 3
	v_cvt_f32_u32_e32 v1, s8
	s_sub_i32 s10, 0, s8
	s_delay_alu instid0(VALU_DEP_1) | instskip(SKIP_2) | instid1(VALU_DEP_1)
	v_rcp_iflag_f32_e32 v1, v1
	s_waitcnt_depctr 0xfff
	v_mul_f32_e32 v1, 0x4f7ffffe, v1
	v_cvt_u32_f32_e32 v1, v1
	s_delay_alu instid0(VALU_DEP_1) | instskip(NEXT) | instid1(VALU_DEP_1)
	v_readfirstlane_b32 s9, v1
	s_mul_i32 s10, s10, s9
	s_delay_alu instid0(SALU_CYCLE_1) | instskip(NEXT) | instid1(SALU_CYCLE_1)
	s_mul_hi_u32 s10, s9, s10
	s_add_i32 s9, s9, s10
	s_delay_alu instid0(SALU_CYCLE_1) | instskip(NEXT) | instid1(SALU_CYCLE_1)
	s_mul_hi_u32 s9, s15, s9
	s_mul_i32 s10, s9, s8
	s_add_i32 s11, s9, 1
	s_sub_i32 s10, s15, s10
	s_delay_alu instid0(SALU_CYCLE_1)
	s_sub_i32 s12, s10, s8
	s_cmp_ge_u32 s10, s8
	s_cselect_b32 s9, s11, s9
	s_cselect_b32 s10, s12, s10
	s_add_i32 s11, s9, 1
	s_cmp_ge_u32 s10, s8
	s_cselect_b32 s33, s11, s9
	s_abs_i32 s8, s3
	s_lshl_b32 s11, s15, 3
	v_cvt_f32_u32_e32 v1, s8
	s_sub_i32 s10, 0, s8
	s_abs_i32 s15, s7
	s_mul_i32 s12, s33, s7
	s_xor_b32 s3, s7, s3
	v_rcp_iflag_f32_e32 v1, v1
	s_sub_i32 s12, s11, s12
	s_ashr_i32 s3, s3, 31
	s_waitcnt_depctr 0xfff
	v_mul_f32_e32 v1, 0x4f7ffffe, v1
	s_delay_alu instid0(VALU_DEP_1) | instskip(NEXT) | instid1(VALU_DEP_1)
	v_cvt_u32_f32_e32 v1, v1
	v_readfirstlane_b32 s9, v1
	s_delay_alu instid0(VALU_DEP_1) | instskip(NEXT) | instid1(SALU_CYCLE_1)
	s_mul_i32 s10, s10, s9
	s_mul_hi_u32 s10, s9, s10
	s_delay_alu instid0(SALU_CYCLE_1) | instskip(NEXT) | instid1(SALU_CYCLE_1)
	s_add_i32 s9, s9, s10
	s_mul_hi_u32 s9, s15, s9
	s_delay_alu instid0(SALU_CYCLE_1) | instskip(SKIP_2) | instid1(SALU_CYCLE_1)
	s_mul_i32 s10, s9, s8
	s_add_i32 s11, s9, 1
	s_sub_i32 s10, s15, s10
	s_sub_i32 s15, s10, s8
	s_cmp_ge_u32 s10, s8
	s_cselect_b32 s9, s11, s9
	s_cselect_b32 s10, s15, s10
	s_add_i32 s11, s9, 1
	s_cmp_ge_u32 s10, s8
	s_cselect_b32 s8, s11, s9
	s_delay_alu instid0(SALU_CYCLE_1) | instskip(NEXT) | instid1(SALU_CYCLE_1)
	s_xor_b32 s8, s8, s3
	s_sub_i32 s38, s8, s3
	s_delay_alu instid0(SALU_CYCLE_1) | instskip(SKIP_2) | instid1(VALU_DEP_1)
	s_abs_i32 s15, s38
	s_cmp_eq_u64 s[22:23], 0
	v_cvt_f32_u32_e32 v1, s15
	v_rcp_iflag_f32_e32 v1, v1
	s_waitcnt_depctr 0xfff
	v_mul_f32_e32 v1, 0x4f7ffffe, v1
	s_delay_alu instid0(VALU_DEP_1) | instskip(NEXT) | instid1(VALU_DEP_1)
	v_cvt_u32_f32_e32 v1, v1
	v_readfirstlane_b32 s39, v1
	s_cbranch_scc1 .LBB0_2
; %bb.1:
	s_abs_i32 s3, s36
	s_abs_i32 s10, s33
	v_cvt_f32_u32_e32 v1, s3
	s_sub_i32 s9, 0, s3
	s_delay_alu instid0(VALU_DEP_1) | instskip(SKIP_2) | instid1(VALU_DEP_1)
	v_rcp_iflag_f32_e32 v1, v1
	s_waitcnt_depctr 0xfff
	v_mul_f32_e32 v1, 0x4f7ffffe, v1
	v_cvt_u32_f32_e32 v1, v1
	s_delay_alu instid0(VALU_DEP_1) | instskip(NEXT) | instid1(VALU_DEP_1)
	v_readfirstlane_b32 s8, v1
	s_mul_i32 s9, s9, s8
	s_delay_alu instid0(SALU_CYCLE_1) | instskip(NEXT) | instid1(SALU_CYCLE_1)
	s_mul_hi_u32 s9, s8, s9
	s_add_i32 s11, s8, s9
	s_load_b64 s[8:9], s[0:1], 0xc8
	s_mul_hi_u32 s11, s10, s11
	s_delay_alu instid0(SALU_CYCLE_1) | instskip(NEXT) | instid1(SALU_CYCLE_1)
	s_mul_i32 s11, s11, s3
	s_sub_i32 s10, s10, s11
	s_ashr_i32 s11, s33, 31
	s_sub_i32 s34, s10, s3
	s_cmp_ge_u32 s10, s3
	s_cselect_b32 s10, s34, s10
	s_delay_alu instid0(SALU_CYCLE_1) | instskip(SKIP_2) | instid1(SALU_CYCLE_1)
	s_sub_i32 s34, s10, s3
	s_cmp_ge_u32 s10, s3
	s_cselect_b32 s3, s34, s10
	s_xor_b32 s3, s3, s11
	s_delay_alu instid0(SALU_CYCLE_1)
	s_sub_i32 s3, s3, s11
	s_waitcnt lgkmcnt(0)
	s_mul_i32 s9, s3, s9
	s_mul_hi_u32 s10, s3, s8
	s_ashr_i32 s11, s3, 31
	s_add_i32 s9, s10, s9
	s_mul_i32 s11, s11, s8
	s_mul_i32 s3, s3, s8
	s_add_i32 s9, s9, s11
	s_add_u32 s34, s22, s3
	s_addc_u32 s35, s23, s9
.LBB0_2:
	v_bfe_u32 v4, v0, 10, 10
	s_load_b128 s[8:11], s[0:1], 0x70
	v_and_b32_e32 v17, 0x3ff, v0
	s_delay_alu instid0(VALU_DEP_2) | instskip(SKIP_1) | instid1(VALU_DEP_2)
	v_lshrrev_b32_e32 v1, 1, v4
	v_lshlrev_b32_e32 v5, 2, v4
	v_lshl_add_u32 v16, s13, 2, v1
	s_delay_alu instid0(VALU_DEP_2) | instskip(SKIP_2) | instid1(VALU_DEP_4)
	v_or_b32_e32 v75, 2, v5
	v_or_b32_e32 v74, 1, v5
	;; [unrolled: 1-line block ×3, first 2 shown]
	v_mul_hi_u32 v1, s4, v16
	s_delay_alu instid0(VALU_DEP_4) | instskip(NEXT) | instid1(VALU_DEP_3)
	v_and_b32_e32 v15, 6, v75
	v_and_b32_e32 v18, 7, v76
	v_lshlrev_b32_e32 v76, 8, v76
	s_waitcnt lgkmcnt(0)
	s_mul_i32 s3, s33, s10
	s_mul_i32 s4, s12, s9
	s_delay_alu instid0(VALU_DEP_4) | instskip(NEXT) | instid1(VALU_DEP_1)
	v_add_nc_u32_e32 v0, v16, v1
	v_lshrrev_b32_e32 v0, s5, v0
	s_ashr_i32 s5, s3, 31
	s_add_u32 s3, s16, s3
	s_addc_u32 s5, s17, s5
	s_ashr_i32 s10, s4, 31
	s_add_u32 s3, s3, s4
	s_addc_u32 s4, s5, s10
	s_ashr_i32 s5, s8, 31
	v_mul_lo_u32 v0, v0, s6
	v_alignbit_b32 v2, s5, s8, 2
	s_ashr_i32 s8, s9, 31
	s_lshr_b32 s5, s5, 2
	v_alignbit_b32 v12, s8, s9, 2
	s_lshr_b32 s8, s8, 2
	s_cmp_eq_u64 s[26:27], 0
	s_delay_alu instid0(VALU_DEP_3) | instskip(NEXT) | instid1(VALU_DEP_2)
	v_sub_nc_u32_e32 v6, v16, v0
	v_mad_u64_u32 v[7:8], null, v12, v15, 0
	v_and_b32_e32 v14, 5, v74
	v_mad_u64_u32 v[30:31], null, v12, v18, 0
	s_delay_alu instid0(VALU_DEP_4) | instskip(NEXT) | instid1(VALU_DEP_3)
	v_mad_u64_u32 v[0:1], null, v2, v6, 0
	v_mad_u64_u32 v[2:3], null, v12, v14, 0
	v_lshlrev_b32_e32 v74, 8, v74
	s_delay_alu instid0(VALU_DEP_2) | instskip(NEXT) | instid1(VALU_DEP_3)
	v_mad_u64_u32 v[9:10], null, s5, v6, v[1:2]
	v_mov_b32_e32 v1, v3
	v_dual_mov_b32 v3, v8 :: v_dual_mov_b32 v8, v31
	v_and_b32_e32 v32, 4, v5
	s_delay_alu instid0(VALU_DEP_1) | instskip(NEXT) | instid1(VALU_DEP_4)
	v_mad_u64_u32 v[10:11], null, v12, v32, 0
	v_mad_u64_u32 v[12:13], null, s8, v14, v[1:2]
	v_mov_b32_e32 v1, v9
	v_mul_lo_u32 v19, s8, v32
	v_mad_u64_u32 v[13:14], null, s8, v15, v[3:4]
	s_delay_alu instid0(VALU_DEP_3)
	v_lshlrev_b64 v[0:1], 2, v[0:1]
	v_mov_b32_e32 v3, v12
	v_mad_u64_u32 v[14:15], null, s8, v18, v[8:9]
	v_or_b32_e32 v11, v11, v19
	v_dual_mov_b32 v8, v13 :: v_dual_lshlrev_b32 v19, 4, v17
	v_add_co_u32 v0, vcc_lo, s3, v0
	v_add_co_ci_u32_e32 v1, vcc_lo, s4, v1, vcc_lo
	s_delay_alu instid0(VALU_DEP_4) | instskip(NEXT) | instid1(VALU_DEP_3)
	v_lshlrev_b64 v[9:10], 2, v[10:11]
	v_add_co_u32 v33, vcc_lo, v0, v19
	s_delay_alu instid0(VALU_DEP_3) | instskip(SKIP_2) | instid1(VALU_DEP_4)
	v_add_co_ci_u32_e32 v50, vcc_lo, 0, v1, vcc_lo
	v_lshlrev_b64 v[0:1], 2, v[2:3]
	v_mov_b32_e32 v31, v14
	v_add_co_u32 v18, vcc_lo, v33, v9
	v_lshlrev_b64 v[26:27], 2, v[7:8]
	v_add_co_ci_u32_e32 v19, vcc_lo, v50, v10, vcc_lo
	v_add_co_u32 v38, vcc_lo, v33, v0
	v_lshlrev_b64 v[30:31], 2, v[30:31]
	v_add_co_ci_u32_e32 v39, vcc_lo, v50, v1, vcc_lo
	v_add_co_u32 v54, vcc_lo, v33, v26
	v_add_co_ci_u32_e32 v55, vcc_lo, v50, v27, vcc_lo
	global_load_b128 v[0:3], v[18:19], off
	v_add_co_u32 v30, vcc_lo, v33, v30
	s_clause 0x4
	global_load_b128 v[8:11], v[18:19], off offset:512
	global_load_b128 v[12:15], v[18:19], off offset:1024
	;; [unrolled: 1-line block ×3, first 2 shown]
	global_load_b128 v[22:25], v[38:39], off
	global_load_b128 v[26:29], v[38:39], off offset:512
	v_add_co_ci_u32_e32 v31, vcc_lo, v50, v31, vcc_lo
	s_clause 0x9
	global_load_b128 v[34:37], v[38:39], off offset:1024
	global_load_b128 v[38:41], v[38:39], off offset:1536
	global_load_b128 v[42:45], v[54:55], off
	global_load_b128 v[46:49], v[54:55], off offset:512
	global_load_b128 v[50:53], v[54:55], off offset:1024
	;; [unrolled: 1-line block ×3, first 2 shown]
	global_load_b128 v[58:61], v[30:31], off
	global_load_b128 v[62:65], v[30:31], off offset:512
	global_load_b128 v[66:69], v[30:31], off offset:1024
	;; [unrolled: 1-line block ×3, first 2 shown]
	v_lshlrev_b32_e32 v30, 1, v17
	s_load_b32 s4, s[0:1], 0x40
	v_lshlrev_b32_e32 v7, 10, v4
	v_lshlrev_b32_e32 v33, 3, v17
	s_mov_b32 s3, 0
	v_add_lshl_u32 v106, v74, v30, 2
	v_add_lshl_u32 v107, v76, v30, 2
	v_or_b32_e32 v31, v7, v30
	v_lshl_or_b32 v105, v75, 10, v33
	s_delay_alu instid0(VALU_DEP_2)
	v_lshlrev_b32_e32 v104, 2, v31
	s_waitcnt vmcnt(14) lgkmcnt(0)
	v_fma_mixlo_f16 v74, v8, s4, 0
	v_fma_mixlo_f16 v30, v0, s4, 0
	;; [unrolled: 1-line block ×4, first 2 shown]
	s_waitcnt vmcnt(13)
	v_fma_mixlo_f16 v76, v12, s4, 0
	v_fma_mixlo_f16 v77, v14, s4, 0
	s_waitcnt vmcnt(12)
	v_fma_mixlo_f16 v78, v18, s4, 0
	v_fma_mixlo_f16 v79, v20, s4, 0
	;; [unrolled: 3-line block ×14, first 2 shown]
	v_fma_mixhi_f16 v31, v3, s4, 0
	v_fma_mixhi_f16 v30, v1, s4, 0
	;; [unrolled: 1-line block ×32, first 2 shown]
	ds_store_2addr_b64 v104, v[30:31], v[74:75] offset1:32
	ds_store_2addr_b64 v104, v[76:77], v[78:79] offset0:64 offset1:96
	ds_store_2addr_b64 v106, v[80:81], v[82:83] offset1:32
	ds_store_2addr_b64 v106, v[84:85], v[86:87] offset0:64 offset1:96
	;; [unrolled: 2-line block ×4, first 2 shown]
	s_waitcnt lgkmcnt(0)
	s_barrier
	buffer_gl0_inv
	s_cbranch_scc1 .LBB0_4
; %bb.3:
	s_load_b32 s2, s[0:1], 0xd0
	s_waitcnt lgkmcnt(0)
	s_mul_i32 s2, s2, s33
	s_delay_alu instid0(SALU_CYCLE_1) | instskip(NEXT) | instid1(SALU_CYCLE_1)
	s_add_i32 s2, s2, s13
	s_lshl_b64 s[2:3], s[2:3], 2
	s_delay_alu instid0(SALU_CYCLE_1)
	s_add_u32 s2, s26, s2
	s_addc_u32 s3, s27, s3
	s_load_b32 s2, s[2:3], 0x0
.LBB0_4:
	v_lshlrev_b32_e32 v31, 2, v17
	v_mbcnt_lo_u32_b32 v34, -1, 0
	s_lshl_b32 s3, s14, 7
	s_waitcnt lgkmcnt(0)
	s_cmp_lt_i32 s3, s2
	s_cbranch_scc1 .LBB0_6
; %bb.5:
	v_mbcnt_lo_u32_b32 v9, -1, 0
	v_mov_b32_e32 v8, 32
	s_mov_b32 s4, 0
	s_mov_b32 s5, 0xfeffffff
	s_delay_alu instid0(VALU_DEP_2)
	v_xor_b32_e32 v12, 16, v9
	v_xor_b32_e32 v13, 8, v9
	;; [unrolled: 1-line block ×5, first 2 shown]
	s_branch .LBB0_7
.LBB0_6:
	s_mov_b32 s4, -1
                                        ; implicit-def: $sgpr5
                                        ; implicit-def: $vgpr9
                                        ; implicit-def: $vgpr8
                                        ; implicit-def: $vgpr12
                                        ; implicit-def: $vgpr13
                                        ; implicit-def: $vgpr14
                                        ; implicit-def: $vgpr15
                                        ; implicit-def: $vgpr65
.LBB0_7:
	s_delay_alu instid0(SALU_CYCLE_1) | instskip(SKIP_3) | instid1(VALU_DEP_4)
	v_cndmask_b32_e64 v0, 0, 1, s4
	v_dual_mov_b32 v3, s5 :: v_dual_mov_b32 v2, s5
	v_mov_b32_e32 v81, s4
	v_dual_mov_b32 v73, s4 :: v_dual_mov_b32 v82, s4
	v_cmp_ne_u32_e32 vcc_lo, 1, v0
	v_dual_mov_b32 v1, s5 :: v_dual_mov_b32 v84, s4
	v_dual_mov_b32 v0, s5 :: v_dual_mov_b32 v83, s4
	;; [unrolled: 1-line block ×4, first 2 shown]
	v_mov_b32_e32 v78, s4
	v_dual_mov_b32 v74, s4 :: v_dual_mov_b32 v75, s4
	v_dual_mov_b32 v64, s4 :: v_dual_mov_b32 v69, s4
	;; [unrolled: 1-line block ×12, first 2 shown]
	v_mov_b32_e32 v52, s4
	v_mov_b32_e32 v48, s4
	s_cbranch_vccnz .LBB0_16
; %bb.8:
	s_clause 0x1
	s_load_b128 s[8:11], s[0:1], 0x98
	s_load_b64 s[4:5], s[0:1], 0x8c
	s_sub_i32 s13, 0, s15
	s_abs_i32 s22, s12
	s_mul_i32 s13, s13, s39
	s_ashr_i32 s27, s37, 1
	s_mul_hi_u32 s13, s39, s13
	s_ashr_i32 s37, s33, 31
	s_add_i32 s39, s39, s13
	s_ashr_i32 s23, s12, 31
	s_mul_hi_u32 s36, s22, s39
	s_ashr_i32 s26, s38, 31
	s_load_b64 s[16:17], s[0:1], 0xa8
	s_mul_i32 s38, s36, s15
	v_lshrrev_b32_e32 v0, 3, v17
	v_dual_mov_b32 v91, 0xfeffffff :: v_dual_and_b32 v14, 28, v31
	v_mov_b32_e32 v48, 0
	s_delay_alu instid0(VALU_DEP_3)
	v_dual_mov_b32 v52, 0 :: v_dual_add_nc_u32 v1, v0, v5
	s_waitcnt lgkmcnt(0)
	s_mul_i32 s39, s37, s8
	s_ashr_i32 s13, s4, 2
	s_mul_i32 s4, s33, s9
	s_mul_hi_u32 s9, s33, s8
	s_mul_i32 s8, s33, s8
	s_add_i32 s4, s9, s4
	s_ashr_i32 s10, s10, 2
	s_add_i32 s4, s4, s39
	s_add_u32 s8, s18, s8
	s_addc_u32 s4, s19, s4
	s_sub_i32 s18, s22, s38
	s_xor_b32 s9, s23, s26
	s_add_i32 s19, s36, 1
	s_sub_i32 s22, s18, s15
	s_cmp_ge_u32 s18, s15
	s_mul_i32 s17, s33, s17
	s_cselect_b32 s19, s19, s36
	s_cselect_b32 s18, s22, s18
	s_add_i32 s22, s19, 1
	s_cmp_ge_u32 s18, s15
	s_mul_hi_u32 s18, s33, s16
	s_cselect_b32 s15, s22, s19
	s_mul_i32 s37, s37, s16
	s_xor_b32 s15, s15, s9
	s_mul_i32 s19, s33, s16
	s_sub_i32 s9, s15, s9
	v_mul_lo_u32 v0, s13, v1
	s_mul_i32 s5, s9, s5
	v_lshlrev_b32_e32 v3, 2, v14
	s_ashr_i32 s16, s5, 31
	s_add_u32 s15, s8, s5
	s_addc_u32 s16, s4, s16
	s_add_i32 s4, s18, s17
	s_mul_i32 s9, s9, s11
	s_add_i32 s4, s4, s37
	s_add_u32 s5, s20, s19
	s_addc_u32 s4, s21, s4
	s_ashr_i32 s8, s9, 31
	s_add_u32 s11, s5, s9
	v_mad_u32_u24 v5, 0x90, v1, v3
	s_addc_u32 s17, s4, s8
	s_lshl_b32 s4, s13, 5
	v_dual_mov_b32 v58, 0 :: v_dual_lshlrev_b32 v39, 2, v31
	v_dual_mov_b32 v49, 0 :: v_dual_add_nc_u32 v2, s4, v0
	v_dual_mov_b32 v50, 0 :: v_dual_add_nc_u32 v35, 0x8000, v5
	;; [unrolled: 1-line block ×5, first 2 shown]
	v_mul_lo_u32 v5, s10, v4
	v_dual_mov_b32 v53, 0 :: v_dual_add_nc_u32 v8, s4, v2
	v_dual_mov_b32 v60, 0 :: v_dual_add_nc_u32 v13, v7, v39
	v_ashrrev_i32_e32 v1, 31, v0
	s_delay_alu instid0(VALU_DEP_3) | instskip(SKIP_3) | instid1(VALU_DEP_4)
	v_dual_mov_b32 v55, 0 :: v_dual_add_nc_u32 v10, s4, v8
	v_lshl_add_u32 v12, s10, 3, v5
	v_ashrrev_i32_e32 v3, 31, v2
	v_ashrrev_i32_e32 v9, 31, v8
	;; [unrolled: 1-line block ×3, first 2 shown]
	v_mad_u64_u32 v[18:19], null, v6, s27, v[17:18]
	v_dual_mov_b32 v56, 0 :: v_dual_add_nc_u32 v43, 0x8000, v13
	v_ashrrev_i32_e32 v6, 31, v5
	v_dual_mov_b32 v59, 0 :: v_dual_add_nc_u32 v44, 0x8200, v13
	v_ashrrev_i32_e32 v13, 31, v12
	v_dual_mov_b32 v62, 0 :: v_dual_lshlrev_b32 v41, 12, v4
	v_lshl_add_u32 v4, v4, 10, v39
	v_lshlrev_b64 v[19:20], 2, v[0:1]
	v_lshlrev_b64 v[21:22], 2, v[2:3]
	;; [unrolled: 1-line block ×6, first 2 shown]
	v_mul_u32_u24_e32 v40, 0x90, v17
	v_dual_mov_b32 v61, 0 :: v_dual_add_nc_u32 v42, 0xc800, v7
	v_dual_mov_b32 v66, 0 :: v_dual_add_nc_u32 v45, 0xa000, v4
	;; [unrolled: 1-line block ×3, first 2 shown]
	v_dual_mov_b32 v70, 0 :: v_dual_lshlrev_b32 v47, 2, v14
	v_dual_mov_b32 v67, 0 :: v_dual_mov_b32 v68, 0
	v_dual_mov_b32 v71, 0 :: v_dual_mov_b32 v72, 0
	;; [unrolled: 1-line block ×10, first 2 shown]
	v_mov_b32_e32 v88, 0
	s_add_u32 s4, s0, 0xd0
	s_addc_u32 s5, s1, 0
	s_mov_b32 s9, 0
.LBB0_9:                                ; =>This Loop Header: Depth=1
                                        ;     Child Loop BB0_11 Depth 2
	s_mul_hi_i32 s19, s3, s13
	s_mul_i32 s18, s3, s13
	v_dual_mov_b32 v81, 0 :: v_dual_mov_b32 v82, 0
	s_lshl_b64 s[18:19], s[18:19], 2
	v_dual_mov_b32 v83, 0 :: v_dual_mov_b32 v96, 0
	v_dual_mov_b32 v65, 0 :: v_dual_mov_b32 v102, 0
	;; [unrolled: 1-line block ×6, first 2 shown]
	v_mov_b32_e32 v101, 0
	v_mov_b32_e32 v95, 0
	s_add_u32 s18, s15, s18
	s_addc_u32 s19, s16, s19
	s_mov_b32 s20, s9
	s_branch .LBB0_11
.LBB0_10:                               ;   in Loop: Header=BB0_11 Depth=2
	s_and_b32 vcc_lo, exec_lo, s8
	s_addk_i32 s20, 0x100
	s_cbranch_vccnz .LBB0_13
.LBB0_11:                               ;   Parent Loop BB0_9 Depth=1
                                        ; =>  This Inner Loop Header: Depth=2
	s_lshr_b32 s8, s20, 1
	s_delay_alu instid0(SALU_CYCLE_1) | instskip(NEXT) | instid1(SALU_CYCLE_1)
	s_lshl_b64 s[22:23], s[8:9], 2
	s_add_u32 s8, s18, s22
	s_addc_u32 s21, s19, s23
	v_add_co_u32 v0, vcc_lo, s8, v19
	v_add_co_ci_u32_e32 v1, vcc_lo, s21, v20, vcc_lo
	v_add_co_u32 v2, vcc_lo, s8, v21
	v_add_co_ci_u32_e32 v3, vcc_lo, s21, v22, vcc_lo
	s_delay_alu instid0(VALU_DEP_4) | instskip(NEXT) | instid1(VALU_DEP_4)
	v_add_co_u32 v0, vcc_lo, v0, v47
	v_add_co_ci_u32_e32 v1, vcc_lo, 0, v1, vcc_lo
	s_delay_alu instid0(VALU_DEP_4) | instskip(NEXT) | instid1(VALU_DEP_4)
	v_add_co_u32 v2, vcc_lo, v2, v47
	v_add_co_ci_u32_e32 v3, vcc_lo, 0, v3, vcc_lo
	v_add_co_u32 v4, vcc_lo, s8, v23
	v_add_co_ci_u32_e32 v5, vcc_lo, s21, v24, vcc_lo
	;; [unrolled: 2-line block ×3, first 2 shown]
	s_delay_alu instid0(VALU_DEP_4) | instskip(NEXT) | instid1(VALU_DEP_4)
	v_add_co_u32 v4, vcc_lo, v4, v47
	v_add_co_ci_u32_e32 v5, vcc_lo, 0, v5, vcc_lo
	s_delay_alu instid0(VALU_DEP_4) | instskip(NEXT) | instid1(VALU_DEP_4)
	v_add_co_u32 v6, vcc_lo, v6, v47
	v_add_co_ci_u32_e32 v7, vcc_lo, 0, v7, vcc_lo
	s_clause 0x3
	global_load_b128 v[9:12], v[0:1], off
	global_load_b128 v[104:107], v[2:3], off
	;; [unrolled: 1-line block ×4, first 2 shown]
	s_lshl_b32 s8, s20, 1
	s_or_b32 s21, s20, 0xc0
	v_add_nc_u32_e32 v8, s8, v41
	s_waitcnt vmcnt(3)
	ds_store_b128 v35, v[9:12]
	s_waitcnt vmcnt(2)
	ds_store_b128 v36, v[104:107]
	;; [unrolled: 2-line block ×4, first 2 shown]
	s_waitcnt lgkmcnt(0)
	s_barrier
	buffer_gl0_inv
	ds_load_b128 v[9:12], v40 offset:32768
	ds_load_b128 v[104:107], v8
	ds_load_b128 v[108:111], v8 offset:1024
	ds_load_b128 v[112:115], v8 offset:2048
	;; [unrolled: 1-line block ×6, first 2 shown]
	s_waitcnt lgkmcnt(6)
	;;#ASMSTART
	v_dot2_f32_f16 v81, v9, v104, v81
	;;#ASMEND
	;;#ASMSTART
	v_dot2_f32_f16 v81, v10, v105, v81
	;;#ASMEND
	;;#ASMSTART
	v_dot2_f32_f16 v81, v11, v106, v81
	;;#ASMEND
	;;#ASMSTART
	v_dot2_f32_f16 v81, v12, v107, v81
	;;#ASMEND
	s_waitcnt lgkmcnt(5)
	;;#ASMSTART
	v_dot2_f32_f16 v83, v9, v108, v83
	;;#ASMEND
	;;#ASMSTART
	v_dot2_f32_f16 v83, v10, v109, v83
	;;#ASMEND
	;;#ASMSTART
	v_dot2_f32_f16 v83, v11, v110, v83
	;;#ASMEND
	;;#ASMSTART
	v_dot2_f32_f16 v83, v12, v111, v83
	;;#ASMEND
	;; [unrolled: 13-line block ×5, first 2 shown]
	;;#ASMSTART
	v_dot2_f32_f16 v97, v120, v108, v97
	;;#ASMEND
	;;#ASMSTART
	v_dot2_f32_f16 v97, v121, v109, v97
	;;#ASMEND
	;; [unrolled: 3-line block ×12, first 2 shown]
	s_waitcnt lgkmcnt(1)
	;;#ASMSTART
	v_dot2_f32_f16 v103, v124, v104, v103
	;;#ASMEND
	;;#ASMSTART
	v_dot2_f32_f16 v103, v125, v105, v103
	;;#ASMEND
	;; [unrolled: 3-line block ×16, first 2 shown]
	s_waitcnt lgkmcnt(0)
	;;#ASMSTART
	v_dot2_f32_f16 v90, v128, v104, v90
	;;#ASMEND
	;;#ASMSTART
	v_dot2_f32_f16 v90, v129, v105, v90
	;;#ASMEND
	;; [unrolled: 3-line block ×16, first 2 shown]
	ds_load_b128 v[9:12], v40 offset:32784
	ds_load_b128 v[104:107], v8 offset:16
	ds_load_b128 v[108:111], v8 offset:1040
	ds_load_b128 v[112:115], v8 offset:2064
	ds_load_b128 v[116:119], v8 offset:3088
	ds_load_b128 v[120:123], v40 offset:37392
	ds_load_b128 v[124:127], v40 offset:42000
	ds_load_b128 v[128:131], v40 offset:46608
	s_waitcnt lgkmcnt(6)
	;;#ASMSTART
	v_dot2_f32_f16 v81, v9, v104, v81
	;;#ASMEND
	;;#ASMSTART
	v_dot2_f32_f16 v81, v10, v105, v81
	;;#ASMEND
	;;#ASMSTART
	v_dot2_f32_f16 v81, v11, v106, v81
	;;#ASMEND
	;;#ASMSTART
	v_dot2_f32_f16 v81, v12, v107, v81
	;;#ASMEND
	s_waitcnt lgkmcnt(5)
	;;#ASMSTART
	v_dot2_f32_f16 v83, v9, v108, v83
	;;#ASMEND
	;;#ASMSTART
	v_dot2_f32_f16 v83, v10, v109, v83
	;;#ASMEND
	;;#ASMSTART
	v_dot2_f32_f16 v83, v11, v110, v83
	;;#ASMEND
	;;#ASMSTART
	v_dot2_f32_f16 v83, v12, v111, v83
	;;#ASMEND
	;; [unrolled: 13-line block ×5, first 2 shown]
	;;#ASMSTART
	v_dot2_f32_f16 v97, v120, v108, v97
	;;#ASMEND
	;;#ASMSTART
	v_dot2_f32_f16 v97, v121, v109, v97
	;;#ASMEND
	;;#ASMSTART
	v_dot2_f32_f16 v97, v122, v110, v97
	;;#ASMEND
	;;#ASMSTART
	v_dot2_f32_f16 v97, v123, v111, v97
	;;#ASMEND
	;;#ASMSTART
	v_dot2_f32_f16 v96, v120, v112, v96
	;;#ASMEND
	;;#ASMSTART
	v_dot2_f32_f16 v96, v121, v113, v96
	;;#ASMEND
	;;#ASMSTART
	v_dot2_f32_f16 v96, v122, v114, v96
	;;#ASMEND
	;;#ASMSTART
	v_dot2_f32_f16 v96, v123, v115, v96
	;;#ASMEND
	;;#ASMSTART
	v_dot2_f32_f16 v89, v120, v116, v89
	;;#ASMEND
	;;#ASMSTART
	v_dot2_f32_f16 v89, v121, v117, v89
	;;#ASMEND
	;;#ASMSTART
	v_dot2_f32_f16 v89, v122, v118, v89
	;;#ASMEND
	;;#ASMSTART
	v_dot2_f32_f16 v89, v123, v119, v89
	;;#ASMEND
	s_waitcnt lgkmcnt(1)
	;;#ASMSTART
	v_dot2_f32_f16 v103, v124, v104, v103
	;;#ASMEND
	;;#ASMSTART
	v_dot2_f32_f16 v103, v125, v105, v103
	;;#ASMEND
	;; [unrolled: 3-line block ×16, first 2 shown]
	s_waitcnt lgkmcnt(0)
	;;#ASMSTART
	v_dot2_f32_f16 v90, v128, v104, v90
	;;#ASMEND
	;;#ASMSTART
	v_dot2_f32_f16 v90, v129, v105, v90
	;;#ASMEND
	;; [unrolled: 3-line block ×16, first 2 shown]
	ds_load_b128 v[9:12], v40 offset:32800
	ds_load_b128 v[104:107], v8 offset:32
	;; [unrolled: 1-line block ×8, first 2 shown]
	s_waitcnt lgkmcnt(6)
	;;#ASMSTART
	v_dot2_f32_f16 v81, v9, v104, v81
	;;#ASMEND
	;;#ASMSTART
	v_dot2_f32_f16 v81, v10, v105, v81
	;;#ASMEND
	;;#ASMSTART
	v_dot2_f32_f16 v81, v11, v106, v81
	;;#ASMEND
	;;#ASMSTART
	v_dot2_f32_f16 v81, v12, v107, v81
	;;#ASMEND
	s_waitcnt lgkmcnt(5)
	;;#ASMSTART
	v_dot2_f32_f16 v83, v9, v108, v83
	;;#ASMEND
	;;#ASMSTART
	v_dot2_f32_f16 v83, v10, v109, v83
	;;#ASMEND
	;;#ASMSTART
	v_dot2_f32_f16 v83, v11, v110, v83
	;;#ASMEND
	;;#ASMSTART
	v_dot2_f32_f16 v83, v12, v111, v83
	;;#ASMEND
	;; [unrolled: 13-line block ×5, first 2 shown]
	;;#ASMSTART
	v_dot2_f32_f16 v97, v120, v108, v97
	;;#ASMEND
	;;#ASMSTART
	v_dot2_f32_f16 v97, v121, v109, v97
	;;#ASMEND
	;; [unrolled: 3-line block ×12, first 2 shown]
	s_waitcnt lgkmcnt(1)
	;;#ASMSTART
	v_dot2_f32_f16 v103, v124, v104, v103
	;;#ASMEND
	;;#ASMSTART
	v_dot2_f32_f16 v103, v125, v105, v103
	;;#ASMEND
	;; [unrolled: 3-line block ×16, first 2 shown]
	s_waitcnt lgkmcnt(0)
	;;#ASMSTART
	v_dot2_f32_f16 v90, v128, v104, v90
	;;#ASMEND
	;;#ASMSTART
	v_dot2_f32_f16 v90, v129, v105, v90
	;;#ASMEND
	;; [unrolled: 3-line block ×16, first 2 shown]
	ds_load_b128 v[9:12], v40 offset:32816
	ds_load_b128 v[104:107], v8 offset:48
	;; [unrolled: 1-line block ×8, first 2 shown]
	s_waitcnt lgkmcnt(6)
	;;#ASMSTART
	v_dot2_f32_f16 v81, v9, v104, v81
	;;#ASMEND
	;;#ASMSTART
	v_dot2_f32_f16 v81, v10, v105, v81
	;;#ASMEND
	;;#ASMSTART
	v_dot2_f32_f16 v81, v11, v106, v81
	;;#ASMEND
	;;#ASMSTART
	v_dot2_f32_f16 v81, v12, v107, v81
	;;#ASMEND
	s_waitcnt lgkmcnt(5)
	;;#ASMSTART
	v_dot2_f32_f16 v83, v9, v108, v83
	;;#ASMEND
	;;#ASMSTART
	v_dot2_f32_f16 v83, v10, v109, v83
	;;#ASMEND
	;;#ASMSTART
	v_dot2_f32_f16 v83, v11, v110, v83
	;;#ASMEND
	;;#ASMSTART
	v_dot2_f32_f16 v83, v12, v111, v83
	;;#ASMEND
	;; [unrolled: 13-line block ×5, first 2 shown]
	;;#ASMSTART
	v_dot2_f32_f16 v97, v120, v108, v97
	;;#ASMEND
	;;#ASMSTART
	v_dot2_f32_f16 v97, v121, v109, v97
	;;#ASMEND
	;; [unrolled: 3-line block ×12, first 2 shown]
	s_waitcnt lgkmcnt(1)
	;;#ASMSTART
	v_dot2_f32_f16 v103, v124, v104, v103
	;;#ASMEND
	;;#ASMSTART
	v_dot2_f32_f16 v103, v125, v105, v103
	;;#ASMEND
	;; [unrolled: 3-line block ×16, first 2 shown]
	s_waitcnt lgkmcnt(0)
	;;#ASMSTART
	v_dot2_f32_f16 v90, v128, v104, v90
	;;#ASMEND
	;;#ASMSTART
	v_dot2_f32_f16 v90, v129, v105, v90
	;;#ASMEND
	;; [unrolled: 3-line block ×16, first 2 shown]
	ds_load_b128 v[9:12], v40 offset:32832
	ds_load_b128 v[104:107], v8 offset:64
	;; [unrolled: 1-line block ×8, first 2 shown]
	s_waitcnt lgkmcnt(6)
	;;#ASMSTART
	v_dot2_f32_f16 v81, v9, v104, v81
	;;#ASMEND
	;;#ASMSTART
	v_dot2_f32_f16 v81, v10, v105, v81
	;;#ASMEND
	;;#ASMSTART
	v_dot2_f32_f16 v81, v11, v106, v81
	;;#ASMEND
	;;#ASMSTART
	v_dot2_f32_f16 v81, v12, v107, v81
	;;#ASMEND
	s_waitcnt lgkmcnt(5)
	;;#ASMSTART
	v_dot2_f32_f16 v83, v9, v108, v83
	;;#ASMEND
	;;#ASMSTART
	v_dot2_f32_f16 v83, v10, v109, v83
	;;#ASMEND
	;;#ASMSTART
	v_dot2_f32_f16 v83, v11, v110, v83
	;;#ASMEND
	;;#ASMSTART
	v_dot2_f32_f16 v83, v12, v111, v83
	;;#ASMEND
	;; [unrolled: 13-line block ×5, first 2 shown]
	;;#ASMSTART
	v_dot2_f32_f16 v97, v120, v108, v97
	;;#ASMEND
	;;#ASMSTART
	v_dot2_f32_f16 v97, v121, v109, v97
	;;#ASMEND
	;; [unrolled: 3-line block ×12, first 2 shown]
	s_waitcnt lgkmcnt(1)
	;;#ASMSTART
	v_dot2_f32_f16 v103, v124, v104, v103
	;;#ASMEND
	;;#ASMSTART
	v_dot2_f32_f16 v103, v125, v105, v103
	;;#ASMEND
	;; [unrolled: 3-line block ×16, first 2 shown]
	s_waitcnt lgkmcnt(0)
	;;#ASMSTART
	v_dot2_f32_f16 v90, v128, v104, v90
	;;#ASMEND
	;;#ASMSTART
	v_dot2_f32_f16 v90, v129, v105, v90
	;;#ASMEND
	;; [unrolled: 3-line block ×16, first 2 shown]
	ds_load_b128 v[9:12], v40 offset:32848
	ds_load_b128 v[104:107], v8 offset:80
	;; [unrolled: 1-line block ×8, first 2 shown]
	s_waitcnt lgkmcnt(6)
	;;#ASMSTART
	v_dot2_f32_f16 v81, v9, v104, v81
	;;#ASMEND
	;;#ASMSTART
	v_dot2_f32_f16 v81, v10, v105, v81
	;;#ASMEND
	;;#ASMSTART
	v_dot2_f32_f16 v81, v11, v106, v81
	;;#ASMEND
	;;#ASMSTART
	v_dot2_f32_f16 v81, v12, v107, v81
	;;#ASMEND
	s_waitcnt lgkmcnt(5)
	;;#ASMSTART
	v_dot2_f32_f16 v83, v9, v108, v83
	;;#ASMEND
	;;#ASMSTART
	v_dot2_f32_f16 v83, v10, v109, v83
	;;#ASMEND
	;;#ASMSTART
	v_dot2_f32_f16 v83, v11, v110, v83
	;;#ASMEND
	;;#ASMSTART
	v_dot2_f32_f16 v83, v12, v111, v83
	;;#ASMEND
	;; [unrolled: 13-line block ×5, first 2 shown]
	;;#ASMSTART
	v_dot2_f32_f16 v97, v120, v108, v97
	;;#ASMEND
	;;#ASMSTART
	v_dot2_f32_f16 v97, v121, v109, v97
	;;#ASMEND
	;; [unrolled: 3-line block ×12, first 2 shown]
	s_waitcnt lgkmcnt(1)
	;;#ASMSTART
	v_dot2_f32_f16 v103, v124, v104, v103
	;;#ASMEND
	;;#ASMSTART
	v_dot2_f32_f16 v103, v125, v105, v103
	;;#ASMEND
	;; [unrolled: 3-line block ×16, first 2 shown]
	s_waitcnt lgkmcnt(0)
	;;#ASMSTART
	v_dot2_f32_f16 v90, v128, v104, v90
	;;#ASMEND
	;;#ASMSTART
	v_dot2_f32_f16 v90, v129, v105, v90
	;;#ASMEND
	;; [unrolled: 3-line block ×16, first 2 shown]
	ds_load_b128 v[9:12], v40 offset:32864
	ds_load_b128 v[104:107], v8 offset:96
	;; [unrolled: 1-line block ×8, first 2 shown]
	s_waitcnt lgkmcnt(6)
	;;#ASMSTART
	v_dot2_f32_f16 v81, v9, v104, v81
	;;#ASMEND
	;;#ASMSTART
	v_dot2_f32_f16 v81, v10, v105, v81
	;;#ASMEND
	;;#ASMSTART
	v_dot2_f32_f16 v81, v11, v106, v81
	;;#ASMEND
	;;#ASMSTART
	v_dot2_f32_f16 v81, v12, v107, v81
	;;#ASMEND
	s_waitcnt lgkmcnt(5)
	;;#ASMSTART
	v_dot2_f32_f16 v83, v9, v108, v83
	;;#ASMEND
	;;#ASMSTART
	v_dot2_f32_f16 v83, v10, v109, v83
	;;#ASMEND
	;;#ASMSTART
	v_dot2_f32_f16 v83, v11, v110, v83
	;;#ASMEND
	;;#ASMSTART
	v_dot2_f32_f16 v83, v12, v111, v83
	;;#ASMEND
	;; [unrolled: 13-line block ×5, first 2 shown]
	;;#ASMSTART
	v_dot2_f32_f16 v97, v120, v108, v97
	;;#ASMEND
	;;#ASMSTART
	v_dot2_f32_f16 v97, v121, v109, v97
	;;#ASMEND
	;; [unrolled: 3-line block ×12, first 2 shown]
	s_waitcnt lgkmcnt(1)
	;;#ASMSTART
	v_dot2_f32_f16 v103, v124, v104, v103
	;;#ASMEND
	;;#ASMSTART
	v_dot2_f32_f16 v103, v125, v105, v103
	;;#ASMEND
	;; [unrolled: 3-line block ×16, first 2 shown]
	s_waitcnt lgkmcnt(0)
	;;#ASMSTART
	v_dot2_f32_f16 v90, v128, v104, v90
	;;#ASMEND
	;;#ASMSTART
	v_dot2_f32_f16 v90, v129, v105, v90
	;;#ASMEND
	;; [unrolled: 3-line block ×16, first 2 shown]
	ds_load_b128 v[9:12], v40 offset:32880
	ds_load_b128 v[104:107], v8 offset:112
	ds_load_b128 v[108:111], v8 offset:1136
	ds_load_b128 v[112:115], v8 offset:2160
	ds_load_b128 v[116:119], v8 offset:3184
	ds_load_b128 v[120:123], v40 offset:37488
	ds_load_b128 v[124:127], v40 offset:42096
	ds_load_b128 v[128:131], v40 offset:46704
	s_waitcnt lgkmcnt(6)
	;;#ASMSTART
	v_dot2_f32_f16 v81, v9, v104, v81
	;;#ASMEND
	;;#ASMSTART
	v_dot2_f32_f16 v81, v10, v105, v81
	;;#ASMEND
	;;#ASMSTART
	v_dot2_f32_f16 v81, v11, v106, v81
	;;#ASMEND
	;;#ASMSTART
	v_dot2_f32_f16 v81, v12, v107, v81
	;;#ASMEND
	s_waitcnt lgkmcnt(5)
	;;#ASMSTART
	v_dot2_f32_f16 v83, v9, v108, v83
	;;#ASMEND
	;;#ASMSTART
	v_dot2_f32_f16 v83, v10, v109, v83
	;;#ASMEND
	;;#ASMSTART
	v_dot2_f32_f16 v83, v11, v110, v83
	;;#ASMEND
	;;#ASMSTART
	v_dot2_f32_f16 v83, v12, v111, v83
	;;#ASMEND
	;; [unrolled: 13-line block ×5, first 2 shown]
	;;#ASMSTART
	v_dot2_f32_f16 v97, v120, v108, v97
	;;#ASMEND
	;;#ASMSTART
	v_dot2_f32_f16 v97, v121, v109, v97
	;;#ASMEND
	;; [unrolled: 3-line block ×12, first 2 shown]
	s_waitcnt lgkmcnt(1)
	;;#ASMSTART
	v_dot2_f32_f16 v103, v124, v104, v103
	;;#ASMEND
	;;#ASMSTART
	v_dot2_f32_f16 v103, v125, v105, v103
	;;#ASMEND
	;; [unrolled: 3-line block ×16, first 2 shown]
	s_waitcnt lgkmcnt(0)
	;;#ASMSTART
	v_dot2_f32_f16 v90, v128, v104, v90
	;;#ASMEND
	;;#ASMSTART
	v_dot2_f32_f16 v90, v129, v105, v90
	;;#ASMEND
	;;#ASMSTART
	v_dot2_f32_f16 v90, v130, v106, v90
	;;#ASMEND
	;;#ASMSTART
	v_dot2_f32_f16 v90, v131, v107, v90
	;;#ASMEND
	;;#ASMSTART
	v_dot2_f32_f16 v98, v128, v108, v98
	;;#ASMEND
	;;#ASMSTART
	v_dot2_f32_f16 v98, v129, v109, v98
	;;#ASMEND
	;;#ASMSTART
	v_dot2_f32_f16 v98, v130, v110, v98
	;;#ASMEND
	;;#ASMSTART
	v_dot2_f32_f16 v98, v131, v111, v98
	;;#ASMEND
	;;#ASMSTART
	v_dot2_f32_f16 v84, v128, v112, v84
	;;#ASMEND
	;;#ASMSTART
	v_dot2_f32_f16 v84, v129, v113, v84
	;;#ASMEND
	;;#ASMSTART
	v_dot2_f32_f16 v84, v130, v114, v84
	;;#ASMEND
	;;#ASMSTART
	v_dot2_f32_f16 v84, v131, v115, v84
	;;#ASMEND
	;;#ASMSTART
	v_dot2_f32_f16 v95, v128, v116, v95
	;;#ASMEND
	;;#ASMSTART
	v_dot2_f32_f16 v95, v129, v117, v95
	;;#ASMEND
	;;#ASMSTART
	v_dot2_f32_f16 v95, v130, v118, v95
	;;#ASMEND
	;;#ASMSTART
	v_dot2_f32_f16 v95, v131, v119, v95
	;;#ASMEND
	s_barrier
	buffer_gl0_inv
	s_clause 0x3
	global_load_b128 v[10:13], v[0:1], off offset:128
	global_load_b128 v[104:107], v[2:3], off offset:128
	;; [unrolled: 1-line block ×4, first 2 shown]
	v_add3_u32 v9, 0x80, s8, v41
	s_waitcnt vmcnt(3)
	ds_store_b128 v35, v[10:13]
	s_waitcnt vmcnt(2)
	ds_store_b128 v36, v[104:107]
	;; [unrolled: 2-line block ×4, first 2 shown]
	s_waitcnt lgkmcnt(0)
	s_barrier
	buffer_gl0_inv
	ds_load_b128 v[10:13], v40 offset:32768
	ds_load_b128 v[104:107], v8 offset:128
	;; [unrolled: 1-line block ×8, first 2 shown]
	s_waitcnt lgkmcnt(6)
	;;#ASMSTART
	v_dot2_f32_f16 v81, v10, v104, v81
	;;#ASMEND
	;;#ASMSTART
	v_dot2_f32_f16 v81, v11, v105, v81
	;;#ASMEND
	;;#ASMSTART
	v_dot2_f32_f16 v81, v12, v106, v81
	;;#ASMEND
	;;#ASMSTART
	v_dot2_f32_f16 v81, v13, v107, v81
	;;#ASMEND
	s_waitcnt lgkmcnt(5)
	;;#ASMSTART
	v_dot2_f32_f16 v83, v10, v108, v83
	;;#ASMEND
	;;#ASMSTART
	v_dot2_f32_f16 v83, v11, v109, v83
	;;#ASMEND
	;;#ASMSTART
	v_dot2_f32_f16 v83, v12, v110, v83
	;;#ASMEND
	;;#ASMSTART
	v_dot2_f32_f16 v83, v13, v111, v83
	;;#ASMEND
	;; [unrolled: 13-line block ×5, first 2 shown]
	;;#ASMSTART
	v_dot2_f32_f16 v97, v120, v108, v97
	;;#ASMEND
	;;#ASMSTART
	v_dot2_f32_f16 v97, v121, v109, v97
	;;#ASMEND
	;; [unrolled: 3-line block ×12, first 2 shown]
	s_waitcnt lgkmcnt(1)
	;;#ASMSTART
	v_dot2_f32_f16 v103, v124, v104, v103
	;;#ASMEND
	;;#ASMSTART
	v_dot2_f32_f16 v103, v125, v105, v103
	;;#ASMEND
	;; [unrolled: 3-line block ×16, first 2 shown]
	s_waitcnt lgkmcnt(0)
	;;#ASMSTART
	v_dot2_f32_f16 v90, v128, v104, v90
	;;#ASMEND
	;;#ASMSTART
	v_dot2_f32_f16 v90, v129, v105, v90
	;;#ASMEND
	;; [unrolled: 3-line block ×16, first 2 shown]
	ds_load_b128 v[10:13], v40 offset:32784
	ds_load_b128 v[104:107], v9 offset:16
	;; [unrolled: 1-line block ×8, first 2 shown]
	s_waitcnt lgkmcnt(6)
	;;#ASMSTART
	v_dot2_f32_f16 v81, v10, v104, v81
	;;#ASMEND
	;;#ASMSTART
	v_dot2_f32_f16 v81, v11, v105, v81
	;;#ASMEND
	;;#ASMSTART
	v_dot2_f32_f16 v81, v12, v106, v81
	;;#ASMEND
	;;#ASMSTART
	v_dot2_f32_f16 v81, v13, v107, v81
	;;#ASMEND
	s_waitcnt lgkmcnt(5)
	;;#ASMSTART
	v_dot2_f32_f16 v83, v10, v108, v83
	;;#ASMEND
	;;#ASMSTART
	v_dot2_f32_f16 v83, v11, v109, v83
	;;#ASMEND
	;;#ASMSTART
	v_dot2_f32_f16 v83, v12, v110, v83
	;;#ASMEND
	;;#ASMSTART
	v_dot2_f32_f16 v83, v13, v111, v83
	;;#ASMEND
	;; [unrolled: 13-line block ×5, first 2 shown]
	;;#ASMSTART
	v_dot2_f32_f16 v97, v120, v108, v97
	;;#ASMEND
	;;#ASMSTART
	v_dot2_f32_f16 v97, v121, v109, v97
	;;#ASMEND
	;; [unrolled: 3-line block ×12, first 2 shown]
	s_waitcnt lgkmcnt(1)
	;;#ASMSTART
	v_dot2_f32_f16 v103, v124, v104, v103
	;;#ASMEND
	;;#ASMSTART
	v_dot2_f32_f16 v103, v125, v105, v103
	;;#ASMEND
	;; [unrolled: 3-line block ×16, first 2 shown]
	s_waitcnt lgkmcnt(0)
	;;#ASMSTART
	v_dot2_f32_f16 v90, v128, v104, v90
	;;#ASMEND
	;;#ASMSTART
	v_dot2_f32_f16 v90, v129, v105, v90
	;;#ASMEND
	;; [unrolled: 3-line block ×16, first 2 shown]
	ds_load_b128 v[10:13], v40 offset:32800
	ds_load_b128 v[104:107], v9 offset:32
	;; [unrolled: 1-line block ×8, first 2 shown]
	s_waitcnt lgkmcnt(6)
	;;#ASMSTART
	v_dot2_f32_f16 v81, v10, v104, v81
	;;#ASMEND
	;;#ASMSTART
	v_dot2_f32_f16 v81, v11, v105, v81
	;;#ASMEND
	;;#ASMSTART
	v_dot2_f32_f16 v81, v12, v106, v81
	;;#ASMEND
	;;#ASMSTART
	v_dot2_f32_f16 v81, v13, v107, v81
	;;#ASMEND
	s_waitcnt lgkmcnt(5)
	;;#ASMSTART
	v_dot2_f32_f16 v83, v10, v108, v83
	;;#ASMEND
	;;#ASMSTART
	v_dot2_f32_f16 v83, v11, v109, v83
	;;#ASMEND
	;;#ASMSTART
	v_dot2_f32_f16 v83, v12, v110, v83
	;;#ASMEND
	;;#ASMSTART
	v_dot2_f32_f16 v83, v13, v111, v83
	;;#ASMEND
	;; [unrolled: 13-line block ×5, first 2 shown]
	;;#ASMSTART
	v_dot2_f32_f16 v97, v120, v108, v97
	;;#ASMEND
	;;#ASMSTART
	v_dot2_f32_f16 v97, v121, v109, v97
	;;#ASMEND
	;;#ASMSTART
	v_dot2_f32_f16 v97, v122, v110, v97
	;;#ASMEND
	;;#ASMSTART
	v_dot2_f32_f16 v97, v123, v111, v97
	;;#ASMEND
	;;#ASMSTART
	v_dot2_f32_f16 v96, v120, v112, v96
	;;#ASMEND
	;;#ASMSTART
	v_dot2_f32_f16 v96, v121, v113, v96
	;;#ASMEND
	;;#ASMSTART
	v_dot2_f32_f16 v96, v122, v114, v96
	;;#ASMEND
	;;#ASMSTART
	v_dot2_f32_f16 v96, v123, v115, v96
	;;#ASMEND
	;;#ASMSTART
	v_dot2_f32_f16 v89, v120, v116, v89
	;;#ASMEND
	;;#ASMSTART
	v_dot2_f32_f16 v89, v121, v117, v89
	;;#ASMEND
	;;#ASMSTART
	v_dot2_f32_f16 v89, v122, v118, v89
	;;#ASMEND
	;;#ASMSTART
	v_dot2_f32_f16 v89, v123, v119, v89
	;;#ASMEND
	s_waitcnt lgkmcnt(1)
	;;#ASMSTART
	v_dot2_f32_f16 v103, v124, v104, v103
	;;#ASMEND
	;;#ASMSTART
	v_dot2_f32_f16 v103, v125, v105, v103
	;;#ASMEND
	;; [unrolled: 3-line block ×16, first 2 shown]
	s_waitcnt lgkmcnt(0)
	;;#ASMSTART
	v_dot2_f32_f16 v90, v128, v104, v90
	;;#ASMEND
	;;#ASMSTART
	v_dot2_f32_f16 v90, v129, v105, v90
	;;#ASMEND
	;; [unrolled: 3-line block ×16, first 2 shown]
	ds_load_b128 v[10:13], v40 offset:32816
	ds_load_b128 v[104:107], v9 offset:48
	;; [unrolled: 1-line block ×8, first 2 shown]
	s_waitcnt lgkmcnt(6)
	;;#ASMSTART
	v_dot2_f32_f16 v81, v10, v104, v81
	;;#ASMEND
	;;#ASMSTART
	v_dot2_f32_f16 v81, v11, v105, v81
	;;#ASMEND
	;;#ASMSTART
	v_dot2_f32_f16 v81, v12, v106, v81
	;;#ASMEND
	;;#ASMSTART
	v_dot2_f32_f16 v81, v13, v107, v81
	;;#ASMEND
	s_waitcnt lgkmcnt(5)
	;;#ASMSTART
	v_dot2_f32_f16 v83, v10, v108, v83
	;;#ASMEND
	;;#ASMSTART
	v_dot2_f32_f16 v83, v11, v109, v83
	;;#ASMEND
	;;#ASMSTART
	v_dot2_f32_f16 v83, v12, v110, v83
	;;#ASMEND
	;;#ASMSTART
	v_dot2_f32_f16 v83, v13, v111, v83
	;;#ASMEND
	;; [unrolled: 13-line block ×5, first 2 shown]
	;;#ASMSTART
	v_dot2_f32_f16 v97, v120, v108, v97
	;;#ASMEND
	;;#ASMSTART
	v_dot2_f32_f16 v97, v121, v109, v97
	;;#ASMEND
	;; [unrolled: 3-line block ×12, first 2 shown]
	s_waitcnt lgkmcnt(1)
	;;#ASMSTART
	v_dot2_f32_f16 v103, v124, v104, v103
	;;#ASMEND
	;;#ASMSTART
	v_dot2_f32_f16 v103, v125, v105, v103
	;;#ASMEND
	;; [unrolled: 3-line block ×16, first 2 shown]
	s_waitcnt lgkmcnt(0)
	;;#ASMSTART
	v_dot2_f32_f16 v90, v128, v104, v90
	;;#ASMEND
	;;#ASMSTART
	v_dot2_f32_f16 v90, v129, v105, v90
	;;#ASMEND
	;; [unrolled: 3-line block ×16, first 2 shown]
	ds_load_b128 v[10:13], v40 offset:32832
	ds_load_b128 v[104:107], v9 offset:64
	;; [unrolled: 1-line block ×8, first 2 shown]
	s_waitcnt lgkmcnt(6)
	;;#ASMSTART
	v_dot2_f32_f16 v81, v10, v104, v81
	;;#ASMEND
	;;#ASMSTART
	v_dot2_f32_f16 v81, v11, v105, v81
	;;#ASMEND
	;;#ASMSTART
	v_dot2_f32_f16 v81, v12, v106, v81
	;;#ASMEND
	;;#ASMSTART
	v_dot2_f32_f16 v81, v13, v107, v81
	;;#ASMEND
	s_waitcnt lgkmcnt(5)
	;;#ASMSTART
	v_dot2_f32_f16 v83, v10, v108, v83
	;;#ASMEND
	;;#ASMSTART
	v_dot2_f32_f16 v83, v11, v109, v83
	;;#ASMEND
	;;#ASMSTART
	v_dot2_f32_f16 v83, v12, v110, v83
	;;#ASMEND
	;;#ASMSTART
	v_dot2_f32_f16 v83, v13, v111, v83
	;;#ASMEND
	;; [unrolled: 13-line block ×5, first 2 shown]
	;;#ASMSTART
	v_dot2_f32_f16 v97, v120, v108, v97
	;;#ASMEND
	;;#ASMSTART
	v_dot2_f32_f16 v97, v121, v109, v97
	;;#ASMEND
	;; [unrolled: 3-line block ×12, first 2 shown]
	s_waitcnt lgkmcnt(1)
	;;#ASMSTART
	v_dot2_f32_f16 v103, v124, v104, v103
	;;#ASMEND
	;;#ASMSTART
	v_dot2_f32_f16 v103, v125, v105, v103
	;;#ASMEND
	;; [unrolled: 3-line block ×16, first 2 shown]
	s_waitcnt lgkmcnt(0)
	;;#ASMSTART
	v_dot2_f32_f16 v90, v128, v104, v90
	;;#ASMEND
	;;#ASMSTART
	v_dot2_f32_f16 v90, v129, v105, v90
	;;#ASMEND
	;;#ASMSTART
	v_dot2_f32_f16 v90, v130, v106, v90
	;;#ASMEND
	;;#ASMSTART
	v_dot2_f32_f16 v90, v131, v107, v90
	;;#ASMEND
	;;#ASMSTART
	v_dot2_f32_f16 v98, v128, v108, v98
	;;#ASMEND
	;;#ASMSTART
	v_dot2_f32_f16 v98, v129, v109, v98
	;;#ASMEND
	;;#ASMSTART
	v_dot2_f32_f16 v98, v130, v110, v98
	;;#ASMEND
	;;#ASMSTART
	v_dot2_f32_f16 v98, v131, v111, v98
	;;#ASMEND
	;;#ASMSTART
	v_dot2_f32_f16 v84, v128, v112, v84
	;;#ASMEND
	;;#ASMSTART
	v_dot2_f32_f16 v84, v129, v113, v84
	;;#ASMEND
	;;#ASMSTART
	v_dot2_f32_f16 v84, v130, v114, v84
	;;#ASMEND
	;;#ASMSTART
	v_dot2_f32_f16 v84, v131, v115, v84
	;;#ASMEND
	;;#ASMSTART
	v_dot2_f32_f16 v95, v128, v116, v95
	;;#ASMEND
	;;#ASMSTART
	v_dot2_f32_f16 v95, v129, v117, v95
	;;#ASMEND
	;;#ASMSTART
	v_dot2_f32_f16 v95, v130, v118, v95
	;;#ASMEND
	;;#ASMSTART
	v_dot2_f32_f16 v95, v131, v119, v95
	;;#ASMEND
	ds_load_b128 v[10:13], v40 offset:32848
	ds_load_b128 v[104:107], v9 offset:80
	;; [unrolled: 1-line block ×8, first 2 shown]
	s_waitcnt lgkmcnt(6)
	;;#ASMSTART
	v_dot2_f32_f16 v81, v10, v104, v81
	;;#ASMEND
	;;#ASMSTART
	v_dot2_f32_f16 v81, v11, v105, v81
	;;#ASMEND
	;;#ASMSTART
	v_dot2_f32_f16 v81, v12, v106, v81
	;;#ASMEND
	;;#ASMSTART
	v_dot2_f32_f16 v81, v13, v107, v81
	;;#ASMEND
	s_waitcnt lgkmcnt(5)
	;;#ASMSTART
	v_dot2_f32_f16 v83, v10, v108, v83
	;;#ASMEND
	;;#ASMSTART
	v_dot2_f32_f16 v83, v11, v109, v83
	;;#ASMEND
	;;#ASMSTART
	v_dot2_f32_f16 v83, v12, v110, v83
	;;#ASMEND
	;;#ASMSTART
	v_dot2_f32_f16 v83, v13, v111, v83
	;;#ASMEND
	s_waitcnt lgkmcnt(4)
	;;#ASMSTART
	v_dot2_f32_f16 v65, v10, v112, v65
	;;#ASMEND
	;;#ASMSTART
	v_dot2_f32_f16 v65, v11, v113, v65
	;;#ASMEND
	;;#ASMSTART
	v_dot2_f32_f16 v65, v12, v114, v65
	;;#ASMEND
	;;#ASMSTART
	v_dot2_f32_f16 v65, v13, v115, v65
	;;#ASMEND
	s_waitcnt lgkmcnt(3)
	;;#ASMSTART
	v_dot2_f32_f16 v82, v10, v116, v82
	;;#ASMEND
	;;#ASMSTART
	v_dot2_f32_f16 v82, v11, v117, v82
	;;#ASMEND
	;;#ASMSTART
	v_dot2_f32_f16 v82, v12, v118, v82
	;;#ASMEND
	;;#ASMSTART
	v_dot2_f32_f16 v82, v13, v119, v82
	;;#ASMEND
	s_waitcnt lgkmcnt(2)
	;;#ASMSTART
	v_dot2_f32_f16 v99, v120, v104, v99
	;;#ASMEND
	;;#ASMSTART
	v_dot2_f32_f16 v99, v121, v105, v99
	;;#ASMEND
	;;#ASMSTART
	v_dot2_f32_f16 v99, v122, v106, v99
	;;#ASMEND
	;;#ASMSTART
	v_dot2_f32_f16 v99, v123, v107, v99
	;;#ASMEND
	;;#ASMSTART
	v_dot2_f32_f16 v97, v120, v108, v97
	;;#ASMEND
	;;#ASMSTART
	v_dot2_f32_f16 v97, v121, v109, v97
	;;#ASMEND
	;; [unrolled: 3-line block ×12, first 2 shown]
	s_waitcnt lgkmcnt(1)
	;;#ASMSTART
	v_dot2_f32_f16 v103, v124, v104, v103
	;;#ASMEND
	;;#ASMSTART
	v_dot2_f32_f16 v103, v125, v105, v103
	;;#ASMEND
	;; [unrolled: 3-line block ×16, first 2 shown]
	s_waitcnt lgkmcnt(0)
	;;#ASMSTART
	v_dot2_f32_f16 v90, v128, v104, v90
	;;#ASMEND
	;;#ASMSTART
	v_dot2_f32_f16 v90, v129, v105, v90
	;;#ASMEND
	;; [unrolled: 3-line block ×16, first 2 shown]
	ds_load_b128 v[10:13], v40 offset:32864
	ds_load_b128 v[104:107], v9 offset:96
	;; [unrolled: 1-line block ×8, first 2 shown]
	s_waitcnt lgkmcnt(6)
	;;#ASMSTART
	v_dot2_f32_f16 v81, v10, v104, v81
	;;#ASMEND
	;;#ASMSTART
	v_dot2_f32_f16 v81, v11, v105, v81
	;;#ASMEND
	;;#ASMSTART
	v_dot2_f32_f16 v81, v12, v106, v81
	;;#ASMEND
	;;#ASMSTART
	v_dot2_f32_f16 v81, v13, v107, v81
	;;#ASMEND
	s_waitcnt lgkmcnt(5)
	;;#ASMSTART
	v_dot2_f32_f16 v83, v10, v108, v83
	;;#ASMEND
	;;#ASMSTART
	v_dot2_f32_f16 v83, v11, v109, v83
	;;#ASMEND
	;;#ASMSTART
	v_dot2_f32_f16 v83, v12, v110, v83
	;;#ASMEND
	;;#ASMSTART
	v_dot2_f32_f16 v83, v13, v111, v83
	;;#ASMEND
	;; [unrolled: 13-line block ×5, first 2 shown]
	;;#ASMSTART
	v_dot2_f32_f16 v97, v120, v108, v97
	;;#ASMEND
	;;#ASMSTART
	v_dot2_f32_f16 v97, v121, v109, v97
	;;#ASMEND
	;; [unrolled: 3-line block ×12, first 2 shown]
	s_waitcnt lgkmcnt(1)
	;;#ASMSTART
	v_dot2_f32_f16 v103, v124, v104, v103
	;;#ASMEND
	;;#ASMSTART
	v_dot2_f32_f16 v103, v125, v105, v103
	;;#ASMEND
	;; [unrolled: 3-line block ×16, first 2 shown]
	s_waitcnt lgkmcnt(0)
	;;#ASMSTART
	v_dot2_f32_f16 v90, v128, v104, v90
	;;#ASMEND
	;;#ASMSTART
	v_dot2_f32_f16 v90, v129, v105, v90
	;;#ASMEND
	;; [unrolled: 3-line block ×16, first 2 shown]
	ds_load_b128 v[10:13], v40 offset:32880
	ds_load_b128 v[104:107], v9 offset:112
	;; [unrolled: 1-line block ×8, first 2 shown]
	s_waitcnt lgkmcnt(6)
	;;#ASMSTART
	v_dot2_f32_f16 v81, v10, v104, v81
	;;#ASMEND
	;;#ASMSTART
	v_dot2_f32_f16 v81, v11, v105, v81
	;;#ASMEND
	;;#ASMSTART
	v_dot2_f32_f16 v81, v12, v106, v81
	;;#ASMEND
	;;#ASMSTART
	v_dot2_f32_f16 v81, v13, v107, v81
	;;#ASMEND
	s_waitcnt lgkmcnt(5)
	;;#ASMSTART
	v_dot2_f32_f16 v83, v10, v108, v83
	;;#ASMEND
	;;#ASMSTART
	v_dot2_f32_f16 v83, v11, v109, v83
	;;#ASMEND
	;;#ASMSTART
	v_dot2_f32_f16 v83, v12, v110, v83
	;;#ASMEND
	;;#ASMSTART
	v_dot2_f32_f16 v83, v13, v111, v83
	;;#ASMEND
	;; [unrolled: 13-line block ×5, first 2 shown]
	;;#ASMSTART
	v_dot2_f32_f16 v97, v120, v108, v97
	;;#ASMEND
	;;#ASMSTART
	v_dot2_f32_f16 v97, v121, v109, v97
	;;#ASMEND
	;; [unrolled: 3-line block ×12, first 2 shown]
	s_waitcnt lgkmcnt(1)
	;;#ASMSTART
	v_dot2_f32_f16 v103, v124, v104, v103
	;;#ASMEND
	;;#ASMSTART
	v_dot2_f32_f16 v103, v125, v105, v103
	;;#ASMEND
	;; [unrolled: 3-line block ×16, first 2 shown]
	s_waitcnt lgkmcnt(0)
	;;#ASMSTART
	v_dot2_f32_f16 v90, v128, v104, v90
	;;#ASMEND
	;;#ASMSTART
	v_dot2_f32_f16 v90, v129, v105, v90
	;;#ASMEND
	;; [unrolled: 3-line block ×16, first 2 shown]
	s_barrier
	buffer_gl0_inv
	s_clause 0x3
	global_load_b128 v[9:12], v[0:1], off offset:256
	global_load_b128 v[0:3], v[2:3], off offset:256
	global_load_b128 v[105:108], v[4:5], off offset:256
	global_load_b128 v[4:7], v[6:7], off offset:256
	v_add3_u32 v104, 0x100, s8, v41
	s_lshr_b32 s8, s21, 1
	s_waitcnt vmcnt(3)
	ds_store_b128 v35, v[9:12]
	s_waitcnt vmcnt(2)
	ds_store_b128 v36, v[0:3]
	;; [unrolled: 2-line block ×4, first 2 shown]
	s_waitcnt lgkmcnt(0)
	s_barrier
	buffer_gl0_inv
	ds_load_b128 v[0:3], v40 offset:32768
	ds_load_b128 v[4:7], v8 offset:256
	;; [unrolled: 1-line block ×8, first 2 shown]
	s_waitcnt lgkmcnt(6)
	;;#ASMSTART
	v_dot2_f32_f16 v81, v0, v4, v81
	;;#ASMEND
	;;#ASMSTART
	v_dot2_f32_f16 v81, v1, v5, v81
	;;#ASMEND
	;;#ASMSTART
	v_dot2_f32_f16 v81, v2, v6, v81
	;;#ASMEND
	;;#ASMSTART
	v_dot2_f32_f16 v81, v3, v7, v81
	;;#ASMEND
	s_waitcnt lgkmcnt(5)
	;;#ASMSTART
	v_dot2_f32_f16 v83, v0, v8, v83
	;;#ASMEND
	;;#ASMSTART
	v_dot2_f32_f16 v83, v1, v9, v83
	;;#ASMEND
	;;#ASMSTART
	v_dot2_f32_f16 v83, v2, v10, v83
	;;#ASMEND
	;;#ASMSTART
	v_dot2_f32_f16 v83, v3, v11, v83
	;;#ASMEND
	;; [unrolled: 13-line block ×5, first 2 shown]
	;;#ASMSTART
	v_dot2_f32_f16 v97, v109, v8, v97
	;;#ASMEND
	;;#ASMSTART
	v_dot2_f32_f16 v97, v110, v9, v97
	;;#ASMEND
	;; [unrolled: 3-line block ×12, first 2 shown]
	s_waitcnt lgkmcnt(1)
	;;#ASMSTART
	v_dot2_f32_f16 v103, v113, v4, v103
	;;#ASMEND
	;;#ASMSTART
	v_dot2_f32_f16 v103, v114, v5, v103
	;;#ASMEND
	;; [unrolled: 3-line block ×16, first 2 shown]
	s_waitcnt lgkmcnt(0)
	;;#ASMSTART
	v_dot2_f32_f16 v90, v117, v4, v90
	;;#ASMEND
	;;#ASMSTART
	v_dot2_f32_f16 v90, v118, v5, v90
	;;#ASMEND
	;; [unrolled: 3-line block ×16, first 2 shown]
	ds_load_b128 v[0:3], v40 offset:32784
	ds_load_b128 v[4:7], v104 offset:16
	ds_load_b128 v[8:11], v104 offset:1040
	ds_load_b128 v[12:15], v104 offset:2064
	ds_load_b128 v[105:108], v104 offset:3088
	ds_load_b128 v[109:112], v40 offset:37392
	ds_load_b128 v[113:116], v40 offset:42000
	ds_load_b128 v[117:120], v40 offset:46608
	s_waitcnt lgkmcnt(6)
	;;#ASMSTART
	v_dot2_f32_f16 v81, v0, v4, v81
	;;#ASMEND
	;;#ASMSTART
	v_dot2_f32_f16 v81, v1, v5, v81
	;;#ASMEND
	;;#ASMSTART
	v_dot2_f32_f16 v81, v2, v6, v81
	;;#ASMEND
	;;#ASMSTART
	v_dot2_f32_f16 v81, v3, v7, v81
	;;#ASMEND
	s_waitcnt lgkmcnt(5)
	;;#ASMSTART
	v_dot2_f32_f16 v83, v0, v8, v83
	;;#ASMEND
	;;#ASMSTART
	v_dot2_f32_f16 v83, v1, v9, v83
	;;#ASMEND
	;;#ASMSTART
	v_dot2_f32_f16 v83, v2, v10, v83
	;;#ASMEND
	;;#ASMSTART
	v_dot2_f32_f16 v83, v3, v11, v83
	;;#ASMEND
	;; [unrolled: 13-line block ×5, first 2 shown]
	;;#ASMSTART
	v_dot2_f32_f16 v97, v109, v8, v97
	;;#ASMEND
	;;#ASMSTART
	v_dot2_f32_f16 v97, v110, v9, v97
	;;#ASMEND
	;;#ASMSTART
	v_dot2_f32_f16 v97, v111, v10, v97
	;;#ASMEND
	;;#ASMSTART
	v_dot2_f32_f16 v97, v112, v11, v97
	;;#ASMEND
	;;#ASMSTART
	v_dot2_f32_f16 v96, v109, v12, v96
	;;#ASMEND
	;;#ASMSTART
	v_dot2_f32_f16 v96, v110, v13, v96
	;;#ASMEND
	;;#ASMSTART
	v_dot2_f32_f16 v96, v111, v14, v96
	;;#ASMEND
	;;#ASMSTART
	v_dot2_f32_f16 v96, v112, v15, v96
	;;#ASMEND
	;;#ASMSTART
	v_dot2_f32_f16 v89, v109, v105, v89
	;;#ASMEND
	;;#ASMSTART
	v_dot2_f32_f16 v89, v110, v106, v89
	;;#ASMEND
	;;#ASMSTART
	v_dot2_f32_f16 v89, v111, v107, v89
	;;#ASMEND
	;;#ASMSTART
	v_dot2_f32_f16 v89, v112, v108, v89
	;;#ASMEND
	s_waitcnt lgkmcnt(1)
	;;#ASMSTART
	v_dot2_f32_f16 v103, v113, v4, v103
	;;#ASMEND
	;;#ASMSTART
	v_dot2_f32_f16 v103, v114, v5, v103
	;;#ASMEND
	;; [unrolled: 3-line block ×16, first 2 shown]
	s_waitcnt lgkmcnt(0)
	;;#ASMSTART
	v_dot2_f32_f16 v90, v117, v4, v90
	;;#ASMEND
	;;#ASMSTART
	v_dot2_f32_f16 v90, v118, v5, v90
	;;#ASMEND
	;; [unrolled: 3-line block ×16, first 2 shown]
	ds_load_b128 v[0:3], v40 offset:32800
	ds_load_b128 v[4:7], v104 offset:32
	;; [unrolled: 1-line block ×8, first 2 shown]
	s_waitcnt lgkmcnt(6)
	;;#ASMSTART
	v_dot2_f32_f16 v81, v0, v4, v81
	;;#ASMEND
	;;#ASMSTART
	v_dot2_f32_f16 v81, v1, v5, v81
	;;#ASMEND
	;;#ASMSTART
	v_dot2_f32_f16 v81, v2, v6, v81
	;;#ASMEND
	;;#ASMSTART
	v_dot2_f32_f16 v81, v3, v7, v81
	;;#ASMEND
	s_waitcnt lgkmcnt(5)
	;;#ASMSTART
	v_dot2_f32_f16 v83, v0, v8, v83
	;;#ASMEND
	;;#ASMSTART
	v_dot2_f32_f16 v83, v1, v9, v83
	;;#ASMEND
	;;#ASMSTART
	v_dot2_f32_f16 v83, v2, v10, v83
	;;#ASMEND
	;;#ASMSTART
	v_dot2_f32_f16 v83, v3, v11, v83
	;;#ASMEND
	s_waitcnt lgkmcnt(4)
	;;#ASMSTART
	v_dot2_f32_f16 v65, v0, v12, v65
	;;#ASMEND
	;;#ASMSTART
	v_dot2_f32_f16 v65, v1, v13, v65
	;;#ASMEND
	;;#ASMSTART
	v_dot2_f32_f16 v65, v2, v14, v65
	;;#ASMEND
	;;#ASMSTART
	v_dot2_f32_f16 v65, v3, v15, v65
	;;#ASMEND
	s_waitcnt lgkmcnt(3)
	;;#ASMSTART
	v_dot2_f32_f16 v82, v0, v105, v82
	;;#ASMEND
	;;#ASMSTART
	v_dot2_f32_f16 v82, v1, v106, v82
	;;#ASMEND
	;;#ASMSTART
	v_dot2_f32_f16 v82, v2, v107, v82
	;;#ASMEND
	;;#ASMSTART
	v_dot2_f32_f16 v82, v3, v108, v82
	;;#ASMEND
	s_waitcnt lgkmcnt(2)
	;;#ASMSTART
	v_dot2_f32_f16 v99, v109, v4, v99
	;;#ASMEND
	;;#ASMSTART
	v_dot2_f32_f16 v99, v110, v5, v99
	;;#ASMEND
	;;#ASMSTART
	v_dot2_f32_f16 v99, v111, v6, v99
	;;#ASMEND
	;;#ASMSTART
	v_dot2_f32_f16 v99, v112, v7, v99
	;;#ASMEND
	;;#ASMSTART
	v_dot2_f32_f16 v97, v109, v8, v97
	;;#ASMEND
	;;#ASMSTART
	v_dot2_f32_f16 v97, v110, v9, v97
	;;#ASMEND
	;; [unrolled: 3-line block ×12, first 2 shown]
	s_waitcnt lgkmcnt(1)
	;;#ASMSTART
	v_dot2_f32_f16 v103, v113, v4, v103
	;;#ASMEND
	;;#ASMSTART
	v_dot2_f32_f16 v103, v114, v5, v103
	;;#ASMEND
	;; [unrolled: 3-line block ×16, first 2 shown]
	s_waitcnt lgkmcnt(0)
	;;#ASMSTART
	v_dot2_f32_f16 v90, v117, v4, v90
	;;#ASMEND
	;;#ASMSTART
	v_dot2_f32_f16 v90, v118, v5, v90
	;;#ASMEND
	;; [unrolled: 3-line block ×16, first 2 shown]
	ds_load_b128 v[0:3], v40 offset:32816
	ds_load_b128 v[4:7], v104 offset:48
	;; [unrolled: 1-line block ×8, first 2 shown]
	s_waitcnt lgkmcnt(6)
	;;#ASMSTART
	v_dot2_f32_f16 v81, v0, v4, v81
	;;#ASMEND
	;;#ASMSTART
	v_dot2_f32_f16 v81, v1, v5, v81
	;;#ASMEND
	;;#ASMSTART
	v_dot2_f32_f16 v81, v2, v6, v81
	;;#ASMEND
	;;#ASMSTART
	v_dot2_f32_f16 v81, v3, v7, v81
	;;#ASMEND
	s_waitcnt lgkmcnt(5)
	;;#ASMSTART
	v_dot2_f32_f16 v83, v0, v8, v83
	;;#ASMEND
	;;#ASMSTART
	v_dot2_f32_f16 v83, v1, v9, v83
	;;#ASMEND
	;;#ASMSTART
	v_dot2_f32_f16 v83, v2, v10, v83
	;;#ASMEND
	;;#ASMSTART
	v_dot2_f32_f16 v83, v3, v11, v83
	;;#ASMEND
	;; [unrolled: 13-line block ×5, first 2 shown]
	;;#ASMSTART
	v_dot2_f32_f16 v97, v109, v8, v97
	;;#ASMEND
	;;#ASMSTART
	v_dot2_f32_f16 v97, v110, v9, v97
	;;#ASMEND
	;; [unrolled: 3-line block ×12, first 2 shown]
	s_waitcnt lgkmcnt(1)
	;;#ASMSTART
	v_dot2_f32_f16 v103, v113, v4, v103
	;;#ASMEND
	;;#ASMSTART
	v_dot2_f32_f16 v103, v114, v5, v103
	;;#ASMEND
	;; [unrolled: 3-line block ×16, first 2 shown]
	s_waitcnt lgkmcnt(0)
	;;#ASMSTART
	v_dot2_f32_f16 v90, v117, v4, v90
	;;#ASMEND
	;;#ASMSTART
	v_dot2_f32_f16 v90, v118, v5, v90
	;;#ASMEND
	;; [unrolled: 3-line block ×16, first 2 shown]
	ds_load_b128 v[0:3], v40 offset:32832
	ds_load_b128 v[4:7], v104 offset:64
	;; [unrolled: 1-line block ×8, first 2 shown]
	s_waitcnt lgkmcnt(6)
	;;#ASMSTART
	v_dot2_f32_f16 v81, v0, v4, v81
	;;#ASMEND
	;;#ASMSTART
	v_dot2_f32_f16 v81, v1, v5, v81
	;;#ASMEND
	;;#ASMSTART
	v_dot2_f32_f16 v81, v2, v6, v81
	;;#ASMEND
	;;#ASMSTART
	v_dot2_f32_f16 v81, v3, v7, v81
	;;#ASMEND
	s_waitcnt lgkmcnt(5)
	;;#ASMSTART
	v_dot2_f32_f16 v83, v0, v8, v83
	;;#ASMEND
	;;#ASMSTART
	v_dot2_f32_f16 v83, v1, v9, v83
	;;#ASMEND
	;;#ASMSTART
	v_dot2_f32_f16 v83, v2, v10, v83
	;;#ASMEND
	;;#ASMSTART
	v_dot2_f32_f16 v83, v3, v11, v83
	;;#ASMEND
	;; [unrolled: 13-line block ×5, first 2 shown]
	;;#ASMSTART
	v_dot2_f32_f16 v97, v109, v8, v97
	;;#ASMEND
	;;#ASMSTART
	v_dot2_f32_f16 v97, v110, v9, v97
	;;#ASMEND
	;; [unrolled: 3-line block ×12, first 2 shown]
	s_waitcnt lgkmcnt(1)
	;;#ASMSTART
	v_dot2_f32_f16 v103, v113, v4, v103
	;;#ASMEND
	;;#ASMSTART
	v_dot2_f32_f16 v103, v114, v5, v103
	;;#ASMEND
	;; [unrolled: 3-line block ×16, first 2 shown]
	s_waitcnt lgkmcnt(0)
	;;#ASMSTART
	v_dot2_f32_f16 v90, v117, v4, v90
	;;#ASMEND
	;;#ASMSTART
	v_dot2_f32_f16 v90, v118, v5, v90
	;;#ASMEND
	;; [unrolled: 3-line block ×16, first 2 shown]
	ds_load_b128 v[12:15], v40 offset:32848
	ds_load_b128 v[0:3], v104 offset:80
	;; [unrolled: 1-line block ×8, first 2 shown]
	s_waitcnt lgkmcnt(6)
	;;#ASMSTART
	v_dot2_f32_f16 v81, v12, v0, v81
	;;#ASMEND
	;;#ASMSTART
	v_dot2_f32_f16 v81, v13, v1, v81
	;;#ASMEND
	;;#ASMSTART
	v_dot2_f32_f16 v81, v14, v2, v81
	;;#ASMEND
	;;#ASMSTART
	v_dot2_f32_f16 v81, v15, v3, v81
	;;#ASMEND
	s_waitcnt lgkmcnt(5)
	;;#ASMSTART
	v_dot2_f32_f16 v83, v12, v4, v83
	;;#ASMEND
	;;#ASMSTART
	v_dot2_f32_f16 v83, v13, v5, v83
	;;#ASMEND
	;;#ASMSTART
	v_dot2_f32_f16 v83, v14, v6, v83
	;;#ASMEND
	;;#ASMSTART
	v_dot2_f32_f16 v83, v15, v7, v83
	;;#ASMEND
	;; [unrolled: 13-line block ×5, first 2 shown]
	;;#ASMSTART
	v_dot2_f32_f16 v97, v109, v4, v97
	;;#ASMEND
	;;#ASMSTART
	v_dot2_f32_f16 v97, v110, v5, v97
	;;#ASMEND
	;; [unrolled: 3-line block ×12, first 2 shown]
	s_waitcnt lgkmcnt(1)
	;;#ASMSTART
	v_dot2_f32_f16 v103, v113, v0, v103
	;;#ASMEND
	;;#ASMSTART
	v_dot2_f32_f16 v103, v114, v1, v103
	;;#ASMEND
	;; [unrolled: 3-line block ×16, first 2 shown]
	s_waitcnt lgkmcnt(0)
	;;#ASMSTART
	v_dot2_f32_f16 v90, v117, v0, v90
	;;#ASMEND
	;;#ASMSTART
	v_dot2_f32_f16 v90, v118, v1, v90
	;;#ASMEND
	;; [unrolled: 3-line block ×16, first 2 shown]
	ds_load_b128 v[0:3], v40 offset:32864
	ds_load_b128 v[4:7], v104 offset:96
	;; [unrolled: 1-line block ×8, first 2 shown]
	s_waitcnt lgkmcnt(6)
	;;#ASMSTART
	v_dot2_f32_f16 v81, v0, v4, v81
	;;#ASMEND
	;;#ASMSTART
	v_dot2_f32_f16 v81, v1, v5, v81
	;;#ASMEND
	;;#ASMSTART
	v_dot2_f32_f16 v81, v2, v6, v81
	;;#ASMEND
	;;#ASMSTART
	v_dot2_f32_f16 v81, v3, v7, v81
	;;#ASMEND
	s_waitcnt lgkmcnt(5)
	;;#ASMSTART
	v_dot2_f32_f16 v83, v0, v8, v83
	;;#ASMEND
	;;#ASMSTART
	v_dot2_f32_f16 v83, v1, v9, v83
	;;#ASMEND
	;;#ASMSTART
	v_dot2_f32_f16 v83, v2, v10, v83
	;;#ASMEND
	;;#ASMSTART
	v_dot2_f32_f16 v83, v3, v11, v83
	;;#ASMEND
	;; [unrolled: 13-line block ×5, first 2 shown]
	;;#ASMSTART
	v_dot2_f32_f16 v97, v109, v8, v97
	;;#ASMEND
	;;#ASMSTART
	v_dot2_f32_f16 v97, v110, v9, v97
	;;#ASMEND
	;; [unrolled: 3-line block ×12, first 2 shown]
	s_waitcnt lgkmcnt(1)
	;;#ASMSTART
	v_dot2_f32_f16 v103, v113, v4, v103
	;;#ASMEND
	;;#ASMSTART
	v_dot2_f32_f16 v103, v114, v5, v103
	;;#ASMEND
	;; [unrolled: 3-line block ×16, first 2 shown]
	s_waitcnt lgkmcnt(0)
	;;#ASMSTART
	v_dot2_f32_f16 v90, v117, v4, v90
	;;#ASMEND
	;;#ASMSTART
	v_dot2_f32_f16 v90, v118, v5, v90
	;;#ASMEND
	;; [unrolled: 3-line block ×16, first 2 shown]
	ds_load_b128 v[0:3], v40 offset:32880
	ds_load_b128 v[4:7], v104 offset:112
	;; [unrolled: 1-line block ×8, first 2 shown]
	s_waitcnt lgkmcnt(6)
	;;#ASMSTART
	v_dot2_f32_f16 v81, v0, v4, v81
	;;#ASMEND
	;;#ASMSTART
	v_dot2_f32_f16 v81, v1, v5, v81
	;;#ASMEND
	;;#ASMSTART
	v_dot2_f32_f16 v81, v2, v6, v81
	;;#ASMEND
	;;#ASMSTART
	v_dot2_f32_f16 v81, v3, v7, v81
	;;#ASMEND
	s_waitcnt lgkmcnt(5)
	;;#ASMSTART
	v_dot2_f32_f16 v83, v0, v8, v83
	;;#ASMEND
	;;#ASMSTART
	v_dot2_f32_f16 v83, v1, v9, v83
	;;#ASMEND
	;;#ASMSTART
	v_dot2_f32_f16 v83, v2, v10, v83
	;;#ASMEND
	;;#ASMSTART
	v_dot2_f32_f16 v83, v3, v11, v83
	;;#ASMEND
	;; [unrolled: 13-line block ×5, first 2 shown]
	;;#ASMSTART
	v_dot2_f32_f16 v97, v108, v8, v97
	;;#ASMEND
	;;#ASMSTART
	v_dot2_f32_f16 v97, v109, v9, v97
	;;#ASMEND
	;; [unrolled: 3-line block ×5, first 2 shown]
	s_lshl_b64 s[22:23], s[8:9], 2
	;;#ASMSTART
	v_dot2_f32_f16 v96, v109, v13, v96
	;;#ASMEND
	;;#ASMSTART
	v_dot2_f32_f16 v96, v110, v14, v96
	;;#ASMEND
	s_add_u32 s8, s18, s22
	;;#ASMSTART
	v_dot2_f32_f16 v96, v111, v15, v96
	;;#ASMEND
	;;#ASMSTART
	v_dot2_f32_f16 v89, v108, v104, v89
	;;#ASMEND
	;; [unrolled: 3-line block ×3, first 2 shown]
	s_addc_u32 s22, s19, s23
	v_add_co_u32 v121, vcc_lo, s8, v19
	;;#ASMSTART
	v_dot2_f32_f16 v89, v110, v106, v89
	;;#ASMEND
	;;#ASMSTART
	v_dot2_f32_f16 v89, v111, v107, v89
	;;#ASMEND
	s_waitcnt lgkmcnt(1)
	;;#ASMSTART
	v_dot2_f32_f16 v103, v112, v4, v103
	;;#ASMEND
	v_add_co_ci_u32_e32 v122, vcc_lo, s22, v20, vcc_lo
	;;#ASMSTART
	v_dot2_f32_f16 v103, v113, v5, v103
	;;#ASMEND
	v_add_co_u32 v123, vcc_lo, s8, v21
	;;#ASMSTART
	v_dot2_f32_f16 v103, v114, v6, v103
	;;#ASMEND
	;;#ASMSTART
	v_dot2_f32_f16 v103, v115, v7, v103
	;;#ASMEND
	;;#ASMSTART
	v_dot2_f32_f16 v102, v112, v8, v102
	;;#ASMEND
	v_add_co_ci_u32_e32 v124, vcc_lo, s22, v22, vcc_lo
	;;#ASMSTART
	v_dot2_f32_f16 v102, v113, v9, v102
	;;#ASMEND
	v_add_co_u32 v125, vcc_lo, s8, v23
	;;#ASMSTART
	v_dot2_f32_f16 v102, v114, v10, v102
	;;#ASMEND
	;;#ASMSTART
	v_dot2_f32_f16 v102, v115, v11, v102
	;;#ASMEND
	;; [unrolled: 14-line block ×4, first 2 shown]
	s_waitcnt lgkmcnt(0)
	;;#ASMSTART
	v_dot2_f32_f16 v90, v116, v4, v90
	;;#ASMEND
	v_add_co_ci_u32_e32 v121, vcc_lo, 0, v122, vcc_lo
	;;#ASMSTART
	v_dot2_f32_f16 v90, v117, v5, v90
	;;#ASMEND
	v_add_co_u32 v122, vcc_lo, v123, v47
	;;#ASMSTART
	v_dot2_f32_f16 v90, v118, v6, v90
	;;#ASMEND
	;;#ASMSTART
	v_dot2_f32_f16 v90, v119, v7, v90
	;;#ASMEND
	;;#ASMSTART
	v_dot2_f32_f16 v98, v116, v8, v98
	;;#ASMEND
	v_add_co_ci_u32_e32 v123, vcc_lo, 0, v124, vcc_lo
	;;#ASMSTART
	v_dot2_f32_f16 v98, v117, v9, v98
	;;#ASMEND
	v_add_co_u32 v124, vcc_lo, v125, v47
	;;#ASMSTART
	v_dot2_f32_f16 v98, v118, v10, v98
	;;#ASMEND
	;;#ASMSTART
	v_dot2_f32_f16 v98, v119, v11, v98
	;;#ASMEND
	;; [unrolled: 14-line block ×3, first 2 shown]
	;;#ASMSTART
	v_dot2_f32_f16 v95, v116, v104, v95
	;;#ASMEND
	v_add_co_ci_u32_e32 v127, vcc_lo, 0, v128, vcc_lo
	;;#ASMSTART
	v_dot2_f32_f16 v95, v117, v105, v95
	;;#ASMEND
	;;#ASMSTART
	v_dot2_f32_f16 v95, v118, v106, v95
	;;#ASMEND
	;;#ASMSTART
	v_dot2_f32_f16 v95, v119, v107, v95
	;;#ASMEND
	s_barrier
	buffer_gl0_inv
	s_clause 0x3
	global_load_b128 v[1:4], v[120:121], off
	global_load_b128 v[5:8], v[122:123], off
	;; [unrolled: 1-line block ×4, first 2 shown]
	v_lshl_add_u32 v0, s21, 1, v41
	s_waitcnt vmcnt(3)
	ds_store_b128 v35, v[1:4]
	s_waitcnt vmcnt(2)
	ds_store_b128 v36, v[5:8]
	;; [unrolled: 2-line block ×4, first 2 shown]
	s_waitcnt lgkmcnt(0)
	s_barrier
	buffer_gl0_inv
	ds_load_b128 v[1:4], v40 offset:32768
	ds_load_b128 v[5:8], v0
	ds_load_b128 v[9:12], v0 offset:1024
	ds_load_b128 v[104:107], v0 offset:2048
	;; [unrolled: 1-line block ×6, first 2 shown]
	s_waitcnt lgkmcnt(6)
	;;#ASMSTART
	v_dot2_f32_f16 v81, v1, v5, v81
	;;#ASMEND
	;;#ASMSTART
	v_dot2_f32_f16 v81, v2, v6, v81
	;;#ASMEND
	;;#ASMSTART
	v_dot2_f32_f16 v81, v3, v7, v81
	;;#ASMEND
	;;#ASMSTART
	v_dot2_f32_f16 v81, v4, v8, v81
	;;#ASMEND
	s_waitcnt lgkmcnt(5)
	;;#ASMSTART
	v_dot2_f32_f16 v83, v1, v9, v83
	;;#ASMEND
	;;#ASMSTART
	v_dot2_f32_f16 v83, v2, v10, v83
	;;#ASMEND
	;;#ASMSTART
	v_dot2_f32_f16 v83, v3, v11, v83
	;;#ASMEND
	;;#ASMSTART
	v_dot2_f32_f16 v83, v4, v12, v83
	;;#ASMEND
	s_waitcnt lgkmcnt(4)
	;;#ASMSTART
	v_dot2_f32_f16 v65, v1, v104, v65
	;;#ASMEND
	;;#ASMSTART
	v_dot2_f32_f16 v65, v2, v105, v65
	;;#ASMEND
	;;#ASMSTART
	v_dot2_f32_f16 v65, v3, v106, v65
	;;#ASMEND
	;;#ASMSTART
	v_dot2_f32_f16 v65, v4, v107, v65
	;;#ASMEND
	s_waitcnt lgkmcnt(3)
	;;#ASMSTART
	v_dot2_f32_f16 v82, v1, v108, v82
	;;#ASMEND
	;;#ASMSTART
	v_dot2_f32_f16 v82, v2, v109, v82
	;;#ASMEND
	;;#ASMSTART
	v_dot2_f32_f16 v82, v3, v110, v82
	;;#ASMEND
	;;#ASMSTART
	v_dot2_f32_f16 v82, v4, v111, v82
	;;#ASMEND
	s_waitcnt lgkmcnt(2)
	;;#ASMSTART
	v_dot2_f32_f16 v99, v112, v5, v99
	;;#ASMEND
	;;#ASMSTART
	v_dot2_f32_f16 v99, v113, v6, v99
	;;#ASMEND
	;;#ASMSTART
	v_dot2_f32_f16 v99, v114, v7, v99
	;;#ASMEND
	;;#ASMSTART
	v_dot2_f32_f16 v99, v115, v8, v99
	;;#ASMEND
	;;#ASMSTART
	v_dot2_f32_f16 v97, v112, v9, v97
	;;#ASMEND
	;;#ASMSTART
	v_dot2_f32_f16 v97, v113, v10, v97
	;;#ASMEND
	;;#ASMSTART
	v_dot2_f32_f16 v97, v114, v11, v97
	;;#ASMEND
	;;#ASMSTART
	v_dot2_f32_f16 v97, v115, v12, v97
	;;#ASMEND
	;;#ASMSTART
	v_dot2_f32_f16 v96, v112, v104, v96
	;;#ASMEND
	;;#ASMSTART
	v_dot2_f32_f16 v96, v113, v105, v96
	;;#ASMEND
	;;#ASMSTART
	v_dot2_f32_f16 v96, v114, v106, v96
	;;#ASMEND
	;;#ASMSTART
	v_dot2_f32_f16 v96, v115, v107, v96
	;;#ASMEND
	;;#ASMSTART
	v_dot2_f32_f16 v89, v112, v108, v89
	;;#ASMEND
	;;#ASMSTART
	v_dot2_f32_f16 v89, v113, v109, v89
	;;#ASMEND
	;;#ASMSTART
	v_dot2_f32_f16 v89, v114, v110, v89
	;;#ASMEND
	;;#ASMSTART
	v_dot2_f32_f16 v89, v115, v111, v89
	;;#ASMEND
	s_waitcnt lgkmcnt(1)
	;;#ASMSTART
	v_dot2_f32_f16 v103, v116, v5, v103
	;;#ASMEND
	;;#ASMSTART
	v_dot2_f32_f16 v103, v117, v6, v103
	;;#ASMEND
	;; [unrolled: 3-line block ×16, first 2 shown]
	s_waitcnt lgkmcnt(0)
	;;#ASMSTART
	v_dot2_f32_f16 v90, v120, v5, v90
	;;#ASMEND
	;;#ASMSTART
	v_dot2_f32_f16 v90, v121, v6, v90
	;;#ASMEND
	;; [unrolled: 3-line block ×16, first 2 shown]
	ds_load_b128 v[1:4], v40 offset:32784
	ds_load_b128 v[5:8], v0 offset:16
	ds_load_b128 v[9:12], v0 offset:1040
	ds_load_b128 v[104:107], v0 offset:2064
	ds_load_b128 v[108:111], v0 offset:3088
	ds_load_b128 v[112:115], v40 offset:37392
	ds_load_b128 v[116:119], v40 offset:42000
	ds_load_b128 v[120:123], v40 offset:46608
	s_waitcnt lgkmcnt(6)
	;;#ASMSTART
	v_dot2_f32_f16 v81, v1, v5, v81
	;;#ASMEND
	;;#ASMSTART
	v_dot2_f32_f16 v81, v2, v6, v81
	;;#ASMEND
	;;#ASMSTART
	v_dot2_f32_f16 v81, v3, v7, v81
	;;#ASMEND
	;;#ASMSTART
	v_dot2_f32_f16 v81, v4, v8, v81
	;;#ASMEND
	s_waitcnt lgkmcnt(5)
	;;#ASMSTART
	v_dot2_f32_f16 v83, v1, v9, v83
	;;#ASMEND
	;;#ASMSTART
	v_dot2_f32_f16 v83, v2, v10, v83
	;;#ASMEND
	;;#ASMSTART
	v_dot2_f32_f16 v83, v3, v11, v83
	;;#ASMEND
	;;#ASMSTART
	v_dot2_f32_f16 v83, v4, v12, v83
	;;#ASMEND
	;; [unrolled: 13-line block ×5, first 2 shown]
	;;#ASMSTART
	v_dot2_f32_f16 v97, v112, v9, v97
	;;#ASMEND
	;;#ASMSTART
	v_dot2_f32_f16 v97, v113, v10, v97
	;;#ASMEND
	;; [unrolled: 3-line block ×12, first 2 shown]
	s_waitcnt lgkmcnt(1)
	;;#ASMSTART
	v_dot2_f32_f16 v103, v116, v5, v103
	;;#ASMEND
	;;#ASMSTART
	v_dot2_f32_f16 v103, v117, v6, v103
	;;#ASMEND
	;; [unrolled: 3-line block ×16, first 2 shown]
	s_waitcnt lgkmcnt(0)
	;;#ASMSTART
	v_dot2_f32_f16 v90, v120, v5, v90
	;;#ASMEND
	;;#ASMSTART
	v_dot2_f32_f16 v90, v121, v6, v90
	;;#ASMEND
	;; [unrolled: 3-line block ×16, first 2 shown]
	ds_load_b128 v[1:4], v40 offset:32800
	ds_load_b128 v[5:8], v0 offset:32
	;; [unrolled: 1-line block ×8, first 2 shown]
	s_waitcnt lgkmcnt(6)
	;;#ASMSTART
	v_dot2_f32_f16 v81, v1, v5, v81
	;;#ASMEND
	;;#ASMSTART
	v_dot2_f32_f16 v81, v2, v6, v81
	;;#ASMEND
	;;#ASMSTART
	v_dot2_f32_f16 v81, v3, v7, v81
	;;#ASMEND
	;;#ASMSTART
	v_dot2_f32_f16 v81, v4, v8, v81
	;;#ASMEND
	s_waitcnt lgkmcnt(5)
	;;#ASMSTART
	v_dot2_f32_f16 v83, v1, v9, v83
	;;#ASMEND
	;;#ASMSTART
	v_dot2_f32_f16 v83, v2, v10, v83
	;;#ASMEND
	;;#ASMSTART
	v_dot2_f32_f16 v83, v3, v11, v83
	;;#ASMEND
	;;#ASMSTART
	v_dot2_f32_f16 v83, v4, v12, v83
	;;#ASMEND
	;; [unrolled: 13-line block ×5, first 2 shown]
	;;#ASMSTART
	v_dot2_f32_f16 v97, v112, v9, v97
	;;#ASMEND
	;;#ASMSTART
	v_dot2_f32_f16 v97, v113, v10, v97
	;;#ASMEND
	;;#ASMSTART
	v_dot2_f32_f16 v97, v114, v11, v97
	;;#ASMEND
	;;#ASMSTART
	v_dot2_f32_f16 v97, v115, v12, v97
	;;#ASMEND
	;;#ASMSTART
	v_dot2_f32_f16 v96, v112, v104, v96
	;;#ASMEND
	;;#ASMSTART
	v_dot2_f32_f16 v96, v113, v105, v96
	;;#ASMEND
	;;#ASMSTART
	v_dot2_f32_f16 v96, v114, v106, v96
	;;#ASMEND
	;;#ASMSTART
	v_dot2_f32_f16 v96, v115, v107, v96
	;;#ASMEND
	;;#ASMSTART
	v_dot2_f32_f16 v89, v112, v108, v89
	;;#ASMEND
	;;#ASMSTART
	v_dot2_f32_f16 v89, v113, v109, v89
	;;#ASMEND
	;;#ASMSTART
	v_dot2_f32_f16 v89, v114, v110, v89
	;;#ASMEND
	;;#ASMSTART
	v_dot2_f32_f16 v89, v115, v111, v89
	;;#ASMEND
	s_waitcnt lgkmcnt(1)
	;;#ASMSTART
	v_dot2_f32_f16 v103, v116, v5, v103
	;;#ASMEND
	;;#ASMSTART
	v_dot2_f32_f16 v103, v117, v6, v103
	;;#ASMEND
	;; [unrolled: 3-line block ×16, first 2 shown]
	s_waitcnt lgkmcnt(0)
	;;#ASMSTART
	v_dot2_f32_f16 v90, v120, v5, v90
	;;#ASMEND
	;;#ASMSTART
	v_dot2_f32_f16 v90, v121, v6, v90
	;;#ASMEND
	;; [unrolled: 3-line block ×16, first 2 shown]
	ds_load_b128 v[1:4], v40 offset:32816
	ds_load_b128 v[5:8], v0 offset:48
	;; [unrolled: 1-line block ×8, first 2 shown]
	s_waitcnt lgkmcnt(6)
	;;#ASMSTART
	v_dot2_f32_f16 v81, v1, v5, v81
	;;#ASMEND
	;;#ASMSTART
	v_dot2_f32_f16 v81, v2, v6, v81
	;;#ASMEND
	;;#ASMSTART
	v_dot2_f32_f16 v81, v3, v7, v81
	;;#ASMEND
	;;#ASMSTART
	v_dot2_f32_f16 v81, v4, v8, v81
	;;#ASMEND
	s_waitcnt lgkmcnt(5)
	;;#ASMSTART
	v_dot2_f32_f16 v83, v1, v9, v83
	;;#ASMEND
	;;#ASMSTART
	v_dot2_f32_f16 v83, v2, v10, v83
	;;#ASMEND
	;;#ASMSTART
	v_dot2_f32_f16 v83, v3, v11, v83
	;;#ASMEND
	;;#ASMSTART
	v_dot2_f32_f16 v83, v4, v12, v83
	;;#ASMEND
	;; [unrolled: 13-line block ×5, first 2 shown]
	;;#ASMSTART
	v_dot2_f32_f16 v97, v112, v9, v97
	;;#ASMEND
	;;#ASMSTART
	v_dot2_f32_f16 v97, v113, v10, v97
	;;#ASMEND
	;; [unrolled: 3-line block ×12, first 2 shown]
	s_waitcnt lgkmcnt(1)
	;;#ASMSTART
	v_dot2_f32_f16 v103, v116, v5, v103
	;;#ASMEND
	;;#ASMSTART
	v_dot2_f32_f16 v103, v117, v6, v103
	;;#ASMEND
	;;#ASMSTART
	v_dot2_f32_f16 v103, v118, v7, v103
	;;#ASMEND
	;;#ASMSTART
	v_dot2_f32_f16 v103, v119, v8, v103
	;;#ASMEND
	;;#ASMSTART
	v_dot2_f32_f16 v102, v116, v9, v102
	;;#ASMEND
	;;#ASMSTART
	v_dot2_f32_f16 v102, v117, v10, v102
	;;#ASMEND
	;;#ASMSTART
	v_dot2_f32_f16 v102, v118, v11, v102
	;;#ASMEND
	;;#ASMSTART
	v_dot2_f32_f16 v102, v119, v12, v102
	;;#ASMEND
	;;#ASMSTART
	v_dot2_f32_f16 v101, v116, v104, v101
	;;#ASMEND
	;;#ASMSTART
	v_dot2_f32_f16 v101, v117, v105, v101
	;;#ASMEND
	;;#ASMSTART
	v_dot2_f32_f16 v101, v118, v106, v101
	;;#ASMEND
	;;#ASMSTART
	v_dot2_f32_f16 v101, v119, v107, v101
	;;#ASMEND
	;;#ASMSTART
	v_dot2_f32_f16 v100, v116, v108, v100
	;;#ASMEND
	;;#ASMSTART
	v_dot2_f32_f16 v100, v117, v109, v100
	;;#ASMEND
	;;#ASMSTART
	v_dot2_f32_f16 v100, v118, v110, v100
	;;#ASMEND
	;;#ASMSTART
	v_dot2_f32_f16 v100, v119, v111, v100
	;;#ASMEND
	s_waitcnt lgkmcnt(0)
	;;#ASMSTART
	v_dot2_f32_f16 v90, v120, v5, v90
	;;#ASMEND
	;;#ASMSTART
	v_dot2_f32_f16 v90, v121, v6, v90
	;;#ASMEND
	;; [unrolled: 3-line block ×16, first 2 shown]
	ds_load_b128 v[1:4], v40 offset:32832
	ds_load_b128 v[5:8], v0 offset:64
	;; [unrolled: 1-line block ×8, first 2 shown]
	s_waitcnt lgkmcnt(6)
	;;#ASMSTART
	v_dot2_f32_f16 v81, v1, v5, v81
	;;#ASMEND
	;;#ASMSTART
	v_dot2_f32_f16 v81, v2, v6, v81
	;;#ASMEND
	;;#ASMSTART
	v_dot2_f32_f16 v81, v3, v7, v81
	;;#ASMEND
	;;#ASMSTART
	v_dot2_f32_f16 v81, v4, v8, v81
	;;#ASMEND
	s_waitcnt lgkmcnt(5)
	;;#ASMSTART
	v_dot2_f32_f16 v83, v1, v9, v83
	;;#ASMEND
	;;#ASMSTART
	v_dot2_f32_f16 v83, v2, v10, v83
	;;#ASMEND
	;;#ASMSTART
	v_dot2_f32_f16 v83, v3, v11, v83
	;;#ASMEND
	;;#ASMSTART
	v_dot2_f32_f16 v83, v4, v12, v83
	;;#ASMEND
	;; [unrolled: 13-line block ×5, first 2 shown]
	;;#ASMSTART
	v_dot2_f32_f16 v97, v112, v9, v97
	;;#ASMEND
	;;#ASMSTART
	v_dot2_f32_f16 v97, v113, v10, v97
	;;#ASMEND
	;; [unrolled: 3-line block ×12, first 2 shown]
	s_waitcnt lgkmcnt(1)
	;;#ASMSTART
	v_dot2_f32_f16 v103, v116, v5, v103
	;;#ASMEND
	;;#ASMSTART
	v_dot2_f32_f16 v103, v117, v6, v103
	;;#ASMEND
	;; [unrolled: 3-line block ×16, first 2 shown]
	s_waitcnt lgkmcnt(0)
	;;#ASMSTART
	v_dot2_f32_f16 v90, v120, v5, v90
	;;#ASMEND
	;;#ASMSTART
	v_dot2_f32_f16 v90, v121, v6, v90
	;;#ASMEND
	;;#ASMSTART
	v_dot2_f32_f16 v90, v122, v7, v90
	;;#ASMEND
	;;#ASMSTART
	v_dot2_f32_f16 v90, v123, v8, v90
	;;#ASMEND
	;;#ASMSTART
	v_dot2_f32_f16 v98, v120, v9, v98
	;;#ASMEND
	;;#ASMSTART
	v_dot2_f32_f16 v98, v121, v10, v98
	;;#ASMEND
	;;#ASMSTART
	v_dot2_f32_f16 v98, v122, v11, v98
	;;#ASMEND
	;;#ASMSTART
	v_dot2_f32_f16 v98, v123, v12, v98
	;;#ASMEND
	;;#ASMSTART
	v_dot2_f32_f16 v84, v120, v104, v84
	;;#ASMEND
	;;#ASMSTART
	v_dot2_f32_f16 v84, v121, v105, v84
	;;#ASMEND
	;;#ASMSTART
	v_dot2_f32_f16 v84, v122, v106, v84
	;;#ASMEND
	;;#ASMSTART
	v_dot2_f32_f16 v84, v123, v107, v84
	;;#ASMEND
	;;#ASMSTART
	v_dot2_f32_f16 v95, v120, v108, v95
	;;#ASMEND
	;;#ASMSTART
	v_dot2_f32_f16 v95, v121, v109, v95
	;;#ASMEND
	;;#ASMSTART
	v_dot2_f32_f16 v95, v122, v110, v95
	;;#ASMEND
	;;#ASMSTART
	v_dot2_f32_f16 v95, v123, v111, v95
	;;#ASMEND
	ds_load_b128 v[1:4], v40 offset:32848
	ds_load_b128 v[5:8], v0 offset:80
	;; [unrolled: 1-line block ×8, first 2 shown]
	s_waitcnt lgkmcnt(6)
	;;#ASMSTART
	v_dot2_f32_f16 v81, v1, v5, v81
	;;#ASMEND
	;;#ASMSTART
	v_dot2_f32_f16 v81, v2, v6, v81
	;;#ASMEND
	;;#ASMSTART
	v_dot2_f32_f16 v81, v3, v7, v81
	;;#ASMEND
	;;#ASMSTART
	v_dot2_f32_f16 v81, v4, v8, v81
	;;#ASMEND
	s_waitcnt lgkmcnt(5)
	;;#ASMSTART
	v_dot2_f32_f16 v83, v1, v9, v83
	;;#ASMEND
	;;#ASMSTART
	v_dot2_f32_f16 v83, v2, v10, v83
	;;#ASMEND
	;;#ASMSTART
	v_dot2_f32_f16 v83, v3, v11, v83
	;;#ASMEND
	;;#ASMSTART
	v_dot2_f32_f16 v83, v4, v12, v83
	;;#ASMEND
	;; [unrolled: 13-line block ×5, first 2 shown]
	;;#ASMSTART
	v_dot2_f32_f16 v97, v112, v9, v97
	;;#ASMEND
	;;#ASMSTART
	v_dot2_f32_f16 v97, v113, v10, v97
	;;#ASMEND
	;;#ASMSTART
	v_dot2_f32_f16 v97, v114, v11, v97
	;;#ASMEND
	;;#ASMSTART
	v_dot2_f32_f16 v97, v115, v12, v97
	;;#ASMEND
	;;#ASMSTART
	v_dot2_f32_f16 v96, v112, v104, v96
	;;#ASMEND
	;;#ASMSTART
	v_dot2_f32_f16 v96, v113, v105, v96
	;;#ASMEND
	;;#ASMSTART
	v_dot2_f32_f16 v96, v114, v106, v96
	;;#ASMEND
	;;#ASMSTART
	v_dot2_f32_f16 v96, v115, v107, v96
	;;#ASMEND
	;;#ASMSTART
	v_dot2_f32_f16 v89, v112, v108, v89
	;;#ASMEND
	;;#ASMSTART
	v_dot2_f32_f16 v89, v113, v109, v89
	;;#ASMEND
	;;#ASMSTART
	v_dot2_f32_f16 v89, v114, v110, v89
	;;#ASMEND
	;;#ASMSTART
	v_dot2_f32_f16 v89, v115, v111, v89
	;;#ASMEND
	s_waitcnt lgkmcnt(1)
	;;#ASMSTART
	v_dot2_f32_f16 v103, v116, v5, v103
	;;#ASMEND
	;;#ASMSTART
	v_dot2_f32_f16 v103, v117, v6, v103
	;;#ASMEND
	;; [unrolled: 3-line block ×16, first 2 shown]
	s_waitcnt lgkmcnt(0)
	;;#ASMSTART
	v_dot2_f32_f16 v90, v120, v5, v90
	;;#ASMEND
	;;#ASMSTART
	v_dot2_f32_f16 v90, v121, v6, v90
	;;#ASMEND
	;; [unrolled: 3-line block ×16, first 2 shown]
	ds_load_b128 v[1:4], v40 offset:32864
	ds_load_b128 v[5:8], v0 offset:96
	ds_load_b128 v[9:12], v0 offset:1120
	ds_load_b128 v[104:107], v0 offset:2144
	ds_load_b128 v[108:111], v0 offset:3168
	ds_load_b128 v[112:115], v40 offset:37472
	ds_load_b128 v[116:119], v40 offset:42080
	ds_load_b128 v[120:123], v40 offset:46688
	s_waitcnt lgkmcnt(6)
	;;#ASMSTART
	v_dot2_f32_f16 v81, v1, v5, v81
	;;#ASMEND
	;;#ASMSTART
	v_dot2_f32_f16 v81, v2, v6, v81
	;;#ASMEND
	;;#ASMSTART
	v_dot2_f32_f16 v81, v3, v7, v81
	;;#ASMEND
	;;#ASMSTART
	v_dot2_f32_f16 v81, v4, v8, v81
	;;#ASMEND
	s_waitcnt lgkmcnt(5)
	;;#ASMSTART
	v_dot2_f32_f16 v83, v1, v9, v83
	;;#ASMEND
	;;#ASMSTART
	v_dot2_f32_f16 v83, v2, v10, v83
	;;#ASMEND
	;;#ASMSTART
	v_dot2_f32_f16 v83, v3, v11, v83
	;;#ASMEND
	;;#ASMSTART
	v_dot2_f32_f16 v83, v4, v12, v83
	;;#ASMEND
	;; [unrolled: 13-line block ×5, first 2 shown]
	;;#ASMSTART
	v_dot2_f32_f16 v97, v112, v9, v97
	;;#ASMEND
	;;#ASMSTART
	v_dot2_f32_f16 v97, v113, v10, v97
	;;#ASMEND
	;; [unrolled: 3-line block ×12, first 2 shown]
	s_waitcnt lgkmcnt(1)
	;;#ASMSTART
	v_dot2_f32_f16 v103, v116, v5, v103
	;;#ASMEND
	;;#ASMSTART
	v_dot2_f32_f16 v103, v117, v6, v103
	;;#ASMEND
	;; [unrolled: 3-line block ×16, first 2 shown]
	s_waitcnt lgkmcnt(0)
	;;#ASMSTART
	v_dot2_f32_f16 v90, v120, v5, v90
	;;#ASMEND
	;;#ASMSTART
	v_dot2_f32_f16 v90, v121, v6, v90
	;;#ASMEND
	;; [unrolled: 3-line block ×16, first 2 shown]
	ds_load_b128 v[1:4], v40 offset:32880
	ds_load_b128 v[5:8], v0 offset:112
	;; [unrolled: 1-line block ×8, first 2 shown]
	s_waitcnt lgkmcnt(6)
	;;#ASMSTART
	v_dot2_f32_f16 v81, v1, v5, v81
	;;#ASMEND
	;;#ASMSTART
	v_dot2_f32_f16 v81, v2, v6, v81
	;;#ASMEND
	;;#ASMSTART
	v_dot2_f32_f16 v81, v3, v7, v81
	;;#ASMEND
	;;#ASMSTART
	v_dot2_f32_f16 v81, v4, v8, v81
	;;#ASMEND
	s_waitcnt lgkmcnt(5)
	;;#ASMSTART
	v_dot2_f32_f16 v83, v1, v9, v83
	;;#ASMEND
	;;#ASMSTART
	v_dot2_f32_f16 v83, v2, v10, v83
	;;#ASMEND
	;;#ASMSTART
	v_dot2_f32_f16 v83, v3, v11, v83
	;;#ASMEND
	;;#ASMSTART
	v_dot2_f32_f16 v83, v4, v12, v83
	;;#ASMEND
	;; [unrolled: 13-line block ×5, first 2 shown]
	;;#ASMSTART
	v_dot2_f32_f16 v97, v112, v9, v97
	;;#ASMEND
	;;#ASMSTART
	v_dot2_f32_f16 v97, v113, v10, v97
	;;#ASMEND
	;; [unrolled: 3-line block ×12, first 2 shown]
	s_waitcnt lgkmcnt(1)
	;;#ASMSTART
	v_dot2_f32_f16 v103, v116, v5, v103
	;;#ASMEND
	;;#ASMSTART
	v_dot2_f32_f16 v103, v117, v6, v103
	;;#ASMEND
	;; [unrolled: 3-line block ×16, first 2 shown]
	s_waitcnt lgkmcnt(0)
	;;#ASMSTART
	v_dot2_f32_f16 v90, v120, v5, v90
	;;#ASMEND
	;;#ASMSTART
	v_dot2_f32_f16 v90, v121, v6, v90
	;;#ASMEND
	;; [unrolled: 3-line block ×7, first 2 shown]
	s_cmpk_gt_u32 s21, 0x1bf
	;;#ASMSTART
	v_dot2_f32_f16 v98, v123, v12, v98
	;;#ASMEND
	;;#ASMSTART
	v_dot2_f32_f16 v84, v120, v104, v84
	;;#ASMEND
	;; [unrolled: 3-line block ×3, first 2 shown]
	s_cselect_b32 s8, -1, 0
	;;#ASMSTART
	v_dot2_f32_f16 v84, v122, v106, v84
	;;#ASMEND
	;;#ASMSTART
	v_dot2_f32_f16 v84, v123, v107, v84
	;;#ASMEND
	;; [unrolled: 3-line block ×3, first 2 shown]
	s_and_b32 vcc_lo, exec_lo, s8
	;;#ASMSTART
	v_dot2_f32_f16 v95, v121, v109, v95
	;;#ASMEND
	;;#ASMSTART
	v_dot2_f32_f16 v95, v122, v110, v95
	;;#ASMEND
	;; [unrolled: 3-line block ×3, first 2 shown]
	s_cbranch_vccnz .LBB0_10
; %bb.12:                               ;   in Loop: Header=BB0_11 Depth=2
	s_barrier
	buffer_gl0_inv
	s_branch .LBB0_10
.LBB0_13:                               ;   in Loop: Header=BB0_9 Depth=1
	v_xor_b32_e32 v12, 16, v34
	v_add_nc_u32_e32 v0, s3, v18
	s_mul_hi_i32 s19, s3, s10
	s_mul_i32 s18, s3, s10
	v_add_nc_u32_e32 v120, v42, v33
	s_lshl_b64 s[18:19], s[18:19], 2
	v_ashrrev_i32_e32 v1, 31, v0
	s_add_u32 s8, s11, s18
	s_addc_u32 s18, s17, s19
	s_delay_alu instid0(VALU_DEP_1) | instskip(NEXT) | instid1(VALU_DEP_1)
	v_lshlrev_b64 v[0:1], 1, v[0:1]
	v_add_co_u32 v3, vcc_lo, s34, v0
	s_delay_alu instid0(VALU_DEP_2)
	v_add_co_ci_u32_e32 v4, vcc_lo, s35, v1, vcc_lo
	s_clause 0x3
	flat_load_u16 v0, v[3:4] offset:64
	flat_load_u16 v2, v[3:4] offset:128
	flat_load_u16 v1, v[3:4]
	flat_load_u16 v3, v[3:4] offset:192
	v_add_co_u32 v4, vcc_lo, s8, v27
	v_add_co_ci_u32_e32 v5, vcc_lo, s18, v28, vcc_lo
	s_waitcnt vmcnt(0) lgkmcnt(0)
	s_delay_alu instid0(VALU_DEP_2) | instskip(NEXT) | instid1(VALU_DEP_2)
	v_add_co_u32 v8, vcc_lo, v4, v39
	v_add_co_ci_u32_e32 v9, vcc_lo, 0, v5, vcc_lo
	s_barrier
	buffer_gl0_inv
	s_clause 0x1
	global_load_b128 v[4:7], v[8:9], off
	global_load_b128 v[8:11], v[8:9], off offset:512
	v_cmp_gt_i32_e32 vcc_lo, 32, v12
	v_cndmask_b32_e32 v13, v34, v12, vcc_lo
	v_cvt_f32_f16_e32 v0, v0
	v_cvt_f32_f16_e32 v2, v2
	v_cvt_f32_f16_e32 v1, v1
	v_cvt_f32_f16_e32 v3, v3
	s_delay_alu instid0(VALU_DEP_4) | instskip(NEXT) | instid1(VALU_DEP_4)
	v_dual_add_f32 v104, v97, v0 :: v_dual_lshlrev_b32 v13, 2, v13
	v_dual_add_f32 v99, v99, v0 :: v_dual_add_f32 v102, v102, v2
	v_dual_add_f32 v103, v103, v2 :: v_dual_add_f32 v106, v89, v0
	;; [unrolled: 1-line block ×10, first 2 shown]
	s_delay_alu instid0(VALU_DEP_4)
	v_dual_add_f32 v15, 0x40051340, v107 :: v_dual_add_f32 v82, 0x40051340, v110
	v_dual_add_f32 v65, 0x40051340, v103 :: v_dual_add_f32 v84, 0x40051340, v112
	v_add_f32_e32 v89, 0x40051340, v111
	v_dual_add_f32 v81, 0x40051340, v102 :: v_dual_add_f32 v90, 0x40051340, v101
	v_dual_add_f32 v83, 0x40051340, v109 :: v_dual_add_f32 v96, 0x40051340, v114
	v_add_f32_e32 v95, 0x40051340, v100
	v_max3_f32 v0, v91, v14, v0
	v_add_f32_e32 v14, 0x40051340, v113
	v_max3_f32 v1, v94, v15, v1
	v_max3_f32 v3, v92, v89, v3
	;; [unrolled: 1-line block ×4, first 2 shown]
	s_delay_alu instid0(VALU_DEP_4) | instskip(NEXT) | instid1(VALU_DEP_4)
	v_max3_f32 v1, v1, v81, v83
	v_max3_f32 v3, v3, v95, v14
	s_delay_alu instid0(VALU_DEP_4)
	v_max3_f32 v2, v2, v90, v96
	ds_bpermute_b32 v14, v13, v0
	v_add_nc_u32_e32 v90, 0x8000, v33
	ds_bpermute_b32 v15, v13, v1
	ds_bpermute_b32 v65, v13, v3
	;; [unrolled: 1-line block ×3, first 2 shown]
	v_xor_b32_e32 v13, 8, v34
	s_delay_alu instid0(VALU_DEP_1) | instskip(SKIP_4) | instid1(VALU_DEP_2)
	v_cmp_gt_i32_e32 vcc_lo, 32, v13
	v_cndmask_b32_e32 v82, v34, v13, vcc_lo
	s_waitcnt lgkmcnt(3)
	v_max_f32_e32 v14, v14, v14
	s_waitcnt lgkmcnt(2)
	v_dual_max_f32 v15, v15, v15 :: v_dual_lshlrev_b32 v82, 2, v82
	s_waitcnt lgkmcnt(1)
	v_max_f32_e32 v65, v65, v65
	s_waitcnt lgkmcnt(0)
	v_dual_max_f32 v81, v81, v81 :: v_dual_max_f32 v0, v0, v14
	v_xor_b32_e32 v14, 4, v34
	v_max_f32_e32 v1, v1, v15
	v_max_f32_e32 v3, v3, v65
	s_delay_alu instid0(VALU_DEP_4)
	v_max_f32_e32 v2, v2, v81
	ds_bpermute_b32 v15, v82, v0
	v_cmp_gt_i32_e32 vcc_lo, 32, v14
	ds_bpermute_b32 v65, v82, v1
	ds_bpermute_b32 v81, v82, v3
	;; [unrolled: 1-line block ×3, first 2 shown]
	s_waitcnt lgkmcnt(0)
	v_dual_max_f32 v82, v82, v82 :: v_dual_max_f32 v15, v15, v15
	s_delay_alu instid0(VALU_DEP_1) | instskip(NEXT) | instid1(VALU_DEP_2)
	v_max_f32_e32 v2, v2, v82
	v_dual_cndmask_b32 v83, v34, v14 :: v_dual_max_f32 v0, v0, v15
	v_xor_b32_e32 v15, 2, v34
	s_delay_alu instid0(VALU_DEP_2) | instskip(NEXT) | instid1(VALU_DEP_2)
	v_lshlrev_b32_e32 v83, 2, v83
	v_cmp_gt_i32_e32 vcc_lo, 32, v15
	v_dual_max_f32 v65, v65, v65 :: v_dual_cndmask_b32 v84, v34, v15
	v_max_f32_e32 v81, v81, v81
	s_delay_alu instid0(VALU_DEP_2) | instskip(NEXT) | instid1(VALU_DEP_2)
	v_dual_max_f32 v1, v1, v65 :: v_dual_lshlrev_b32 v84, 2, v84
	v_max_f32_e32 v3, v3, v81
	ds_bpermute_b32 v82, v83, v3
	s_waitcnt lgkmcnt(0)
	v_max_f32_e32 v82, v82, v82
	ds_bpermute_b32 v65, v83, v0
	ds_bpermute_b32 v81, v83, v1
	;; [unrolled: 1-line block ×3, first 2 shown]
	v_max_f32_e32 v3, v3, v82
	s_waitcnt lgkmcnt(2)
	v_max_f32_e32 v65, v65, v65
	s_waitcnt lgkmcnt(0)
	s_delay_alu instid0(VALU_DEP_1) | instskip(SKIP_1) | instid1(VALU_DEP_2)
	v_dual_max_f32 v83, v83, v83 :: v_dual_max_f32 v0, v0, v65
	v_xor_b32_e32 v65, 1, v34
	v_dual_max_f32 v2, v2, v83 :: v_dual_max_f32 v81, v81, v81
	ds_bpermute_b32 v83, v84, v3
	v_cmp_gt_i32_e32 vcc_lo, 32, v65
	v_max_f32_e32 v1, v1, v81
	ds_bpermute_b32 v81, v84, v0
	ds_bpermute_b32 v82, v84, v1
	;; [unrolled: 1-line block ×3, first 2 shown]
	s_waitcnt lgkmcnt(3)
	v_max_f32_e32 v83, v83, v83
	s_waitcnt lgkmcnt(1)
	s_delay_alu instid0(VALU_DEP_1) | instskip(SKIP_2) | instid1(VALU_DEP_2)
	v_dual_max_f32 v3, v3, v83 :: v_dual_max_f32 v82, v82, v82
	s_waitcnt lgkmcnt(0)
	v_dual_max_f32 v84, v84, v84 :: v_dual_cndmask_b32 v89, v34, v65
	v_max_f32_e32 v116, v1, v82
	s_delay_alu instid0(VALU_DEP_2) | instskip(NEXT) | instid1(VALU_DEP_3)
	v_dual_max_f32 v2, v2, v84 :: v_dual_max_f32 v81, v81, v81
	v_lshlrev_b32_e32 v89, 2, v89
	s_delay_alu instid0(VALU_DEP_2)
	v_max_f32_e32 v115, v0, v81
	v_add_co_u32 v0, vcc_lo, s8, v29
	v_add_co_ci_u32_e32 v1, vcc_lo, s18, v30, vcc_lo
	ds_bpermute_b32 v81, v89, v115
	v_add_co_u32 v0, vcc_lo, v0, v39
	v_add_co_ci_u32_e32 v1, vcc_lo, 0, v1, vcc_lo
	s_or_b32 s8, s3, 16
	s_delay_alu instid0(SALU_CYCLE_1) | instskip(SKIP_1) | instid1(SALU_CYCLE_1)
	s_mul_hi_i32 s19, s8, s10
	s_mul_i32 s18, s8, s10
	s_lshl_b64 s[18:19], s[18:19], 2
	s_delay_alu instid0(SALU_CYCLE_1)
	s_add_u32 s8, s11, s18
	s_addc_u32 s18, s17, s19
	s_waitcnt lgkmcnt(0)
	v_max_f32_e32 v121, v81, v81
	s_clause 0x1
	global_load_b128 v[81:84], v[0:1], off
	global_load_b128 v[95:98], v[0:1], off offset:512
	s_waitcnt vmcnt(3)
	ds_store_b128 v43, v[4:7]
	s_waitcnt vmcnt(2)
	ds_store_b128 v44, v[8:11]
	v_max_f32_e32 v0, v115, v121
	s_delay_alu instid0(VALU_DEP_1)
	v_sub_f32_e32 v4, v91, v0
	ds_bpermute_b32 v117, v89, v116
	v_sub_f32_e32 v6, v108, v0
	ds_bpermute_b32 v118, v89, v3
	ds_bpermute_b32 v119, v89, v2
	s_waitcnt lgkmcnt(2)
	v_max_f32_e32 v1, v117, v117
	s_waitcnt lgkmcnt(0)
	v_dual_max_f32 v117, v118, v118 :: v_dual_max_f32 v118, v119, v119
	s_delay_alu instid0(VALU_DEP_1) | instskip(NEXT) | instid1(VALU_DEP_1)
	v_dual_max_f32 v3, v3, v117 :: v_dual_max_f32 v2, v2, v118
	v_dual_sub_f32 v92, v92, v3 :: v_dual_add_nc_u32 v89, 0x8800, v33
	v_max_f32_e32 v1, v116, v1
	s_delay_alu instid0(VALU_DEP_3)
	v_sub_f32_e32 v93, v93, v2
	v_sub_f32_e32 v5, v99, v0
	v_sub_f32_e32 v99, v105, v2
	v_sub_f32_e32 v105, v106, v3
	v_dual_sub_f32 v106, v113, v3 :: v_dual_sub_f32 v7, v107, v1
	v_sub_f32_e32 v10, v94, v1
	v_dual_sub_f32 v8, v103, v0 :: v_dual_sub_f32 v11, v104, v1
	s_delay_alu instid0(VALU_DEP_3) | instskip(SKIP_1) | instid1(VALU_DEP_4)
	v_dual_sub_f32 v91, v102, v1 :: v_dual_mul_f32 v108, 0x3fb8aa3b, v7
	v_dual_sub_f32 v94, v109, v1 :: v_dual_sub_f32 v103, v111, v3
	v_mul_f32_e32 v116, 0x3fb8aa3b, v10
	v_sub_f32_e32 v104, v114, v2
	v_sub_f32_e32 v101, v101, v2
	v_mul_f32_e32 v126, 0x3fb8aa3b, v106
	v_dual_mul_f32 v109, 0x3fb8aa3b, v6 :: v_dual_mul_f32 v124, 0x3fb8aa3b, v105
	v_rndne_f32_e32 v131, v108
	v_dual_mul_f32 v107, 0x3fb8aa3b, v5 :: v_dual_sub_f32 v102, v112, v2
	v_sub_f32_e32 v100, v100, v3
	v_mul_f32_e32 v112, 0x3fb8aa3b, v4
	v_dual_sub_f32 v9, v110, v0 :: v_dual_mul_f32 v114, 0x3fb8aa3b, v91
	v_mul_f32_e32 v118, 0x3fb8aa3b, v103
	v_mul_f32_e32 v122, 0x3fb8aa3b, v104
	v_fma_f32 v130, 0x3fb8aa3b, v7, -v108
	v_rndne_f32_e32 v147, v116
	v_mul_f32_e32 v121, 0x3fb8aa3b, v101
	v_rndne_f32_e32 v161, v124
	v_mul_f32_e32 v117, 0x3fb8aa3b, v99
	v_sub_f32_e32 v108, v108, v131
	v_fma_f32 v128, 0x3fb8aa3b, v5, -v107
	v_rndne_f32_e32 v129, v107
	v_mul_f32_e32 v110, 0x3fb8aa3b, v8
	v_rndne_f32_e32 v139, v112
	v_mul_f32_e32 v115, 0x3fb8aa3b, v94
	;; [unrolled: 2-line block ×3, first 2 shown]
	v_fma_f32 v146, 0x3fb8aa3b, v10, -v116
	v_fma_f32 v160, 0x3fb8aa3b, v105, -v124
	v_dual_sub_f32 v107, v107, v129 :: v_dual_fmac_f32 v130, 0x32a5705f, v7
	v_sub_f32_e32 v116, v116, v147
	v_rndne_f32_e32 v155, v121
	v_fmac_f32_e32 v128, 0x32a5705f, v5
	v_sub_f32_e32 v124, v124, v161
	v_fma_f32 v148, 0x3fb8aa3b, v99, -v117
	v_dual_mul_f32 v127, 0x3fb8aa3b, v92 :: v_dual_add_f32 v108, v108, v130
	v_fma_f32 v132, 0x3fb8aa3b, v6, -v109
	v_rndne_f32_e32 v133, v109
	v_fma_f32 v134, 0x3fb8aa3b, v8, -v110
	v_rndne_f32_e32 v135, v110
	v_mul_f32_e32 v111, 0x3fb8aa3b, v9
	v_fma_f32 v138, 0x3fb8aa3b, v4, -v112
	v_fma_f32 v142, 0x3fb8aa3b, v91, -v114
	;; [unrolled: 1-line block ×3, first 2 shown]
	v_sub_f32_e32 v110, v110, v135
	v_sub_f32_e32 v112, v112, v139
	v_fma_f32 v144, 0x3fb8aa3b, v94, -v115
	v_sub_f32_e32 v114, v114, v143
	v_fma_f32 v152, 0x3fb8aa3b, v102, -v119
	v_rndne_f32_e32 v153, v119
	v_sub_f32_e32 v121, v121, v155
	v_dual_fmac_f32 v148, 0x32a5705f, v99 :: v_dual_add_f32 v107, v107, v128
	v_rndne_f32_e32 v137, v111
	v_fma_f32 v150, 0x3fb8aa3b, v103, -v118
	v_rndne_f32_e32 v151, v118
	v_mul_f32_e32 v123, 0x3fb8aa3b, v93
	v_rndne_f32_e32 v167, v127
	v_dual_fmac_f32 v132, 0x32a5705f, v6 :: v_dual_sub_f32 v109, v109, v133
	v_fmac_f32_e32 v134, 0x32a5705f, v8
	v_dual_fmac_f32 v144, 0x32a5705f, v94 :: v_dual_sub_f32 v119, v119, v153
	v_fmac_f32_e32 v152, 0x32a5705f, v102
	v_exp_f32_e32 v107, v107
	v_fma_f32 v136, 0x3fb8aa3b, v9, -v111
	v_rndne_f32_e32 v157, v122
	v_mul_f32_e32 v113, 0x3fb8aa3b, v11
	v_fma_f32 v166, 0x3fb8aa3b, v92, -v127
	v_cvt_i32_f32_e32 v129, v129
	v_dual_sub_f32 v111, v111, v137 :: v_dual_fmac_f32 v150, 0x32a5705f, v103
	v_dual_add_f32 v109, v109, v132 :: v_dual_sub_f32 v118, v118, v151
	v_rndne_f32_e32 v159, v123
	v_dual_sub_f32 v127, v127, v167 :: v_dual_add_f32 v110, v110, v134
	v_add_f32_e32 v119, v119, v152
	v_exp_f32_e32 v108, v108
	v_fma_f32 v156, 0x3fb8aa3b, v104, -v122
	v_fma_f32 v158, 0x3fb8aa3b, v93, -v123
	v_cvt_i32_f32_e32 v131, v131
	v_dual_fmac_f32 v136, 0x32a5705f, v9 :: v_dual_sub_f32 v123, v123, v159
	v_fmac_f32_e32 v154, 0x32a5705f, v101
	v_sub_f32_e32 v122, v122, v157
	v_rndne_f32_e32 v141, v113
	s_delay_alu instid0(VALU_DEP_4)
	v_add_f32_e32 v111, v111, v136
	v_fmac_f32_e32 v138, 0x32a5705f, v4
	v_exp_f32_e32 v109, v109
	v_exp_f32_e32 v119, v119
	v_ldexp_f32 v107, v107, v129
	v_cmp_ngt_f32_e32 vcc_lo, 0xc2ce8ed0, v5
	v_fma_f32 v140, 0x3fb8aa3b, v11, -v113
	v_sub_f32_e32 v113, v113, v141
	v_rndne_f32_e32 v145, v115
	v_rndne_f32_e32 v165, v126
	v_mul_f32_e32 v125, 0x3fb8aa3b, v100
	v_cvt_i32_f32_e32 v133, v133
	v_cvt_i32_f32_e32 v153, v153
	v_dual_fmac_f32 v156, 0x32a5705f, v104 :: v_dual_add_f32 v121, v121, v154
	v_dual_add_f32 v112, v112, v138 :: v_dual_cndmask_b32 v107, 0, v107
	v_exp_f32_e32 v110, v110
	v_ldexp_f32 v108, v108, v131
	v_cmp_ngt_f32_e32 vcc_lo, 0xc2ce8ed0, v7
	v_rndne_f32_e32 v149, v117
	v_fma_f32 v164, 0x3fb8aa3b, v106, -v126
	v_cvt_i32_f32_e32 v135, v135
	v_dual_fmac_f32 v140, 0x32a5705f, v11 :: v_dual_sub_f32 v115, v115, v145
	s_delay_alu instid0(VALU_DEP_4) | instskip(NEXT) | instid1(VALU_DEP_2)
	v_dual_fmac_f32 v142, 0x32a5705f, v91 :: v_dual_sub_f32 v117, v117, v149
	v_dual_fmac_f32 v158, 0x32a5705f, v93 :: v_dual_add_f32 v113, v113, v140
	v_sub_f32_e32 v126, v126, v165
	v_fma_f32 v162, 0x3fb8aa3b, v100, -v125
	v_exp_f32_e32 v111, v111
	v_exp_f32_e32 v121, v121
	v_ldexp_f32 v109, v109, v133
	v_ldexp_f32 v119, v119, v153
	v_cndmask_b32_e32 v108, 0, v108, vcc_lo
	v_cmp_ngt_f32_e32 vcc_lo, 0xc2ce8ed0, v6
	v_rndne_f32_e32 v163, v125
	v_cvt_i32_f32_e32 v137, v137
	v_cvt_i32_f32_e32 v155, v155
	v_dual_fmac_f32 v162, 0x32a5705f, v100 :: v_dual_add_f32 v123, v123, v158
	v_dual_add_f32 v114, v114, v142 :: v_dual_cndmask_b32 v109, 0, v109
	v_exp_f32_e32 v112, v112
	v_ldexp_f32 v110, v110, v135
	v_cmp_ngt_f32_e32 vcc_lo, 0xc2ce8ed0, v8
	v_cvt_i32_f32_e32 v139, v139
	v_dual_fmac_f32 v146, 0x32a5705f, v10 :: v_dual_sub_f32 v125, v125, v163
	v_exp_f32_e32 v113, v113
	v_exp_f32_e32 v123, v123
	v_ldexp_f32 v111, v111, v137
	v_ldexp_f32 v121, v121, v155
	v_cndmask_b32_e32 v110, 0, v110, vcc_lo
	v_cmp_ngt_f32_e32 vcc_lo, 0xc2ce8ed0, v9
	v_cvt_i32_f32_e32 v141, v141
	v_cvt_i32_f32_e32 v159, v159
	v_dual_fmac_f32 v160, 0x32a5705f, v105 :: v_dual_add_f32 v115, v115, v144
	v_dual_fmac_f32 v166, 0x32a5705f, v92 :: v_dual_add_f32 v125, v125, v162
	v_dual_add_f32 v116, v116, v146 :: v_dual_cndmask_b32 v111, 0, v111
	v_exp_f32_e32 v114, v114
	v_ldexp_f32 v112, v112, v139
	v_cmp_ngt_f32_e32 vcc_lo, 0xc2ce8ed0, v4
	v_cvt_i32_f32_e32 v143, v143
	v_exp_f32_e32 v115, v115
	v_exp_f32_e32 v125, v125
	v_ldexp_f32 v113, v113, v141
	v_ldexp_f32 v123, v123, v159
	v_cndmask_b32_e32 v112, 0, v112, vcc_lo
	v_cmp_ngt_f32_e32 vcc_lo, 0xc2ce8ed0, v11
	v_cvt_i32_f32_e32 v145, v145
	v_cvt_i32_f32_e32 v163, v163
	v_dual_fmac_f32 v164, 0x32a5705f, v106 :: v_dual_add_f32 v117, v117, v148
	v_dual_add_f32 v118, v118, v150 :: v_dual_cndmask_b32 v113, 0, v113
	v_dual_add_f32 v122, v122, v156 :: v_dual_add_f32 v127, v127, v166
	v_exp_f32_e32 v116, v116
	v_ldexp_f32 v114, v114, v143
	v_cmp_ngt_f32_e32 vcc_lo, 0xc2ce8ed0, v91
	v_cvt_i32_f32_e32 v147, v147
	v_exp_f32_e32 v117, v117
	v_exp_f32_e32 v127, v127
	v_ldexp_f32 v115, v115, v145
	v_ldexp_f32 v125, v125, v163
	v_cndmask_b32_e32 v114, 0, v114, vcc_lo
	v_cmp_ngt_f32_e32 vcc_lo, 0xc2ce8ed0, v94
	v_cvt_i32_f32_e32 v149, v149
	v_cvt_i32_f32_e32 v167, v167
	v_add_f32_e32 v124, v124, v160
	v_exp_f32_e32 v118, v118
	v_cndmask_b32_e32 v115, 0, v115, vcc_lo
	v_ldexp_f32 v116, v116, v147
	v_cmp_ngt_f32_e32 vcc_lo, 0xc2ce8ed0, v10
	v_cvt_i32_f32_e32 v151, v151
	v_ldexp_f32 v117, v117, v149
	v_ldexp_f32 v127, v127, v167
	v_exp_f32_e32 v122, v122
	v_cndmask_b32_e32 v116, 0, v116, vcc_lo
	v_cmp_ngt_f32_e32 vcc_lo, 0xc2ce8ed0, v99
	v_add_f32_e32 v126, v126, v164
	v_ldexp_f32 v118, v118, v151
	v_cvt_i32_f32_e32 v157, v157
	v_exp_f32_e32 v124, v124
	v_cndmask_b32_e32 v117, 0, v117, vcc_lo
	v_cmp_ngt_f32_e32 vcc_lo, 0xc2ce8ed0, v103
	v_cvt_i32_f32_e32 v161, v161
	v_ldexp_f32 v122, v122, v157
	v_exp_f32_e32 v126, v126
	v_cvt_i32_f32_e32 v165, v165
	v_cndmask_b32_e32 v118, 0, v118, vcc_lo
	v_cmp_ngt_f32_e32 vcc_lo, 0xc2ce8ed0, v102
	s_delay_alu instid0(TRANS32_DEP_2) | instskip(SKIP_2) | instid1(TRANS32_DEP_1)
	v_ldexp_f32 v124, v124, v161
	v_cndmask_b32_e32 v119, 0, v119, vcc_lo
	v_cmp_ngt_f32_e32 vcc_lo, 0xc2ce8ed0, v101
	v_ldexp_f32 v126, v126, v165
	v_cndmask_b32_e32 v121, 0, v121, vcc_lo
	v_cmp_ngt_f32_e32 vcc_lo, 0xc2ce8ed0, v104
	v_cndmask_b32_e32 v122, 0, v122, vcc_lo
	v_cmp_ngt_f32_e32 vcc_lo, 0xc2ce8ed0, v93
	;; [unrolled: 2-line block ×6, first 2 shown]
	v_cndmask_b32_e32 v127, 0, v127, vcc_lo
	v_cmp_nlt_f32_e32 vcc_lo, 0x42b17218, v5
	v_cndmask_b32_e32 v5, 0x7f800000, v107, vcc_lo
	v_cmp_nlt_f32_e32 vcc_lo, 0x42b17218, v7
	;; [unrolled: 2-line block ×7, first 2 shown]
	s_delay_alu instid0(VALU_DEP_2) | instskip(SKIP_2) | instid1(VALU_DEP_3)
	v_cvt_f16_f32_e32 v111, v108
	v_cndmask_b32_e32 v4, 0x7f800000, v113, vcc_lo
	v_cmp_nlt_f32_e32 vcc_lo, 0x42b17218, v91
	v_pk_mul_f16 v79, v111, v79 op_sel_hi:[0,1]
	s_delay_alu instid0(VALU_DEP_3)
	v_cvt_f16_f32_e32 v113, v4
	v_cndmask_b32_e32 v9, 0x7f800000, v114, vcc_lo
	v_cmp_nlt_f32_e32 vcc_lo, 0x42b17218, v94
	v_pk_mul_f16 v80, v111, v80 op_sel_hi:[0,1]
	v_pk_mul_f16 v78, v111, v78 op_sel_hi:[0,1]
	v_cndmask_b32_e32 v91, 0x7f800000, v115, vcc_lo
	v_cmp_nlt_f32_e32 vcc_lo, 0x42b17218, v10
	v_cndmask_b32_e32 v109, 0x7f800000, v116, vcc_lo
	v_cmp_nlt_f32_e32 vcc_lo, 0x42b17218, v99
	;; [unrolled: 2-line block ×5, first 2 shown]
	s_delay_alu instid0(VALU_DEP_4) | instskip(SKIP_4) | instid1(VALU_DEP_2)
	v_cvt_f16_f32_e32 v119, v11
	v_cndmask_b32_e32 v99, 0x7f800000, v121, vcc_lo
	v_cmp_nlt_f32_e32 vcc_lo, 0x42b17218, v104
	v_cndmask_b32_e32 v101, 0x7f800000, v122, vcc_lo
	v_cmp_nlt_f32_e32 vcc_lo, 0x42b17218, v93
	v_cvt_f16_f32_e32 v117, v101
	v_cndmask_b32_e32 v103, 0x7f800000, v123, vcc_lo
	v_cmp_nlt_f32_e32 vcc_lo, 0x42b17218, v105
	v_cvt_f16_f32_e32 v105, v5
	s_delay_alu instid0(VALU_DEP_3) | instskip(SKIP_3) | instid1(VALU_DEP_4)
	v_cvt_f16_f32_e32 v118, v103
	v_cndmask_b32_e32 v93, 0x7f800000, v124, vcc_lo
	v_cmp_nlt_f32_e32 vcc_lo, 0x42b17218, v100
	v_pk_mul_f16 v124, v111, v77 op_sel_hi:[0,1]
	v_pk_mul_f16 v132, v118, v60 op_sel_hi:[0,1]
	s_delay_alu instid0(VALU_DEP_4)
	v_add_f32_e32 v11, v11, v93
	v_cndmask_b32_e32 v100, 0x7f800000, v125, vcc_lo
	v_cmp_nlt_f32_e32 vcc_lo, 0x42b17218, v106
	v_cvt_f16_f32_e32 v93, v93
	v_cvt_f16_f32_e32 v106, v8
	v_pk_mul_f16 v125, v111, v76 op_sel_hi:[0,1]
	v_cvt_f16_f32_e32 v121, v100
	v_cndmask_b32_e32 v102, 0x7f800000, v126, vcc_lo
	v_cmp_nlt_f32_e32 vcc_lo, 0x42b17218, v92
	v_dual_add_f32 v92, v6, v5 :: v_dual_add_f32 v5, v7, v4
	v_cvt_f16_f32_e32 v112, v7
	v_cvt_f16_f32_e32 v6, v6
	v_add_f32_e32 v4, v94, v10
	v_cvt_f16_f32_e32 v7, v10
	v_cvt_f16_f32_e32 v94, v94
	;; [unrolled: 1-line block ×4, first 2 shown]
	v_add_f32_e32 v92, v8, v92
	v_cvt_f16_f32_e32 v110, v107
	v_pk_mul_f16 v126, v111, v74 op_sel_hi:[0,1]
	v_add_f32_e32 v76, v100, v11
	v_cvt_f16_f32_e32 v114, v9
	v_add_f32_e32 v74, v9, v5
	v_cvt_f16_f32_e32 v115, v91
	v_cndmask_b32_e32 v104, 0x7f800000, v127, vcc_lo
	v_pk_mul_f16 v127, v111, v75 op_sel_hi:[0,1]
	v_add_f32_e32 v75, v99, v4
	v_pack_b32_f16 v5, v94, v119
	v_pack_b32_f16 v4, v6, v112
	;; [unrolled: 1-line block ×8, first 2 shown]
	ds_store_2addr_b64 v120, v[4:5], v[6:7] offset1:32
	ds_store_2addr_b64 v120, v[8:9], v[10:11] offset0:64 offset1:96
	s_waitcnt vmcnt(1)
	ds_store_b128 v45, v[81:84]
	s_waitcnt vmcnt(0)
	ds_store_b128 v46, v[95:98]
	v_add_f32_e32 v82, v101, v75
	v_cvt_f16_f32_e32 v116, v109
	v_pk_mul_f16 v133, v118, v59 op_sel_hi:[0,1]
	v_pk_mul_f16 v134, v118, v57 op_sel_hi:[0,1]
	;; [unrolled: 1-line block ×3, first 2 shown]
	v_fmac_f32_e32 v82, v87, v103
	v_pk_mul_f16 v128, v116, v69 op_sel_hi:[0,1]
	v_pk_mul_f16 v129, v116, v68 op_sel_hi:[0,1]
	;; [unrolled: 1-line block ×4, first 2 shown]
	s_waitcnt lgkmcnt(0)
	s_barrier
	buffer_gl0_inv
	ds_load_2addr_b64 v[57:60], v90 offset1:32
	ds_load_b128 v[66:69], v42
	v_cvt_f16_f32_e32 v123, v104
	v_add_f32_e32 v84, v107, v92
	v_add_f32_e32 v83, v91, v74
	;; [unrolled: 1-line block ×3, first 2 shown]
	v_pk_mul_f16 v72, v116, v72 op_sel_hi:[0,1]
	v_pk_mul_f16 v136, v123, v54 op_sel_hi:[0,1]
	;; [unrolled: 1-line block ×9, first 2 shown]
	ds_load_2addr_b64 v[48:51], v90 offset0:64 offset1:96
	ds_load_b128 v[52:55], v42 offset:16
	ds_load_b128 v[8:11], v42 offset:32
	;; [unrolled: 1-line block ×3, first 2 shown]
	ds_load_2addr_b64 v[74:77], v90 offset0:128 offset1:160
	ds_load_2addr_b64 v[91:94], v90 offset0:192 offset1:224
	ds_load_2addr_b64 v[95:98], v89 offset1:32
	ds_load_2addr_b64 v[99:102], v89 offset0:64 offset1:96
	v_pk_mul_f16 v71, v116, v71 op_sel_hi:[0,1]
	v_pk_mul_f16 v70, v116, v70 op_sel_hi:[0,1]
	;; [unrolled: 1-line block ×5, first 2 shown]
	v_dual_fmac_f32 v84, v85, v108 :: v_dual_fmac_f32 v83, v86, v109
	s_waitcnt lgkmcnt(8)
	v_pk_mul_f16 v85, v57, v66 op_sel_hi:[1,0]
	v_pk_mul_f16 v86, v57, v66 op_sel:[0,1]
	v_pk_mul_f16 v87, v57, v67 op_sel_hi:[1,0]
	v_fmac_f32_e32 v81, v88, v104
	v_pk_fma_f16 v57, v57, v67, v136 op_sel:[0,1,0]
	v_pk_fma_f16 v79, v58, v66, v79 op_sel_hi:[1,0,1]
	v_pk_fma_f16 v72, v58, v66, v72 op_sel:[0,1,0]
	v_pk_fma_f16 v63, v58, v67, v63 op_sel_hi:[1,0,1]
	;; [unrolled: 2-line block ×6, first 2 shown]
	v_pk_fma_f16 v60, v60, v67, v106 op_sel:[0,1,0]
	s_waitcnt lgkmcnt(7)
	v_pk_fma_f16 v105, v48, v66, v125 op_sel_hi:[1,0,1]
	v_pk_fma_f16 v106, v48, v66, v129 op_sel:[0,1,0]
	v_pk_fma_f16 v107, v48, v67, v133 op_sel_hi:[1,0,1]
	v_pk_fma_f16 v48, v48, v67, v110 op_sel:[0,1,0]
	;; [unrolled: 2-line block ×8, first 2 shown]
	v_pk_fma_f16 v67, v111, v73, v85 op_sel_hi:[0,1,1]
	v_pk_fma_f16 v64, v116, v64, v86 op_sel_hi:[0,1,1]
	;; [unrolled: 1-line block ×3, first 2 shown]
	s_waitcnt lgkmcnt(3)
	v_pk_fma_f16 v73, v75, v68, v79 op_sel_hi:[1,0,1]
	v_pk_fma_f16 v72, v75, v68, v72 op_sel:[0,1,0]
	v_pk_fma_f16 v63, v75, v69, v63 op_sel_hi:[1,0,1]
	v_pk_fma_f16 v58, v75, v69, v58 op_sel:[0,1,0]
	;; [unrolled: 2-line block ×6, first 2 shown]
	s_waitcnt lgkmcnt(2)
	v_pk_fma_f16 v77, v91, v68, v105 op_sel_hi:[1,0,1]
	v_pk_fma_f16 v80, v91, v68, v106 op_sel:[0,1,0]
	v_pk_fma_f16 v86, v91, v69, v107 op_sel_hi:[1,0,1]
	v_pk_fma_f16 v87, v91, v69, v48 op_sel:[0,1,0]
	;; [unrolled: 2-line block ×10, first 2 shown]
	s_waitcnt lgkmcnt(1)
	v_pk_fma_f16 v67, v96, v52, v73 op_sel_hi:[1,0,1]
	v_pk_fma_f16 v68, v96, v52, v72 op_sel:[0,1,0]
	v_pk_fma_f16 v69, v95, v52, v48 op_sel_hi:[1,0,1]
	v_pk_fma_f16 v72, v95, v52, v49 op_sel:[0,1,0]
	v_pk_fma_f16 v73, v95, v53, v50 op_sel_hi:[1,0,1]
	ds_load_2addr_b64 v[48:51], v89 offset0:128 offset1:160
	v_pk_fma_f16 v64, v95, v53, v57 op_sel:[0,1,0]
	v_pk_fma_f16 v63, v96, v53, v63 op_sel_hi:[1,0,1]
	v_pk_fma_f16 v74, v96, v53, v58 op_sel:[0,1,0]
	v_pk_fma_f16 v75, v97, v52, v75 op_sel_hi:[1,0,1]
	;; [unrolled: 2-line block ×5, first 2 shown]
	v_pk_fma_f16 v97, v98, v53, v60 op_sel:[0,1,0]
	s_waitcnt lgkmcnt(1)
	v_pk_fma_f16 v77, v99, v52, v77 op_sel_hi:[1,0,1]
	v_pk_fma_f16 v80, v99, v52, v80 op_sel:[0,1,0]
	v_pk_fma_f16 v78, v100, v52, v78 op_sel_hi:[1,0,1]
	v_pk_fma_f16 v70, v100, v52, v70 op_sel:[0,1,0]
	;; [unrolled: 2-line block ×5, first 2 shown]
	ds_load_2addr_b64 v[56:59], v89 offset0:192 offset1:224
	v_add_nc_u32_e32 v52, 0x9000, v33
	v_pk_fma_f16 v86, v99, v53, v86 op_sel_hi:[1,0,1]
	v_pk_fma_f16 v87, v99, v53, v87 op_sel:[0,1,0]
	v_pk_fma_f16 v99, v101, v53, v103 op_sel_hi:[1,0,1]
	v_pk_fma_f16 v93, v101, v53, v93 op_sel:[0,1,0]
	;; [unrolled: 2-line block ×3, first 2 shown]
	s_waitcnt lgkmcnt(1)
	v_pk_fma_f16 v69, v48, v54, v69 op_sel_hi:[1,0,1]
	v_pk_fma_f16 v72, v48, v54, v72 op_sel:[0,1,0]
	v_pk_fma_f16 v73, v48, v55, v73 op_sel_hi:[1,0,1]
	v_pk_fma_f16 v64, v48, v55, v64 op_sel:[0,1,0]
	;; [unrolled: 2-line block ×7, first 2 shown]
	ds_load_2addr_b64 v[60:63], v52 offset1:32
	v_pk_fma_f16 v96, v51, v55, v96 op_sel_hi:[1,0,1]
	v_pk_fma_f16 v97, v51, v55, v97 op_sel:[0,1,0]
	ds_load_2addr_b64 v[48:51], v52 offset0:64 offset1:96
	s_waitcnt lgkmcnt(2)
	v_pk_fma_f16 v78, v57, v54, v78 op_sel_hi:[1,0,1]
	v_pk_fma_f16 v70, v57, v54, v70 op_sel:[0,1,0]
	v_pk_fma_f16 v98, v57, v55, v98 op_sel_hi:[1,0,1]
	v_pk_fma_f16 v57, v57, v55, v88 op_sel:[0,1,0]
	;; [unrolled: 2-line block ×8, first 2 shown]
	s_waitcnt lgkmcnt(1)
	v_pk_fma_f16 v69, v60, v8, v69 op_sel_hi:[1,0,1]
	v_pk_fma_f16 v72, v60, v8, v72 op_sel:[0,1,0]
	v_pk_fma_f16 v73, v60, v9, v73 op_sel_hi:[1,0,1]
	v_pk_fma_f16 v64, v60, v9, v64 op_sel:[0,1,0]
	s_waitcnt lgkmcnt(0)
	v_pk_fma_f16 v181, v49, v9, v57 op_sel:[0,1,0]
	v_pk_fma_f16 v185, v50, v9, v58 op_sel:[0,1,0]
	ds_load_2addr_b64 v[57:60], v52 offset0:192 offset1:224
	ds_load_2addr_b64 v[53:56], v52 offset0:128 offset1:160
	v_pk_fma_f16 v78, v49, v8, v78 op_sel_hi:[1,0,1]
	v_pk_fma_f16 v67, v61, v8, v67 op_sel_hi:[1,0,1]
	v_pk_fma_f16 v68, v61, v8, v68 op_sel:[0,1,0]
	v_pk_fma_f16 v94, v61, v9, v94 op_sel_hi:[1,0,1]
	v_pk_fma_f16 v61, v61, v9, v74 op_sel:[0,1,0]
	;; [unrolled: 2-line block ×3, first 2 shown]
	v_pk_fma_f16 v79, v62, v9, v85 op_sel_hi:[1,0,1]
	v_pk_fma_f16 v76, v63, v8, v76 op_sel_hi:[1,0,1]
	v_pk_fma_f16 v71, v63, v8, v71 op_sel:[0,1,0]
	v_pk_fma_f16 v77, v48, v8, v77 op_sel_hi:[1,0,1]
	v_pk_fma_f16 v80, v48, v8, v80 op_sel:[0,1,0]
	v_pk_fma_f16 v179, v49, v8, v70 op_sel:[0,1,0]
	v_pk_fma_f16 v182, v50, v8, v88 op_sel_hi:[1,0,1]
	v_pk_fma_f16 v183, v50, v8, v91 op_sel:[0,1,0]
	v_pk_fma_f16 v186, v51, v8, v93 op_sel_hi:[1,0,1]
	v_pk_fma_f16 v187, v51, v8, v66 op_sel:[0,1,0]
	v_add_co_u32 v8, vcc_lo, s8, v27
	v_pk_fma_f16 v62, v62, v9, v95 op_sel:[0,1,0]
	v_pk_fma_f16 v85, v63, v9, v96 op_sel_hi:[1,0,1]
	v_pk_fma_f16 v63, v63, v9, v97 op_sel:[0,1,0]
	v_pk_fma_f16 v86, v48, v9, v86 op_sel_hi:[1,0,1]
	v_pk_fma_f16 v48, v48, v9, v87 op_sel:[0,1,0]
	v_pk_fma_f16 v180, v49, v9, v98 op_sel_hi:[1,0,1]
	v_pk_fma_f16 v184, v50, v9, v92 op_sel_hi:[1,0,1]
	v_pk_fma_f16 v188, v51, v9, v99 op_sel_hi:[1,0,1]
	v_pk_fma_f16 v189, v51, v9, v100 op_sel:[0,1,0]
	v_add_co_ci_u32_e32 v9, vcc_lo, s18, v28, vcc_lo
	s_waitcnt lgkmcnt(1)
	v_pk_fma_f16 v209, v58, v10, v78 op_sel_hi:[1,0,1]
	v_add_co_u32 v78, vcc_lo, s8, v29
	s_waitcnt lgkmcnt(0)
	v_pk_fma_f16 v200, v55, v11, v79 op_sel_hi:[1,0,1]
	v_add_co_ci_u32_e32 v79, vcc_lo, s18, v30, vcc_lo
	v_add_co_u32 v8, vcc_lo, v8, v39
	v_add_co_ci_u32_e32 v9, vcc_lo, 0, v9, vcc_lo
	v_pk_fma_f16 v190, v53, v10, v69 op_sel_hi:[1,0,1]
	v_pk_fma_f16 v191, v53, v10, v72 op_sel:[0,1,0]
	v_pk_fma_f16 v192, v53, v11, v73 op_sel_hi:[1,0,1]
	v_pk_fma_f16 v193, v53, v11, v64 op_sel:[0,1,0]
	v_add_nc_u32_e32 v53, 0x9800, v33
	v_pk_fma_f16 v208, v57, v11, v48 op_sel:[0,1,0]
	v_add_nc_u32_e32 v51, 0xa000, v33
	v_add_nc_u32_e32 v49, 0xb000, v33
	;; [unrolled: 1-line block ×3, first 2 shown]
	v_add_co_u32 v78, vcc_lo, v78, v39
	v_add_nc_u32_e32 v50, 0xa800, v33
	v_add_co_ci_u32_e32 v79, vcc_lo, 0, v79, vcc_lo
	v_pk_fma_f16 v194, v54, v10, v67 op_sel_hi:[1,0,1]
	v_pk_fma_f16 v195, v54, v10, v68 op_sel:[0,1,0]
	v_pk_fma_f16 v196, v54, v11, v94 op_sel_hi:[1,0,1]
	v_pk_fma_f16 v197, v54, v11, v61 op_sel:[0,1,0]
	;; [unrolled: 2-line block ×3, first 2 shown]
	v_pk_fma_f16 v201, v55, v11, v62 op_sel:[0,1,0]
	v_pk_fma_f16 v202, v56, v10, v76 op_sel_hi:[1,0,1]
	v_pk_fma_f16 v203, v56, v10, v71 op_sel:[0,1,0]
	v_pk_fma_f16 v204, v56, v11, v85 op_sel_hi:[1,0,1]
	v_pk_fma_f16 v205, v56, v11, v63 op_sel:[0,1,0]
	v_pk_fma_f16 v206, v57, v10, v77 op_sel_hi:[1,0,1]
	v_pk_fma_f16 v80, v57, v10, v80 op_sel:[0,1,0]
	v_pk_fma_f16 v207, v57, v11, v86 op_sel_hi:[1,0,1]
	ds_load_2addr_b64 v[54:57], v53 offset1:32
	ds_load_2addr_b64 v[61:64], v53 offset0:64 offset1:96
	ds_load_2addr_b64 v[66:69], v53 offset0:128 offset1:160
	;; [unrolled: 1-line block ×3, first 2 shown]
	ds_load_2addr_b64 v[74:77], v51 offset1:32
	ds_load_2addr_b64 v[85:88], v51 offset0:64 offset1:96
	ds_load_2addr_b64 v[91:94], v51 offset0:128 offset1:160
	;; [unrolled: 1-line block ×3, first 2 shown]
	ds_load_2addr_b64 v[99:102], v50 offset1:32
	ds_load_2addr_b64 v[103:106], v50 offset0:64 offset1:96
	ds_load_b128 v[107:110], v42 offset:64
	ds_load_b128 v[111:114], v42 offset:80
	ds_load_2addr_b64 v[115:118], v50 offset0:128 offset1:160
	ds_load_2addr_b64 v[119:122], v50 offset0:192 offset1:224
	ds_load_2addr_b64 v[123:126], v49 offset1:32
	ds_load_2addr_b64 v[127:130], v49 offset0:64 offset1:96
	ds_load_2addr_b64 v[131:134], v49 offset0:128 offset1:160
	ds_load_2addr_b64 v[135:138], v49 offset0:192 offset1:224
	ds_load_2addr_b64 v[139:142], v48 offset1:32
	ds_load_2addr_b64 v[143:146], v48 offset0:64 offset1:96
	ds_load_b128 v[147:150], v42 offset:96
	ds_load_b128 v[151:154], v42 offset:112
	ds_load_2addr_b64 v[155:158], v48 offset0:128 offset1:160
	ds_load_2addr_b64 v[159:162], v48 offset0:192 offset1:224
	s_waitcnt lgkmcnt(0)
	s_barrier
	buffer_gl0_inv
	s_clause 0x3
	global_load_b128 v[163:166], v[8:9], off
	global_load_b128 v[167:170], v[8:9], off offset:512
	global_load_b128 v[171:174], v[78:79], off
	global_load_b128 v[175:178], v[78:79], off offset:512
	v_pk_fma_f16 v8, v58, v10, v179 op_sel:[0,1,0]
	v_pk_fma_f16 v9, v58, v11, v180 op_sel_hi:[1,0,1]
	v_pk_fma_f16 v58, v58, v11, v181 op_sel:[0,1,0]
	v_pk_fma_f16 v78, v59, v10, v182 op_sel_hi:[1,0,1]
	;; [unrolled: 2-line block ×24, first 2 shown]
	v_pk_fma_f16 v55, v67, v7, v55 op_sel:[0,1,0]
	v_pk_fma_f16 v56, v68, v7, v56 op_sel:[0,1,0]
	;; [unrolled: 1-line block ×4, first 2 shown]
	v_pk_fma_f16 v180, v67, v7, v186 op_sel_hi:[1,0,1]
	v_pk_fma_f16 v67, v68, v6, v187 op_sel_hi:[1,0,1]
	v_pk_fma_f16 v181, v68, v6, v188 op_sel:[0,1,0]
	v_pk_fma_f16 v182, v68, v7, v189 op_sel_hi:[1,0,1]
	v_pk_fma_f16 v68, v69, v6, v190 op_sel_hi:[1,0,1]
	v_pk_fma_f16 v183, v69, v6, v191 op_sel:[0,1,0]
	;; [unrolled: 3-line block ×3, first 2 shown]
	v_pk_fma_f16 v185, v70, v7, v194 op_sel_hi:[1,0,1]
	v_pk_fma_f16 v61, v70, v7, v61 op_sel:[0,1,0]
	v_pk_fma_f16 v70, v71, v6, v195 op_sel_hi:[1,0,1]
	v_pk_fma_f16 v8, v71, v6, v8 op_sel:[0,1,0]
	;; [unrolled: 2-line block ×4, first 2 shown]
	v_pk_fma_f16 v59, v72, v7, v59 op_sel:[0,1,0]
	v_pk_fma_f16 v63, v73, v6, v63 op_sel_hi:[1,0,1]
	v_pk_fma_f16 v4, v73, v6, v4 op_sel:[0,1,0]
	v_pk_fma_f16 v6, v73, v7, v10 op_sel_hi:[1,0,1]
	v_pk_fma_f16 v10, v74, v107, v60 op_sel:[0,1,0]
	v_pk_fma_f16 v54, v74, v108, v54 op_sel:[0,1,0]
	v_pk_fma_f16 v60, v75, v107, v66 op_sel_hi:[1,0,1]
	v_pk_fma_f16 v55, v75, v108, v55 op_sel:[0,1,0]
	v_pk_fma_f16 v56, v76, v108, v56 op_sel:[0,1,0]
	;; [unrolled: 1-line block ×7, first 2 shown]
	v_pk_fma_f16 v60, v92, v109, v60 op_sel_hi:[1,0,1]
	v_pk_fma_f16 v55, v92, v110, v55 op_sel:[0,1,0]
	v_pk_fma_f16 v56, v93, v110, v56 op_sel:[0,1,0]
	;; [unrolled: 1-line block ×7, first 2 shown]
	v_pk_fma_f16 v60, v100, v111, v60 op_sel_hi:[1,0,1]
	v_pk_fma_f16 v55, v100, v112, v55 op_sel:[0,1,0]
	v_pk_fma_f16 v56, v101, v112, v56 op_sel:[0,1,0]
	;; [unrolled: 1-line block ×4, first 2 shown]
	v_pk_fma_f16 v78, v72, v7, v79 op_sel_hi:[1,0,1]
	v_pk_fma_f16 v7, v74, v107, v11 op_sel_hi:[1,0,1]
	;; [unrolled: 1-line block ×3, first 2 shown]
	v_pk_fma_f16 v64, v75, v107, v179 op_sel:[0,1,0]
	v_pk_fma_f16 v66, v75, v108, v180 op_sel_hi:[1,0,1]
	v_pk_fma_f16 v67, v76, v107, v67 op_sel_hi:[1,0,1]
	v_pk_fma_f16 v72, v76, v107, v181 op_sel:[0,1,0]
	v_pk_fma_f16 v73, v76, v108, v182 op_sel_hi:[1,0,1]
	v_pk_fma_f16 v68, v77, v107, v68 op_sel_hi:[1,0,1]
	v_pk_fma_f16 v74, v77, v107, v183 op_sel:[0,1,0]
	v_pk_fma_f16 v75, v77, v108, v184 op_sel_hi:[1,0,1]
	v_pk_fma_f16 v61, v103, v112, v61 op_sel:[0,1,0]
	v_pk_fma_f16 v58, v104, v112, v58 op_sel:[0,1,0]
	;; [unrolled: 1-line block ×4, first 2 shown]
	v_pk_fma_f16 v60, v116, v113, v60 op_sel_hi:[1,0,1]
	v_pk_fma_f16 v55, v116, v114, v55 op_sel:[0,1,0]
	v_pk_fma_f16 v56, v117, v114, v56 op_sel:[0,1,0]
	;; [unrolled: 1-line block ×3, first 2 shown]
	v_pk_fma_f16 v69, v85, v107, v69 op_sel_hi:[1,0,1]
	v_pk_fma_f16 v70, v86, v107, v70 op_sel_hi:[1,0,1]
	v_pk_fma_f16 v8, v86, v107, v8 op_sel:[0,1,0]
	v_pk_fma_f16 v9, v86, v108, v9 op_sel_hi:[1,0,1]
	v_pk_fma_f16 v71, v87, v107, v71 op_sel:[0,1,0]
	v_pk_fma_f16 v4, v88, v107, v4 op_sel:[0,1,0]
	v_pk_fma_f16 v6, v88, v108, v6 op_sel_hi:[1,0,1]
	v_pk_fma_f16 v5, v88, v108, v5 op_sel:[0,1,0]
	v_pk_fma_f16 v76, v85, v107, v80 op_sel:[0,1,0]
	v_pk_fma_f16 v77, v85, v108, v185 op_sel_hi:[1,0,1]
	v_pk_fma_f16 v7, v91, v109, v7 op_sel_hi:[1,0,1]
	v_pk_fma_f16 v10, v91, v109, v10 op_sel:[0,1,0]
	v_pk_fma_f16 v11, v91, v110, v11 op_sel_hi:[1,0,1]
	v_pk_fma_f16 v64, v92, v109, v64 op_sel:[0,1,0]
	v_pk_fma_f16 v66, v92, v110, v66 op_sel_hi:[1,0,1]
	v_pk_fma_f16 v67, v93, v109, v67 op_sel_hi:[1,0,1]
	v_pk_fma_f16 v72, v93, v109, v72 op_sel:[0,1,0]
	v_pk_fma_f16 v73, v93, v110, v73 op_sel_hi:[1,0,1]
	;; [unrolled: 3-line block ×3, first 2 shown]
	v_pk_fma_f16 v61, v119, v114, v61 op_sel:[0,1,0]
	v_pk_fma_f16 v58, v120, v114, v58 op_sel:[0,1,0]
	;; [unrolled: 1-line block ×4, first 2 shown]
	v_pk_fma_f16 v60, v124, v147, v60 op_sel_hi:[1,0,1]
	v_pk_fma_f16 v55, v124, v148, v55 op_sel:[0,1,0]
	v_pk_fma_f16 v56, v125, v148, v56 op_sel:[0,1,0]
	;; [unrolled: 1-line block ×3, first 2 shown]
	v_pk_fma_f16 v69, v95, v109, v69 op_sel_hi:[1,0,1]
	v_pk_fma_f16 v70, v96, v109, v70 op_sel_hi:[1,0,1]
	v_pk_fma_f16 v8, v96, v109, v8 op_sel:[0,1,0]
	v_pk_fma_f16 v9, v96, v110, v9 op_sel_hi:[1,0,1]
	v_pk_fma_f16 v71, v97, v109, v71 op_sel:[0,1,0]
	v_pk_fma_f16 v4, v98, v109, v4 op_sel:[0,1,0]
	v_pk_fma_f16 v6, v98, v110, v6 op_sel_hi:[1,0,1]
	v_pk_fma_f16 v5, v98, v110, v5 op_sel:[0,1,0]
	v_pk_fma_f16 v76, v95, v109, v76 op_sel:[0,1,0]
	v_pk_fma_f16 v77, v95, v110, v77 op_sel_hi:[1,0,1]
	v_pk_fma_f16 v7, v99, v111, v7 op_sel_hi:[1,0,1]
	v_pk_fma_f16 v10, v99, v111, v10 op_sel:[0,1,0]
	v_pk_fma_f16 v11, v99, v112, v11 op_sel_hi:[1,0,1]
	v_pk_fma_f16 v64, v100, v111, v64 op_sel:[0,1,0]
	v_pk_fma_f16 v66, v100, v112, v66 op_sel_hi:[1,0,1]
	v_pk_fma_f16 v67, v101, v111, v67 op_sel_hi:[1,0,1]
	v_pk_fma_f16 v72, v101, v111, v72 op_sel:[0,1,0]
	v_pk_fma_f16 v73, v101, v112, v73 op_sel_hi:[1,0,1]
	;; [unrolled: 3-line block ×3, first 2 shown]
	v_pk_fma_f16 v61, v127, v148, v61 op_sel:[0,1,0]
	v_pk_fma_f16 v58, v128, v148, v58 op_sel:[0,1,0]
	;; [unrolled: 1-line block ×4, first 2 shown]
	v_pk_fma_f16 v60, v132, v149, v60 op_sel_hi:[1,0,1]
	v_pk_fma_f16 v55, v132, v150, v55 op_sel:[0,1,0]
	v_pk_fma_f16 v56, v133, v150, v56 op_sel:[0,1,0]
	;; [unrolled: 1-line block ×3, first 2 shown]
	v_pk_fma_f16 v69, v103, v111, v69 op_sel_hi:[1,0,1]
	v_pk_fma_f16 v70, v104, v111, v70 op_sel_hi:[1,0,1]
	v_pk_fma_f16 v8, v104, v111, v8 op_sel:[0,1,0]
	v_pk_fma_f16 v9, v104, v112, v9 op_sel_hi:[1,0,1]
	v_pk_fma_f16 v71, v105, v111, v71 op_sel:[0,1,0]
	v_pk_fma_f16 v4, v106, v111, v4 op_sel:[0,1,0]
	v_pk_fma_f16 v6, v106, v112, v6 op_sel_hi:[1,0,1]
	v_pk_fma_f16 v5, v106, v112, v5 op_sel:[0,1,0]
	v_pk_fma_f16 v62, v87, v107, v62 op_sel_hi:[1,0,1]
	v_pk_fma_f16 v78, v87, v108, v78 op_sel_hi:[1,0,1]
	;; [unrolled: 1-line block ×3, first 2 shown]
	v_pk_fma_f16 v76, v103, v111, v76 op_sel:[0,1,0]
	v_pk_fma_f16 v77, v103, v112, v77 op_sel_hi:[1,0,1]
	v_pk_fma_f16 v7, v115, v113, v7 op_sel_hi:[1,0,1]
	v_pk_fma_f16 v10, v115, v113, v10 op_sel:[0,1,0]
	v_pk_fma_f16 v11, v115, v114, v11 op_sel_hi:[1,0,1]
	v_pk_fma_f16 v64, v116, v113, v64 op_sel:[0,1,0]
	v_pk_fma_f16 v66, v116, v114, v66 op_sel_hi:[1,0,1]
	v_pk_fma_f16 v67, v117, v113, v67 op_sel_hi:[1,0,1]
	v_pk_fma_f16 v72, v117, v113, v72 op_sel:[0,1,0]
	v_pk_fma_f16 v73, v117, v114, v73 op_sel_hi:[1,0,1]
	;; [unrolled: 3-line block ×3, first 2 shown]
	v_pk_fma_f16 v61, v135, v150, v61 op_sel:[0,1,0]
	v_pk_fma_f16 v58, v136, v150, v58 op_sel:[0,1,0]
	;; [unrolled: 1-line block ×4, first 2 shown]
	v_pk_fma_f16 v60, v140, v151, v60 op_sel_hi:[1,0,1]
	v_pk_fma_f16 v55, v140, v152, v55 op_sel:[0,1,0]
	v_pk_fma_f16 v56, v141, v152, v56 op_sel:[0,1,0]
	;; [unrolled: 1-line block ×3, first 2 shown]
	v_pk_fma_f16 v69, v119, v113, v69 op_sel_hi:[1,0,1]
	v_pk_fma_f16 v70, v120, v113, v70 op_sel_hi:[1,0,1]
	v_pk_fma_f16 v8, v120, v113, v8 op_sel:[0,1,0]
	v_pk_fma_f16 v9, v120, v114, v9 op_sel_hi:[1,0,1]
	v_pk_fma_f16 v71, v121, v113, v71 op_sel:[0,1,0]
	v_pk_fma_f16 v4, v122, v113, v4 op_sel:[0,1,0]
	v_pk_fma_f16 v6, v122, v114, v6 op_sel_hi:[1,0,1]
	v_pk_fma_f16 v5, v122, v114, v5 op_sel:[0,1,0]
	v_pk_fma_f16 v62, v97, v109, v62 op_sel_hi:[1,0,1]
	v_pk_fma_f16 v78, v97, v110, v78 op_sel_hi:[1,0,1]
	;; [unrolled: 1-line block ×3, first 2 shown]
	v_pk_fma_f16 v76, v119, v113, v76 op_sel:[0,1,0]
	v_pk_fma_f16 v77, v119, v114, v77 op_sel_hi:[1,0,1]
	v_pk_fma_f16 v7, v123, v147, v7 op_sel_hi:[1,0,1]
	v_pk_fma_f16 v10, v123, v147, v10 op_sel:[0,1,0]
	v_pk_fma_f16 v11, v123, v148, v11 op_sel_hi:[1,0,1]
	v_pk_fma_f16 v64, v124, v147, v64 op_sel:[0,1,0]
	v_pk_fma_f16 v66, v124, v148, v66 op_sel_hi:[1,0,1]
	v_pk_fma_f16 v67, v125, v147, v67 op_sel_hi:[1,0,1]
	v_pk_fma_f16 v72, v125, v147, v72 op_sel:[0,1,0]
	v_pk_fma_f16 v73, v125, v148, v73 op_sel_hi:[1,0,1]
	v_pk_fma_f16 v68, v126, v147, v68 op_sel_hi:[1,0,1]
	v_pk_fma_f16 v74, v126, v147, v74 op_sel:[0,1,0]
	v_pk_fma_f16 v75, v126, v148, v75 op_sel_hi:[1,0,1]
	v_pk_fma_f16 v79, v143, v152, v61 op_sel:[0,1,0]
	v_pk_fma_f16 v80, v144, v152, v58 op_sel:[0,1,0]
	;; [unrolled: 1-line block ×4, first 2 shown]
	v_pk_fma_f16 v92, v156, v153, v60 op_sel_hi:[1,0,1]
	v_pk_fma_f16 v94, v156, v154, v55 op_sel:[0,1,0]
	v_pk_fma_f16 v98, v157, v154, v56 op_sel:[0,1,0]
	;; [unrolled: 1-line block ×3, first 2 shown]
	s_waitcnt vmcnt(3)
	ds_store_b128 v43, v[163:166]
	s_waitcnt vmcnt(2)
	ds_store_b128 v44, v[167:170]
	;; [unrolled: 2-line block ×4, first 2 shown]
	s_waitcnt lgkmcnt(0)
	s_barrier
	buffer_gl0_inv
	ds_load_2addr_b64 v[54:57], v90 offset1:32
	ds_load_b128 v[58:61], v42 offset:128
	v_pk_fma_f16 v69, v127, v147, v69 op_sel_hi:[1,0,1]
	v_pk_fma_f16 v70, v128, v147, v70 op_sel_hi:[1,0,1]
	v_pk_fma_f16 v8, v128, v147, v8 op_sel:[0,1,0]
	v_pk_fma_f16 v9, v128, v148, v9 op_sel_hi:[1,0,1]
	v_pk_fma_f16 v71, v129, v147, v71 op_sel:[0,1,0]
	v_pk_fma_f16 v4, v130, v147, v4 op_sel:[0,1,0]
	v_pk_fma_f16 v6, v130, v148, v6 op_sel_hi:[1,0,1]
	v_pk_fma_f16 v5, v130, v148, v5 op_sel:[0,1,0]
	v_pk_fma_f16 v62, v105, v111, v62 op_sel_hi:[1,0,1]
	v_pk_fma_f16 v78, v105, v112, v78 op_sel_hi:[1,0,1]
	v_pk_fma_f16 v63, v106, v111, v63 op_sel_hi:[1,0,1]
	v_pk_fma_f16 v76, v127, v147, v76 op_sel:[0,1,0]
	v_pk_fma_f16 v77, v127, v148, v77 op_sel_hi:[1,0,1]
	v_pk_fma_f16 v7, v131, v149, v7 op_sel_hi:[1,0,1]
	v_pk_fma_f16 v10, v131, v149, v10 op_sel:[0,1,0]
	v_pk_fma_f16 v11, v131, v150, v11 op_sel_hi:[1,0,1]
	v_pk_fma_f16 v64, v132, v149, v64 op_sel:[0,1,0]
	v_pk_fma_f16 v66, v132, v150, v66 op_sel_hi:[1,0,1]
	v_pk_fma_f16 v67, v133, v149, v67 op_sel_hi:[1,0,1]
	v_pk_fma_f16 v72, v133, v149, v72 op_sel:[0,1,0]
	v_pk_fma_f16 v73, v133, v150, v73 op_sel_hi:[1,0,1]
	v_pk_fma_f16 v68, v134, v149, v68 op_sel_hi:[1,0,1]
	v_pk_fma_f16 v74, v134, v149, v74 op_sel:[0,1,0]
	v_pk_fma_f16 v75, v134, v150, v75 op_sel_hi:[1,0,1]
	v_pk_fma_f16 v69, v135, v149, v69 op_sel_hi:[1,0,1]
	v_pk_fma_f16 v70, v136, v149, v70 op_sel_hi:[1,0,1]
	v_pk_fma_f16 v8, v136, v149, v8 op_sel:[0,1,0]
	v_pk_fma_f16 v9, v136, v150, v9 op_sel_hi:[1,0,1]
	v_pk_fma_f16 v71, v137, v149, v71 op_sel:[0,1,0]
	v_pk_fma_f16 v4, v138, v149, v4 op_sel:[0,1,0]
	v_pk_fma_f16 v6, v138, v150, v6 op_sel_hi:[1,0,1]
	v_pk_fma_f16 v5, v138, v150, v5 op_sel:[0,1,0]
	v_pk_fma_f16 v62, v121, v113, v62 op_sel_hi:[1,0,1]
	v_pk_fma_f16 v78, v121, v114, v78 op_sel_hi:[1,0,1]
	v_pk_fma_f16 v63, v122, v113, v63 op_sel_hi:[1,0,1]
	v_pk_fma_f16 v76, v135, v149, v76 op_sel:[0,1,0]
	v_pk_fma_f16 v77, v135, v150, v77 op_sel_hi:[1,0,1]
	v_pk_fma_f16 v7, v139, v151, v7 op_sel_hi:[1,0,1]
	v_pk_fma_f16 v10, v139, v151, v10 op_sel:[0,1,0]
	v_pk_fma_f16 v11, v139, v152, v11 op_sel_hi:[1,0,1]
	v_pk_fma_f16 v64, v140, v151, v64 op_sel:[0,1,0]
	v_pk_fma_f16 v66, v140, v152, v66 op_sel_hi:[1,0,1]
	v_pk_fma_f16 v67, v141, v151, v67 op_sel_hi:[1,0,1]
	v_pk_fma_f16 v72, v141, v151, v72 op_sel:[0,1,0]
	v_pk_fma_f16 v73, v141, v152, v73 op_sel_hi:[1,0,1]
	v_pk_fma_f16 v68, v142, v151, v68 op_sel_hi:[1,0,1]
	v_pk_fma_f16 v74, v142, v151, v74 op_sel:[0,1,0]
	v_pk_fma_f16 v75, v142, v152, v75 op_sel_hi:[1,0,1]
	;; [unrolled: 24-line block ×3, first 2 shown]
	v_pk_fma_f16 v102, v159, v153, v69 op_sel_hi:[1,0,1]
	v_pk_fma_f16 v105, v160, v153, v70 op_sel_hi:[1,0,1]
	v_pk_fma_f16 v106, v160, v153, v8 op_sel:[0,1,0]
	v_pk_fma_f16 v107, v160, v154, v9 op_sel_hi:[1,0,1]
	v_pk_fma_f16 v108, v161, v153, v71 op_sel:[0,1,0]
	v_pk_fma_f16 v109, v162, v153, v4 op_sel:[0,1,0]
	v_pk_fma_f16 v110, v162, v154, v6 op_sel_hi:[1,0,1]
	v_pk_fma_f16 v111, v162, v154, v5 op_sel:[0,1,0]
	ds_load_2addr_b64 v[66:69], v90 offset0:64 offset1:96
	ds_load_b128 v[70:73], v42 offset:144
	ds_load_b128 v[8:11], v42 offset:160
	;; [unrolled: 1-line block ×3, first 2 shown]
	v_pk_fma_f16 v62, v137, v149, v62 op_sel_hi:[1,0,1]
	v_pk_fma_f16 v78, v137, v150, v78 op_sel_hi:[1,0,1]
	;; [unrolled: 1-line block ×3, first 2 shown]
	v_pk_fma_f16 v103, v159, v153, v76 op_sel:[0,1,0]
	v_pk_fma_f16 v104, v159, v154, v77 op_sel_hi:[1,0,1]
	s_waitcnt lgkmcnt(4)
	v_pk_fma_f16 v86, v54, v58, v86 op_sel_hi:[1,0,1]
	v_pk_fma_f16 v87, v54, v58, v87 op_sel:[0,1,0]
	v_pk_fma_f16 v88, v54, v59, v88 op_sel_hi:[1,0,1]
	v_pk_fma_f16 v91, v54, v59, v91 op_sel:[0,1,0]
	;; [unrolled: 2-line block ×7, first 2 shown]
	ds_load_2addr_b64 v[74:77], v90 offset0:128 offset1:160
	v_pk_fma_f16 v100, v57, v59, v100 op_sel_hi:[1,0,1]
	v_pk_fma_f16 v101, v57, v59, v101 op_sel:[0,1,0]
	ds_load_2addr_b64 v[54:57], v90 offset0:192 offset1:224
	v_pk_fma_f16 v62, v145, v151, v62 op_sel_hi:[1,0,1]
	v_pk_fma_f16 v78, v145, v152, v78 op_sel_hi:[1,0,1]
	;; [unrolled: 1-line block ×3, first 2 shown]
	v_pk_fma_f16 v79, v159, v154, v79 op_sel:[0,1,0]
	v_pk_fma_f16 v80, v160, v154, v80 op_sel:[0,1,0]
	v_pk_fma_f16 v62, v161, v153, v62 op_sel_hi:[1,0,1]
	v_pk_fma_f16 v78, v161, v154, v78 op_sel_hi:[1,0,1]
	v_pk_fma_f16 v85, v161, v154, v85 op_sel:[0,1,0]
	v_pk_fma_f16 v63, v162, v153, v63 op_sel_hi:[1,0,1]
	s_waitcnt lgkmcnt(5)
	v_pk_fma_f16 v102, v66, v58, v102 op_sel_hi:[1,0,1]
	v_pk_fma_f16 v103, v66, v58, v103 op_sel:[0,1,0]
	v_pk_fma_f16 v104, v66, v59, v104 op_sel_hi:[1,0,1]
	v_pk_fma_f16 v79, v66, v59, v79 op_sel:[0,1,0]
	;; [unrolled: 2-line block ×8, first 2 shown]
	ds_load_2addr_b64 v[66:69], v89 offset1:32
	s_waitcnt lgkmcnt(2)
	v_pk_fma_f16 v86, v74, v60, v86 op_sel_hi:[1,0,1]
	v_pk_fma_f16 v87, v74, v60, v87 op_sel:[0,1,0]
	v_pk_fma_f16 v88, v74, v61, v88 op_sel_hi:[1,0,1]
	v_pk_fma_f16 v91, v74, v61, v91 op_sel:[0,1,0]
	;; [unrolled: 2-line block ×8, first 2 shown]
	s_waitcnt lgkmcnt(1)
	v_pk_fma_f16 v102, v54, v60, v102 op_sel_hi:[1,0,1]
	v_pk_fma_f16 v103, v54, v60, v103 op_sel:[0,1,0]
	v_pk_fma_f16 v104, v54, v61, v104 op_sel_hi:[1,0,1]
	v_pk_fma_f16 v79, v54, v61, v79 op_sel:[0,1,0]
	;; [unrolled: 2-line block ×7, first 2 shown]
	ds_load_2addr_b64 v[74:77], v89 offset0:64 offset1:96
	v_pk_fma_f16 v109, v57, v61, v109 op_sel_hi:[1,0,1]
	v_pk_fma_f16 v111, v57, v61, v59 op_sel:[0,1,0]
	ds_load_2addr_b64 v[54:57], v89 offset0:128 offset1:160
	s_waitcnt lgkmcnt(2)
	v_pk_fma_f16 v86, v66, v70, v86 op_sel_hi:[1,0,1]
	v_pk_fma_f16 v87, v66, v70, v87 op_sel:[0,1,0]
	v_pk_fma_f16 v88, v66, v71, v88 op_sel_hi:[1,0,1]
	v_pk_fma_f16 v66, v66, v71, v91 op_sel:[0,1,0]
	;; [unrolled: 2-line block ×8, first 2 shown]
	s_waitcnt lgkmcnt(1)
	v_pk_fma_f16 v100, v74, v70, v102 op_sel_hi:[1,0,1]
	v_pk_fma_f16 v101, v74, v70, v103 op_sel:[0,1,0]
	v_pk_fma_f16 v102, v74, v71, v104 op_sel_hi:[1,0,1]
	v_pk_fma_f16 v74, v74, v71, v79 op_sel:[0,1,0]
	;; [unrolled: 2-line block ×7, first 2 shown]
	ds_load_2addr_b64 v[58:61], v89 offset0:192 offset1:224
	v_pk_fma_f16 v85, v77, v71, v109 op_sel_hi:[1,0,1]
	v_pk_fma_f16 v71, v77, v71, v111 op_sel:[0,1,0]
	s_waitcnt lgkmcnt(1)
	v_pk_fma_f16 v77, v54, v72, v86 op_sel_hi:[1,0,1]
	v_pk_fma_f16 v86, v54, v72, v87 op_sel:[0,1,0]
	v_pk_fma_f16 v87, v54, v73, v88 op_sel_hi:[1,0,1]
	v_pk_fma_f16 v88, v54, v73, v66 op_sel:[0,1,0]
	v_pk_fma_f16 v105, v55, v73, v67 op_sel:[0,1,0]
	;; [unrolled: 1-line block ×3, first 2 shown]
	ds_load_2addr_b64 v[66:69], v52 offset1:32
	v_pk_fma_f16 v91, v55, v72, v91 op_sel_hi:[1,0,1]
	v_pk_fma_f16 v64, v55, v72, v64 op_sel:[0,1,0]
	v_pk_fma_f16 v92, v55, v73, v92 op_sel_hi:[1,0,1]
	v_pk_fma_f16 v93, v56, v72, v93 op_sel_hi:[1,0,1]
	v_pk_fma_f16 v94, v56, v72, v94 op_sel:[0,1,0]
	v_pk_fma_f16 v95, v56, v73, v95 op_sel_hi:[1,0,1]
	;; [unrolled: 3-line block ×3, first 2 shown]
	v_pk_fma_f16 v99, v57, v73, v99 op_sel:[0,1,0]
	ds_load_2addr_b64 v[54:57], v52 offset0:64 offset1:96
	s_or_b32 s8, s3, 32
	s_waitcnt lgkmcnt(2)
	v_pk_fma_f16 v100, v58, v72, v100 op_sel_hi:[1,0,1]
	v_pk_fma_f16 v101, v58, v72, v101 op_sel:[0,1,0]
	v_pk_fma_f16 v102, v58, v73, v102 op_sel_hi:[1,0,1]
	v_pk_fma_f16 v74, v58, v73, v74 op_sel:[0,1,0]
	;; [unrolled: 2-line block ×8, first 2 shown]
	s_waitcnt lgkmcnt(1)
	v_pk_fma_f16 v73, v66, v8, v77 op_sel_hi:[1,0,1]
	v_pk_fma_f16 v77, v66, v8, v86 op_sel:[0,1,0]
	v_pk_fma_f16 v85, v66, v9, v87 op_sel_hi:[1,0,1]
	v_pk_fma_f16 v86, v66, v9, v88 op_sel:[0,1,0]
	;; [unrolled: 2-line block ×7, first 2 shown]
	ds_load_2addr_b64 v[58:61], v52 offset0:128 offset1:160
	v_pk_fma_f16 v98, v69, v9, v98 op_sel_hi:[1,0,1]
	v_pk_fma_f16 v99, v69, v9, v99 op_sel:[0,1,0]
	ds_load_2addr_b64 v[66:69], v52 offset0:192 offset1:224
	s_mul_hi_i32 s19, s8, s10
	s_mul_i32 s18, s8, s10
	s_waitcnt lgkmcnt(2)
	v_pk_fma_f16 v100, v54, v8, v100 op_sel_hi:[1,0,1]
	s_lshl_b64 s[18:19], s[18:19], 2
	v_pk_fma_f16 v101, v54, v8, v101 op_sel:[0,1,0]
	s_add_u32 s8, s11, s18
	v_pk_fma_f16 v102, v54, v9, v102 op_sel_hi:[1,0,1]
	v_pk_fma_f16 v54, v54, v9, v74 op_sel:[0,1,0]
	v_pk_fma_f16 v74, v55, v8, v79 op_sel_hi:[1,0,1]
	v_pk_fma_f16 v79, v55, v8, v103 op_sel:[0,1,0]
	;; [unrolled: 2-line block ×4, first 2 shown]
	s_addc_u32 s18, s17, s19
	v_add_co_u32 v8, vcc_lo, s8, v27
	v_pk_fma_f16 v183, v55, v9, v104 op_sel_hi:[1,0,1]
	v_pk_fma_f16 v184, v55, v9, v75 op_sel:[0,1,0]
	v_pk_fma_f16 v78, v56, v9, v78 op_sel_hi:[1,0,1]
	v_pk_fma_f16 v186, v56, v9, v76 op_sel:[0,1,0]
	;; [unrolled: 2-line block ×3, first 2 shown]
	v_add_co_ci_u32_e32 v9, vcc_lo, s18, v28, vcc_lo
	v_add_co_u32 v62, vcc_lo, s8, v29
	v_add_co_ci_u32_e32 v63, vcc_lo, s18, v30, vcc_lo
	v_add_co_u32 v8, vcc_lo, v8, v39
	s_delay_alu instid0(VALU_DEP_4) | instskip(NEXT) | instid1(VALU_DEP_4)
	v_add_co_ci_u32_e32 v9, vcc_lo, 0, v9, vcc_lo
	v_add_co_u32 v62, vcc_lo, v62, v39
	s_delay_alu instid0(VALU_DEP_4)
	v_add_co_ci_u32_e32 v63, vcc_lo, 0, v63, vcc_lo
	s_waitcnt lgkmcnt(1)
	v_pk_fma_f16 v191, v58, v10, v73 op_sel_hi:[1,0,1]
	v_pk_fma_f16 v192, v58, v10, v77 op_sel:[0,1,0]
	v_pk_fma_f16 v193, v58, v11, v85 op_sel_hi:[1,0,1]
	v_pk_fma_f16 v194, v58, v11, v86 op_sel:[0,1,0]
	;; [unrolled: 2-line block ×8, first 2 shown]
	s_waitcnt lgkmcnt(0)
	v_pk_fma_f16 v206, v66, v10, v100 op_sel_hi:[1,0,1]
	v_pk_fma_f16 v207, v66, v10, v101 op_sel:[0,1,0]
	v_pk_fma_f16 v208, v66, v11, v102 op_sel_hi:[1,0,1]
	v_pk_fma_f16 v66, v66, v11, v54 op_sel:[0,1,0]
	v_pk_fma_f16 v209, v67, v10, v74 op_sel_hi:[1,0,1]
	ds_load_2addr_b64 v[54:57], v53 offset1:32
	ds_load_2addr_b64 v[58:61], v53 offset0:64 offset1:96
	ds_load_2addr_b64 v[70:73], v53 offset0:128 offset1:160
	;; [unrolled: 1-line block ×3, first 2 shown]
	ds_load_2addr_b64 v[85:88], v51 offset1:32
	ds_load_2addr_b64 v[91:94], v51 offset0:64 offset1:96
	ds_load_2addr_b64 v[95:98], v51 offset0:128 offset1:160
	;; [unrolled: 1-line block ×3, first 2 shown]
	ds_load_2addr_b64 v[103:106], v50 offset1:32
	ds_load_2addr_b64 v[107:110], v50 offset0:64 offset1:96
	ds_load_b128 v[111:114], v42 offset:192
	ds_load_b128 v[115:118], v42 offset:208
	ds_load_2addr_b64 v[119:122], v50 offset0:128 offset1:160
	ds_load_2addr_b64 v[123:126], v50 offset0:192 offset1:224
	ds_load_2addr_b64 v[127:130], v49 offset1:32
	ds_load_2addr_b64 v[131:134], v49 offset0:64 offset1:96
	ds_load_2addr_b64 v[135:138], v49 offset0:128 offset1:160
	;; [unrolled: 1-line block ×3, first 2 shown]
	ds_load_2addr_b64 v[143:146], v48 offset1:32
	ds_load_2addr_b64 v[147:150], v48 offset0:64 offset1:96
	ds_load_b128 v[151:154], v42 offset:224
	ds_load_b128 v[155:158], v42 offset:240
	ds_load_2addr_b64 v[159:162], v48 offset0:128 offset1:160
	ds_load_2addr_b64 v[163:166], v48 offset0:192 offset1:224
	s_waitcnt lgkmcnt(0)
	s_barrier
	buffer_gl0_inv
	s_clause 0x3
	global_load_b128 v[167:170], v[8:9], off
	global_load_b128 v[171:174], v[8:9], off offset:512
	global_load_b128 v[175:178], v[62:63], off
	global_load_b128 v[179:182], v[62:63], off offset:512
	v_pk_fma_f16 v8, v67, v10, v79 op_sel:[0,1,0]
	v_pk_fma_f16 v9, v67, v11, v183 op_sel_hi:[1,0,1]
	v_pk_fma_f16 v62, v67, v11, v184 op_sel:[0,1,0]
	v_pk_fma_f16 v63, v68, v10, v185 op_sel_hi:[1,0,1]
	;; [unrolled: 2-line block ×24, first 2 shown]
	v_pk_fma_f16 v55, v71, v7, v55 op_sel:[0,1,0]
	v_pk_fma_f16 v56, v72, v7, v56 op_sel:[0,1,0]
	;; [unrolled: 1-line block ×4, first 2 shown]
	v_pk_fma_f16 v78, v71, v7, v186 op_sel_hi:[1,0,1]
	v_pk_fma_f16 v71, v72, v6, v187 op_sel_hi:[1,0,1]
	v_pk_fma_f16 v79, v72, v6, v188 op_sel:[0,1,0]
	v_pk_fma_f16 v80, v72, v7, v189 op_sel_hi:[1,0,1]
	v_pk_fma_f16 v72, v73, v6, v190 op_sel_hi:[1,0,1]
	v_pk_fma_f16 v183, v73, v6, v191 op_sel:[0,1,0]
	;; [unrolled: 3-line block ×3, first 2 shown]
	v_pk_fma_f16 v58, v74, v7, v58 op_sel:[0,1,0]
	v_pk_fma_f16 v66, v75, v6, v66 op_sel_hi:[1,0,1]
	v_pk_fma_f16 v8, v75, v6, v8 op_sel:[0,1,0]
	v_pk_fma_f16 v59, v75, v7, v59 op_sel:[0,1,0]
	v_pk_fma_f16 v62, v76, v6, v62 op_sel_hi:[1,0,1]
	v_pk_fma_f16 v63, v76, v6, v63 op_sel:[0,1,0]
	;; [unrolled: 3-line block ×3, first 2 shown]
	v_pk_fma_f16 v6, v77, v7, v10 op_sel_hi:[1,0,1]
	v_pk_fma_f16 v10, v85, v111, v61 op_sel:[0,1,0]
	v_pk_fma_f16 v54, v85, v112, v54 op_sel:[0,1,0]
	v_pk_fma_f16 v61, v86, v111, v70 op_sel_hi:[1,0,1]
	v_pk_fma_f16 v55, v86, v112, v55 op_sel:[0,1,0]
	v_pk_fma_f16 v56, v87, v112, v56 op_sel:[0,1,0]
	;; [unrolled: 1-line block ×7, first 2 shown]
	v_pk_fma_f16 v61, v96, v113, v61 op_sel_hi:[1,0,1]
	v_pk_fma_f16 v55, v96, v114, v55 op_sel:[0,1,0]
	v_pk_fma_f16 v56, v97, v114, v56 op_sel:[0,1,0]
	;; [unrolled: 1-line block ×7, first 2 shown]
	v_pk_fma_f16 v61, v104, v115, v61 op_sel_hi:[1,0,1]
	v_pk_fma_f16 v55, v104, v116, v55 op_sel:[0,1,0]
	v_pk_fma_f16 v56, v105, v116, v56 op_sel:[0,1,0]
	;; [unrolled: 1-line block ×3, first 2 shown]
	v_pk_fma_f16 v9, v75, v7, v9 op_sel_hi:[1,0,1]
	v_pk_fma_f16 v67, v76, v7, v67 op_sel_hi:[1,0,1]
	v_pk_fma_f16 v5, v77, v7, v5 op_sel:[0,1,0]
	v_pk_fma_f16 v186, v74, v7, v195 op_sel_hi:[1,0,1]
	v_pk_fma_f16 v7, v85, v111, v11 op_sel_hi:[1,0,1]
	;; [unrolled: 1-line block ×3, first 2 shown]
	v_pk_fma_f16 v64, v86, v111, v64 op_sel:[0,1,0]
	v_pk_fma_f16 v69, v86, v112, v78 op_sel_hi:[1,0,1]
	v_pk_fma_f16 v70, v87, v111, v71 op_sel_hi:[1,0,1]
	v_pk_fma_f16 v71, v87, v111, v79 op_sel:[0,1,0]
	v_pk_fma_f16 v74, v87, v112, v80 op_sel_hi:[1,0,1]
	v_pk_fma_f16 v72, v88, v111, v72 op_sel_hi:[1,0,1]
	v_pk_fma_f16 v75, v88, v111, v183 op_sel:[0,1,0]
	v_pk_fma_f16 v76, v88, v112, v184 op_sel_hi:[1,0,1]
	v_pk_fma_f16 v58, v107, v116, v58 op_sel:[0,1,0]
	v_pk_fma_f16 v59, v108, v116, v59 op_sel:[0,1,0]
	v_pk_fma_f16 v60, v109, v116, v60 op_sel:[0,1,0]
	v_pk_fma_f16 v54, v119, v118, v54 op_sel:[0,1,0]
	v_pk_fma_f16 v61, v120, v117, v61 op_sel_hi:[1,0,1]
	v_pk_fma_f16 v55, v120, v118, v55 op_sel:[0,1,0]
	v_pk_fma_f16 v56, v121, v118, v56 op_sel:[0,1,0]
	;; [unrolled: 1-line block ×3, first 2 shown]
	v_pk_fma_f16 v73, v91, v111, v73 op_sel_hi:[1,0,1]
	v_pk_fma_f16 v66, v92, v111, v66 op_sel_hi:[1,0,1]
	v_pk_fma_f16 v8, v92, v111, v8 op_sel:[0,1,0]
	v_pk_fma_f16 v9, v92, v112, v9 op_sel_hi:[1,0,1]
	v_pk_fma_f16 v67, v93, v112, v67 op_sel_hi:[1,0,1]
	;; [unrolled: 1-line block ×3, first 2 shown]
	v_pk_fma_f16 v4, v94, v111, v4 op_sel:[0,1,0]
	v_pk_fma_f16 v6, v94, v112, v6 op_sel_hi:[1,0,1]
	v_pk_fma_f16 v5, v94, v112, v5 op_sel:[0,1,0]
	v_pk_fma_f16 v77, v91, v111, v185 op_sel:[0,1,0]
	v_pk_fma_f16 v7, v95, v113, v7 op_sel_hi:[1,0,1]
	v_pk_fma_f16 v10, v95, v113, v10 op_sel:[0,1,0]
	v_pk_fma_f16 v11, v95, v114, v11 op_sel_hi:[1,0,1]
	;; [unrolled: 2-line block ×3, first 2 shown]
	v_pk_fma_f16 v70, v97, v113, v70 op_sel_hi:[1,0,1]
	v_pk_fma_f16 v71, v97, v113, v71 op_sel:[0,1,0]
	v_pk_fma_f16 v74, v97, v114, v74 op_sel_hi:[1,0,1]
	v_pk_fma_f16 v72, v98, v113, v72 op_sel_hi:[1,0,1]
	v_pk_fma_f16 v75, v98, v113, v75 op_sel:[0,1,0]
	v_pk_fma_f16 v76, v98, v114, v76 op_sel_hi:[1,0,1]
	v_pk_fma_f16 v58, v123, v118, v58 op_sel:[0,1,0]
	v_pk_fma_f16 v59, v124, v118, v59 op_sel:[0,1,0]
	;; [unrolled: 1-line block ×4, first 2 shown]
	v_pk_fma_f16 v61, v128, v151, v61 op_sel_hi:[1,0,1]
	v_pk_fma_f16 v55, v128, v152, v55 op_sel:[0,1,0]
	v_pk_fma_f16 v56, v129, v152, v56 op_sel:[0,1,0]
	;; [unrolled: 1-line block ×3, first 2 shown]
	v_pk_fma_f16 v73, v99, v113, v73 op_sel_hi:[1,0,1]
	v_pk_fma_f16 v66, v100, v113, v66 op_sel_hi:[1,0,1]
	v_pk_fma_f16 v8, v100, v113, v8 op_sel:[0,1,0]
	v_pk_fma_f16 v9, v100, v114, v9 op_sel_hi:[1,0,1]
	v_pk_fma_f16 v67, v101, v114, v67 op_sel_hi:[1,0,1]
	;; [unrolled: 1-line block ×3, first 2 shown]
	v_pk_fma_f16 v4, v102, v113, v4 op_sel:[0,1,0]
	v_pk_fma_f16 v6, v102, v114, v6 op_sel_hi:[1,0,1]
	v_pk_fma_f16 v5, v102, v114, v5 op_sel:[0,1,0]
	v_pk_fma_f16 v77, v99, v113, v77 op_sel:[0,1,0]
	v_pk_fma_f16 v7, v103, v115, v7 op_sel_hi:[1,0,1]
	v_pk_fma_f16 v10, v103, v115, v10 op_sel:[0,1,0]
	v_pk_fma_f16 v11, v103, v116, v11 op_sel_hi:[1,0,1]
	;; [unrolled: 2-line block ×3, first 2 shown]
	v_pk_fma_f16 v70, v105, v115, v70 op_sel_hi:[1,0,1]
	v_pk_fma_f16 v71, v105, v115, v71 op_sel:[0,1,0]
	v_pk_fma_f16 v74, v105, v116, v74 op_sel_hi:[1,0,1]
	v_pk_fma_f16 v72, v106, v115, v72 op_sel_hi:[1,0,1]
	v_pk_fma_f16 v75, v106, v115, v75 op_sel:[0,1,0]
	v_pk_fma_f16 v76, v106, v116, v76 op_sel_hi:[1,0,1]
	v_pk_fma_f16 v58, v131, v152, v58 op_sel:[0,1,0]
	v_pk_fma_f16 v59, v132, v152, v59 op_sel:[0,1,0]
	;; [unrolled: 1-line block ×4, first 2 shown]
	v_pk_fma_f16 v61, v136, v153, v61 op_sel_hi:[1,0,1]
	v_pk_fma_f16 v55, v136, v154, v55 op_sel:[0,1,0]
	v_pk_fma_f16 v56, v137, v154, v56 op_sel:[0,1,0]
	;; [unrolled: 1-line block ×3, first 2 shown]
	v_pk_fma_f16 v73, v107, v115, v73 op_sel_hi:[1,0,1]
	v_pk_fma_f16 v66, v108, v115, v66 op_sel_hi:[1,0,1]
	v_pk_fma_f16 v8, v108, v115, v8 op_sel:[0,1,0]
	v_pk_fma_f16 v9, v108, v116, v9 op_sel_hi:[1,0,1]
	v_pk_fma_f16 v67, v109, v116, v67 op_sel_hi:[1,0,1]
	v_pk_fma_f16 v68, v110, v115, v68 op_sel_hi:[1,0,1]
	v_pk_fma_f16 v4, v110, v115, v4 op_sel:[0,1,0]
	v_pk_fma_f16 v6, v110, v116, v6 op_sel_hi:[1,0,1]
	v_pk_fma_f16 v5, v110, v116, v5 op_sel:[0,1,0]
	v_pk_fma_f16 v78, v91, v112, v186 op_sel_hi:[1,0,1]
	v_pk_fma_f16 v62, v93, v111, v62 op_sel_hi:[1,0,1]
	v_pk_fma_f16 v63, v93, v111, v63 op_sel:[0,1,0]
	v_pk_fma_f16 v77, v107, v115, v77 op_sel:[0,1,0]
	v_pk_fma_f16 v7, v119, v117, v7 op_sel_hi:[1,0,1]
	v_pk_fma_f16 v10, v119, v117, v10 op_sel:[0,1,0]
	v_pk_fma_f16 v11, v119, v118, v11 op_sel_hi:[1,0,1]
	;; [unrolled: 2-line block ×3, first 2 shown]
	v_pk_fma_f16 v70, v121, v117, v70 op_sel_hi:[1,0,1]
	v_pk_fma_f16 v71, v121, v117, v71 op_sel:[0,1,0]
	v_pk_fma_f16 v74, v121, v118, v74 op_sel_hi:[1,0,1]
	v_pk_fma_f16 v72, v122, v117, v72 op_sel_hi:[1,0,1]
	v_pk_fma_f16 v75, v122, v117, v75 op_sel:[0,1,0]
	v_pk_fma_f16 v76, v122, v118, v76 op_sel_hi:[1,0,1]
	v_pk_fma_f16 v58, v139, v154, v58 op_sel:[0,1,0]
	v_pk_fma_f16 v59, v140, v154, v59 op_sel:[0,1,0]
	;; [unrolled: 1-line block ×4, first 2 shown]
	v_pk_fma_f16 v61, v144, v155, v61 op_sel_hi:[1,0,1]
	v_pk_fma_f16 v55, v144, v156, v55 op_sel:[0,1,0]
	v_pk_fma_f16 v56, v145, v156, v56 op_sel:[0,1,0]
	;; [unrolled: 1-line block ×3, first 2 shown]
	v_pk_fma_f16 v73, v123, v117, v73 op_sel_hi:[1,0,1]
	v_pk_fma_f16 v66, v124, v117, v66 op_sel_hi:[1,0,1]
	v_pk_fma_f16 v8, v124, v117, v8 op_sel:[0,1,0]
	v_pk_fma_f16 v9, v124, v118, v9 op_sel_hi:[1,0,1]
	v_pk_fma_f16 v67, v125, v118, v67 op_sel_hi:[1,0,1]
	;; [unrolled: 1-line block ×3, first 2 shown]
	v_pk_fma_f16 v4, v126, v117, v4 op_sel:[0,1,0]
	v_pk_fma_f16 v6, v126, v118, v6 op_sel_hi:[1,0,1]
	v_pk_fma_f16 v5, v126, v118, v5 op_sel:[0,1,0]
	v_pk_fma_f16 v78, v99, v114, v78 op_sel_hi:[1,0,1]
	v_pk_fma_f16 v62, v101, v113, v62 op_sel_hi:[1,0,1]
	v_pk_fma_f16 v63, v101, v113, v63 op_sel:[0,1,0]
	v_pk_fma_f16 v77, v123, v117, v77 op_sel:[0,1,0]
	v_pk_fma_f16 v7, v127, v151, v7 op_sel_hi:[1,0,1]
	v_pk_fma_f16 v10, v127, v151, v10 op_sel:[0,1,0]
	v_pk_fma_f16 v11, v127, v152, v11 op_sel_hi:[1,0,1]
	;; [unrolled: 2-line block ×3, first 2 shown]
	v_pk_fma_f16 v70, v129, v151, v70 op_sel_hi:[1,0,1]
	v_pk_fma_f16 v71, v129, v151, v71 op_sel:[0,1,0]
	v_pk_fma_f16 v74, v129, v152, v74 op_sel_hi:[1,0,1]
	v_pk_fma_f16 v72, v130, v151, v72 op_sel_hi:[1,0,1]
	v_pk_fma_f16 v75, v130, v151, v75 op_sel:[0,1,0]
	v_pk_fma_f16 v76, v130, v152, v76 op_sel_hi:[1,0,1]
	v_pk_fma_f16 v79, v147, v156, v58 op_sel:[0,1,0]
	v_pk_fma_f16 v80, v148, v156, v59 op_sel:[0,1,0]
	v_pk_fma_f16 v85, v149, v156, v60 op_sel:[0,1,0]
	v_pk_fma_f16 v91, v159, v158, v54 op_sel:[0,1,0]
	v_pk_fma_f16 v92, v160, v157, v61 op_sel_hi:[1,0,1]
	v_pk_fma_f16 v94, v160, v158, v55 op_sel:[0,1,0]
	v_pk_fma_f16 v97, v161, v158, v56 op_sel:[0,1,0]
	;; [unrolled: 1-line block ×3, first 2 shown]
	s_waitcnt vmcnt(3)
	ds_store_b128 v43, v[167:170]
	s_waitcnt vmcnt(2)
	ds_store_b128 v44, v[171:174]
	;; [unrolled: 2-line block ×4, first 2 shown]
	s_waitcnt lgkmcnt(0)
	s_barrier
	buffer_gl0_inv
	ds_load_2addr_b64 v[54:57], v90 offset1:32
	ds_load_b128 v[58:61], v42 offset:256
	v_pk_fma_f16 v73, v131, v151, v73 op_sel_hi:[1,0,1]
	v_pk_fma_f16 v66, v132, v151, v66 op_sel_hi:[1,0,1]
	v_pk_fma_f16 v8, v132, v151, v8 op_sel:[0,1,0]
	v_pk_fma_f16 v9, v132, v152, v9 op_sel_hi:[1,0,1]
	v_pk_fma_f16 v67, v133, v152, v67 op_sel_hi:[1,0,1]
	v_pk_fma_f16 v68, v134, v151, v68 op_sel_hi:[1,0,1]
	v_pk_fma_f16 v4, v134, v151, v4 op_sel:[0,1,0]
	v_pk_fma_f16 v6, v134, v152, v6 op_sel_hi:[1,0,1]
	v_pk_fma_f16 v5, v134, v152, v5 op_sel:[0,1,0]
	v_pk_fma_f16 v78, v107, v116, v78 op_sel_hi:[1,0,1]
	v_pk_fma_f16 v62, v109, v115, v62 op_sel_hi:[1,0,1]
	v_pk_fma_f16 v63, v109, v115, v63 op_sel:[0,1,0]
	v_pk_fma_f16 v77, v131, v151, v77 op_sel:[0,1,0]
	v_pk_fma_f16 v7, v135, v153, v7 op_sel_hi:[1,0,1]
	v_pk_fma_f16 v10, v135, v153, v10 op_sel:[0,1,0]
	v_pk_fma_f16 v11, v135, v154, v11 op_sel_hi:[1,0,1]
	v_pk_fma_f16 v64, v136, v153, v64 op_sel:[0,1,0]
	v_pk_fma_f16 v69, v136, v154, v69 op_sel_hi:[1,0,1]
	v_pk_fma_f16 v70, v137, v153, v70 op_sel_hi:[1,0,1]
	v_pk_fma_f16 v71, v137, v153, v71 op_sel:[0,1,0]
	v_pk_fma_f16 v74, v137, v154, v74 op_sel_hi:[1,0,1]
	v_pk_fma_f16 v72, v138, v153, v72 op_sel_hi:[1,0,1]
	v_pk_fma_f16 v75, v138, v153, v75 op_sel:[0,1,0]
	v_pk_fma_f16 v76, v138, v154, v76 op_sel_hi:[1,0,1]
	v_pk_fma_f16 v73, v139, v153, v73 op_sel_hi:[1,0,1]
	v_pk_fma_f16 v66, v140, v153, v66 op_sel_hi:[1,0,1]
	v_pk_fma_f16 v8, v140, v153, v8 op_sel:[0,1,0]
	v_pk_fma_f16 v9, v140, v154, v9 op_sel_hi:[1,0,1]
	v_pk_fma_f16 v67, v141, v154, v67 op_sel_hi:[1,0,1]
	v_pk_fma_f16 v68, v142, v153, v68 op_sel_hi:[1,0,1]
	v_pk_fma_f16 v4, v142, v153, v4 op_sel:[0,1,0]
	v_pk_fma_f16 v6, v142, v154, v6 op_sel_hi:[1,0,1]
	v_pk_fma_f16 v5, v142, v154, v5 op_sel:[0,1,0]
	v_pk_fma_f16 v78, v123, v118, v78 op_sel_hi:[1,0,1]
	v_pk_fma_f16 v62, v125, v117, v62 op_sel_hi:[1,0,1]
	v_pk_fma_f16 v63, v125, v117, v63 op_sel:[0,1,0]
	v_pk_fma_f16 v77, v139, v153, v77 op_sel:[0,1,0]
	v_pk_fma_f16 v7, v143, v155, v7 op_sel_hi:[1,0,1]
	v_pk_fma_f16 v10, v143, v155, v10 op_sel:[0,1,0]
	v_pk_fma_f16 v11, v143, v156, v11 op_sel_hi:[1,0,1]
	v_pk_fma_f16 v64, v144, v155, v64 op_sel:[0,1,0]
	v_pk_fma_f16 v69, v144, v156, v69 op_sel_hi:[1,0,1]
	v_pk_fma_f16 v70, v145, v155, v70 op_sel_hi:[1,0,1]
	v_pk_fma_f16 v71, v145, v155, v71 op_sel:[0,1,0]
	v_pk_fma_f16 v74, v145, v156, v74 op_sel_hi:[1,0,1]
	v_pk_fma_f16 v72, v146, v155, v72 op_sel_hi:[1,0,1]
	v_pk_fma_f16 v75, v146, v155, v75 op_sel:[0,1,0]
	v_pk_fma_f16 v76, v146, v156, v76 op_sel_hi:[1,0,1]
	;; [unrolled: 24-line block ×3, first 2 shown]
	v_pk_fma_f16 v101, v163, v157, v73 op_sel_hi:[1,0,1]
	v_pk_fma_f16 v103, v164, v157, v66 op_sel_hi:[1,0,1]
	v_pk_fma_f16 v104, v164, v157, v8 op_sel:[0,1,0]
	v_pk_fma_f16 v105, v164, v158, v9 op_sel_hi:[1,0,1]
	v_pk_fma_f16 v106, v165, v158, v67 op_sel_hi:[1,0,1]
	;; [unrolled: 1-line block ×3, first 2 shown]
	v_pk_fma_f16 v108, v166, v157, v4 op_sel:[0,1,0]
	v_pk_fma_f16 v109, v166, v158, v6 op_sel_hi:[1,0,1]
	v_pk_fma_f16 v110, v166, v158, v5 op_sel:[0,1,0]
	ds_load_2addr_b64 v[66:69], v90 offset0:64 offset1:96
	ds_load_b128 v[70:73], v42 offset:272
	ds_load_b128 v[8:11], v42 offset:288
	;; [unrolled: 1-line block ×3, first 2 shown]
	v_pk_fma_f16 v78, v139, v154, v78 op_sel_hi:[1,0,1]
	v_pk_fma_f16 v62, v141, v153, v62 op_sel_hi:[1,0,1]
	v_pk_fma_f16 v63, v141, v153, v63 op_sel:[0,1,0]
	v_pk_fma_f16 v102, v163, v157, v77 op_sel:[0,1,0]
	s_waitcnt lgkmcnt(4)
	v_pk_fma_f16 v86, v54, v58, v86 op_sel_hi:[1,0,1]
	v_pk_fma_f16 v87, v54, v58, v87 op_sel:[0,1,0]
	v_pk_fma_f16 v88, v54, v59, v88 op_sel_hi:[1,0,1]
	v_pk_fma_f16 v91, v54, v59, v91 op_sel:[0,1,0]
	;; [unrolled: 2-line block ×7, first 2 shown]
	ds_load_2addr_b64 v[74:77], v90 offset0:128 offset1:160
	v_pk_fma_f16 v99, v57, v59, v99 op_sel_hi:[1,0,1]
	v_pk_fma_f16 v100, v57, v59, v100 op_sel:[0,1,0]
	ds_load_2addr_b64 v[54:57], v90 offset0:192 offset1:224
	v_pk_fma_f16 v78, v147, v156, v78 op_sel_hi:[1,0,1]
	v_pk_fma_f16 v62, v149, v155, v62 op_sel_hi:[1,0,1]
	v_pk_fma_f16 v63, v149, v155, v63 op_sel:[0,1,0]
	v_pk_fma_f16 v79, v163, v158, v79 op_sel:[0,1,0]
	;; [unrolled: 1-line block ×3, first 2 shown]
	v_pk_fma_f16 v78, v163, v158, v78 op_sel_hi:[1,0,1]
	v_pk_fma_f16 v62, v165, v157, v62 op_sel_hi:[1,0,1]
	v_pk_fma_f16 v63, v165, v157, v63 op_sel:[0,1,0]
	v_pk_fma_f16 v85, v165, v158, v85 op_sel:[0,1,0]
	s_waitcnt lgkmcnt(5)
	v_pk_fma_f16 v101, v66, v58, v101 op_sel_hi:[1,0,1]
	v_pk_fma_f16 v102, v66, v58, v102 op_sel:[0,1,0]
	v_pk_fma_f16 v78, v66, v59, v78 op_sel_hi:[1,0,1]
	v_pk_fma_f16 v79, v66, v59, v79 op_sel:[0,1,0]
	;; [unrolled: 2-line block ×8, first 2 shown]
	ds_load_2addr_b64 v[66:69], v89 offset1:32
	s_waitcnt lgkmcnt(2)
	v_pk_fma_f16 v86, v74, v60, v86 op_sel_hi:[1,0,1]
	v_pk_fma_f16 v87, v74, v60, v87 op_sel:[0,1,0]
	v_pk_fma_f16 v88, v74, v61, v88 op_sel_hi:[1,0,1]
	v_pk_fma_f16 v91, v74, v61, v91 op_sel:[0,1,0]
	v_pk_fma_f16 v92, v75, v60, v92 op_sel_hi:[1,0,1]
	v_pk_fma_f16 v64, v75, v60, v64 op_sel:[0,1,0]
	v_pk_fma_f16 v93, v75, v61, v93 op_sel_hi:[1,0,1]
	v_pk_fma_f16 v94, v75, v61, v94 op_sel:[0,1,0]
	v_pk_fma_f16 v95, v76, v60, v95 op_sel_hi:[1,0,1]
	v_pk_fma_f16 v96, v76, v60, v96 op_sel:[0,1,0]
	v_pk_fma_f16 v109, v76, v61, v111 op_sel_hi:[1,0,1]
	v_pk_fma_f16 v97, v76, v61, v97 op_sel:[0,1,0]
	v_pk_fma_f16 v98, v77, v60, v98 op_sel_hi:[1,0,1]
	v_pk_fma_f16 v110, v77, v60, v112 op_sel:[0,1,0]
	v_pk_fma_f16 v99, v77, v61, v99 op_sel_hi:[1,0,1]
	v_pk_fma_f16 v100, v77, v61, v100 op_sel:[0,1,0]
	s_waitcnt lgkmcnt(1)
	v_pk_fma_f16 v101, v54, v60, v101 op_sel_hi:[1,0,1]
	v_pk_fma_f16 v102, v54, v60, v102 op_sel:[0,1,0]
	v_pk_fma_f16 v78, v54, v61, v78 op_sel_hi:[1,0,1]
	v_pk_fma_f16 v79, v54, v61, v79 op_sel:[0,1,0]
	;; [unrolled: 2-line block ×7, first 2 shown]
	ds_load_2addr_b64 v[74:77], v89 offset0:64 offset1:96
	v_pk_fma_f16 v108, v57, v61, v108 op_sel_hi:[1,0,1]
	v_pk_fma_f16 v111, v57, v61, v59 op_sel:[0,1,0]
	ds_load_2addr_b64 v[54:57], v89 offset0:128 offset1:160
	s_waitcnt lgkmcnt(2)
	v_pk_fma_f16 v86, v66, v70, v86 op_sel_hi:[1,0,1]
	v_pk_fma_f16 v87, v66, v70, v87 op_sel:[0,1,0]
	v_pk_fma_f16 v88, v66, v71, v88 op_sel_hi:[1,0,1]
	v_pk_fma_f16 v66, v66, v71, v91 op_sel:[0,1,0]
	;; [unrolled: 2-line block ×8, first 2 shown]
	s_waitcnt lgkmcnt(1)
	v_pk_fma_f16 v100, v74, v70, v101 op_sel_hi:[1,0,1]
	v_pk_fma_f16 v101, v74, v70, v102 op_sel:[0,1,0]
	v_pk_fma_f16 v78, v74, v71, v78 op_sel_hi:[1,0,1]
	v_pk_fma_f16 v74, v74, v71, v79 op_sel:[0,1,0]
	;; [unrolled: 2-line block ×7, first 2 shown]
	ds_load_2addr_b64 v[58:61], v89 offset0:192 offset1:224
	v_pk_fma_f16 v104, v77, v71, v108 op_sel_hi:[1,0,1]
	v_pk_fma_f16 v71, v77, v71, v111 op_sel:[0,1,0]
	s_waitcnt lgkmcnt(1)
	v_pk_fma_f16 v77, v54, v72, v86 op_sel_hi:[1,0,1]
	v_pk_fma_f16 v86, v54, v72, v87 op_sel:[0,1,0]
	v_pk_fma_f16 v87, v54, v73, v88 op_sel_hi:[1,0,1]
	v_pk_fma_f16 v88, v54, v73, v66 op_sel:[0,1,0]
	v_pk_fma_f16 v105, v55, v73, v67 op_sel:[0,1,0]
	;; [unrolled: 1-line block ×3, first 2 shown]
	ds_load_2addr_b64 v[66:69], v52 offset1:32
	v_pk_fma_f16 v91, v55, v72, v91 op_sel_hi:[1,0,1]
	v_pk_fma_f16 v64, v55, v72, v64 op_sel:[0,1,0]
	v_pk_fma_f16 v92, v55, v73, v92 op_sel_hi:[1,0,1]
	v_pk_fma_f16 v93, v56, v72, v93 op_sel_hi:[1,0,1]
	v_pk_fma_f16 v94, v56, v72, v94 op_sel:[0,1,0]
	v_pk_fma_f16 v95, v56, v73, v95 op_sel_hi:[1,0,1]
	v_pk_fma_f16 v96, v57, v72, v96 op_sel_hi:[1,0,1]
	v_pk_fma_f16 v97, v57, v72, v97 op_sel:[0,1,0]
	v_pk_fma_f16 v98, v57, v73, v98 op_sel_hi:[1,0,1]
	v_pk_fma_f16 v99, v57, v73, v99 op_sel:[0,1,0]
	ds_load_2addr_b64 v[54:57], v52 offset0:64 offset1:96
	s_or_b32 s8, s3, 48
	s_waitcnt lgkmcnt(2)
	v_pk_fma_f16 v100, v58, v72, v100 op_sel_hi:[1,0,1]
	v_pk_fma_f16 v101, v58, v72, v101 op_sel:[0,1,0]
	v_pk_fma_f16 v78, v58, v73, v78 op_sel_hi:[1,0,1]
	v_pk_fma_f16 v74, v58, v73, v74 op_sel:[0,1,0]
	;; [unrolled: 2-line block ×8, first 2 shown]
	s_waitcnt lgkmcnt(1)
	v_pk_fma_f16 v73, v66, v8, v77 op_sel_hi:[1,0,1]
	v_pk_fma_f16 v77, v66, v8, v86 op_sel:[0,1,0]
	v_pk_fma_f16 v86, v66, v9, v87 op_sel_hi:[1,0,1]
	v_pk_fma_f16 v87, v66, v9, v88 op_sel:[0,1,0]
	;; [unrolled: 2-line block ×7, first 2 shown]
	ds_load_2addr_b64 v[58:61], v52 offset0:128 offset1:160
	v_pk_fma_f16 v98, v69, v9, v98 op_sel_hi:[1,0,1]
	v_pk_fma_f16 v99, v69, v9, v99 op_sel:[0,1,0]
	ds_load_2addr_b64 v[66:69], v52 offset0:192 offset1:224
	s_mul_hi_i32 s19, s8, s10
	s_mul_i32 s18, s8, s10
	s_waitcnt lgkmcnt(2)
	v_pk_fma_f16 v100, v54, v8, v100 op_sel_hi:[1,0,1]
	s_lshl_b64 s[18:19], s[18:19], 2
	v_pk_fma_f16 v101, v54, v8, v101 op_sel:[0,1,0]
	s_add_u32 s8, s11, s18
	v_pk_fma_f16 v78, v54, v9, v78 op_sel_hi:[1,0,1]
	v_pk_fma_f16 v54, v54, v9, v74 op_sel:[0,1,0]
	v_pk_fma_f16 v74, v55, v8, v79 op_sel_hi:[1,0,1]
	v_pk_fma_f16 v79, v55, v8, v102 op_sel:[0,1,0]
	;; [unrolled: 2-line block ×4, first 2 shown]
	s_addc_u32 s18, s17, s19
	v_add_co_u32 v8, vcc_lo, s8, v27
	v_pk_fma_f16 v183, v55, v9, v103 op_sel_hi:[1,0,1]
	v_pk_fma_f16 v184, v55, v9, v75 op_sel:[0,1,0]
	v_pk_fma_f16 v80, v56, v9, v80 op_sel_hi:[1,0,1]
	v_pk_fma_f16 v187, v56, v9, v76 op_sel:[0,1,0]
	;; [unrolled: 2-line block ×3, first 2 shown]
	v_add_co_ci_u32_e32 v9, vcc_lo, s18, v28, vcc_lo
	v_add_co_u32 v62, vcc_lo, s8, v29
	v_add_co_ci_u32_e32 v63, vcc_lo, s18, v30, vcc_lo
	v_add_co_u32 v8, vcc_lo, v8, v39
	s_delay_alu instid0(VALU_DEP_4) | instskip(NEXT) | instid1(VALU_DEP_4)
	v_add_co_ci_u32_e32 v9, vcc_lo, 0, v9, vcc_lo
	v_add_co_u32 v62, vcc_lo, v62, v39
	s_delay_alu instid0(VALU_DEP_4)
	v_add_co_ci_u32_e32 v63, vcc_lo, 0, v63, vcc_lo
	s_waitcnt lgkmcnt(1)
	v_pk_fma_f16 v192, v58, v10, v73 op_sel_hi:[1,0,1]
	v_pk_fma_f16 v193, v58, v10, v77 op_sel:[0,1,0]
	v_pk_fma_f16 v194, v58, v11, v86 op_sel_hi:[1,0,1]
	v_pk_fma_f16 v195, v58, v11, v87 op_sel:[0,1,0]
	;; [unrolled: 2-line block ×8, first 2 shown]
	s_waitcnt lgkmcnt(0)
	v_pk_fma_f16 v207, v66, v10, v100 op_sel_hi:[1,0,1]
	v_pk_fma_f16 v208, v66, v10, v101 op_sel:[0,1,0]
	v_pk_fma_f16 v78, v66, v11, v78 op_sel_hi:[1,0,1]
	v_pk_fma_f16 v66, v66, v11, v54 op_sel:[0,1,0]
	v_pk_fma_f16 v209, v67, v10, v74 op_sel_hi:[1,0,1]
	ds_load_2addr_b64 v[54:57], v53 offset1:32
	ds_load_2addr_b64 v[58:61], v53 offset0:64 offset1:96
	ds_load_2addr_b64 v[70:73], v53 offset0:128 offset1:160
	;; [unrolled: 1-line block ×3, first 2 shown]
	ds_load_2addr_b64 v[85:88], v51 offset1:32
	ds_load_2addr_b64 v[91:94], v51 offset0:64 offset1:96
	ds_load_2addr_b64 v[95:98], v51 offset0:128 offset1:160
	;; [unrolled: 1-line block ×3, first 2 shown]
	ds_load_2addr_b64 v[103:106], v50 offset1:32
	ds_load_2addr_b64 v[107:110], v50 offset0:64 offset1:96
	ds_load_b128 v[111:114], v42 offset:320
	ds_load_b128 v[115:118], v42 offset:336
	ds_load_2addr_b64 v[119:122], v50 offset0:128 offset1:160
	ds_load_2addr_b64 v[123:126], v50 offset0:192 offset1:224
	ds_load_2addr_b64 v[127:130], v49 offset1:32
	ds_load_2addr_b64 v[131:134], v49 offset0:64 offset1:96
	ds_load_2addr_b64 v[135:138], v49 offset0:128 offset1:160
	;; [unrolled: 1-line block ×3, first 2 shown]
	ds_load_2addr_b64 v[143:146], v48 offset1:32
	ds_load_2addr_b64 v[147:150], v48 offset0:64 offset1:96
	ds_load_b128 v[151:154], v42 offset:352
	ds_load_b128 v[155:158], v42 offset:368
	ds_load_2addr_b64 v[159:162], v48 offset0:128 offset1:160
	ds_load_2addr_b64 v[163:166], v48 offset0:192 offset1:224
	s_waitcnt lgkmcnt(0)
	s_barrier
	buffer_gl0_inv
	s_clause 0x3
	global_load_b128 v[167:170], v[8:9], off
	global_load_b128 v[171:174], v[8:9], off offset:512
	global_load_b128 v[175:178], v[62:63], off
	global_load_b128 v[179:182], v[62:63], off offset:512
	v_pk_fma_f16 v8, v67, v10, v79 op_sel:[0,1,0]
	v_pk_fma_f16 v9, v67, v11, v183 op_sel_hi:[1,0,1]
	v_pk_fma_f16 v62, v67, v11, v184 op_sel:[0,1,0]
	v_pk_fma_f16 v63, v68, v10, v185 op_sel_hi:[1,0,1]
	;; [unrolled: 2-line block ×24, first 2 shown]
	v_pk_fma_f16 v55, v71, v7, v55 op_sel:[0,1,0]
	v_pk_fma_f16 v56, v72, v7, v56 op_sel:[0,1,0]
	v_pk_fma_f16 v57, v73, v7, v57 op_sel:[0,1,0]
	v_pk_fma_f16 v64, v71, v6, v64 op_sel:[0,1,0]
	v_pk_fma_f16 v79, v71, v7, v187 op_sel_hi:[1,0,1]
	v_pk_fma_f16 v71, v72, v6, v188 op_sel_hi:[1,0,1]
	v_pk_fma_f16 v80, v72, v6, v189 op_sel:[0,1,0]
	v_pk_fma_f16 v183, v72, v7, v190 op_sel_hi:[1,0,1]
	v_pk_fma_f16 v72, v73, v6, v191 op_sel_hi:[1,0,1]
	v_pk_fma_f16 v184, v73, v6, v192 op_sel:[0,1,0]
	;; [unrolled: 3-line block ×3, first 2 shown]
	v_pk_fma_f16 v58, v74, v7, v58 op_sel:[0,1,0]
	v_pk_fma_f16 v66, v75, v6, v66 op_sel_hi:[1,0,1]
	v_pk_fma_f16 v8, v75, v6, v8 op_sel:[0,1,0]
	v_pk_fma_f16 v59, v75, v7, v59 op_sel:[0,1,0]
	v_pk_fma_f16 v62, v76, v6, v62 op_sel_hi:[1,0,1]
	v_pk_fma_f16 v63, v76, v6, v63 op_sel:[0,1,0]
	;; [unrolled: 3-line block ×3, first 2 shown]
	v_pk_fma_f16 v6, v77, v7, v10 op_sel_hi:[1,0,1]
	v_pk_fma_f16 v10, v85, v111, v61 op_sel:[0,1,0]
	v_pk_fma_f16 v54, v85, v112, v54 op_sel:[0,1,0]
	v_pk_fma_f16 v61, v86, v111, v70 op_sel_hi:[1,0,1]
	v_pk_fma_f16 v55, v86, v112, v55 op_sel:[0,1,0]
	v_pk_fma_f16 v56, v87, v112, v56 op_sel:[0,1,0]
	v_pk_fma_f16 v57, v88, v112, v57 op_sel:[0,1,0]
	v_pk_fma_f16 v58, v91, v112, v58 op_sel:[0,1,0]
	v_pk_fma_f16 v59, v92, v112, v59 op_sel:[0,1,0]
	v_pk_fma_f16 v60, v93, v112, v60 op_sel:[0,1,0]
	v_pk_fma_f16 v54, v95, v114, v54 op_sel:[0,1,0]
	v_pk_fma_f16 v61, v96, v113, v61 op_sel_hi:[1,0,1]
	v_pk_fma_f16 v55, v96, v114, v55 op_sel:[0,1,0]
	v_pk_fma_f16 v56, v97, v114, v56 op_sel:[0,1,0]
	;; [unrolled: 1-line block ×7, first 2 shown]
	v_pk_fma_f16 v61, v104, v115, v61 op_sel_hi:[1,0,1]
	v_pk_fma_f16 v55, v104, v116, v55 op_sel:[0,1,0]
	v_pk_fma_f16 v56, v105, v116, v56 op_sel:[0,1,0]
	v_pk_fma_f16 v57, v106, v116, v57 op_sel:[0,1,0]
	v_pk_fma_f16 v9, v75, v7, v9 op_sel_hi:[1,0,1]
	v_pk_fma_f16 v67, v76, v7, v67 op_sel_hi:[1,0,1]
	v_pk_fma_f16 v5, v77, v7, v5 op_sel:[0,1,0]
	v_pk_fma_f16 v78, v74, v7, v78 op_sel_hi:[1,0,1]
	v_pk_fma_f16 v7, v85, v111, v11 op_sel_hi:[1,0,1]
	;; [unrolled: 1-line block ×3, first 2 shown]
	v_pk_fma_f16 v64, v86, v111, v64 op_sel:[0,1,0]
	v_pk_fma_f16 v69, v86, v112, v79 op_sel_hi:[1,0,1]
	v_pk_fma_f16 v70, v87, v111, v71 op_sel_hi:[1,0,1]
	v_pk_fma_f16 v71, v87, v111, v80 op_sel:[0,1,0]
	v_pk_fma_f16 v74, v87, v112, v183 op_sel_hi:[1,0,1]
	v_pk_fma_f16 v72, v88, v111, v72 op_sel_hi:[1,0,1]
	v_pk_fma_f16 v75, v88, v111, v184 op_sel:[0,1,0]
	v_pk_fma_f16 v76, v88, v112, v185 op_sel_hi:[1,0,1]
	v_pk_fma_f16 v58, v107, v116, v58 op_sel:[0,1,0]
	v_pk_fma_f16 v59, v108, v116, v59 op_sel:[0,1,0]
	;; [unrolled: 1-line block ×4, first 2 shown]
	v_pk_fma_f16 v61, v120, v117, v61 op_sel_hi:[1,0,1]
	v_pk_fma_f16 v55, v120, v118, v55 op_sel:[0,1,0]
	v_pk_fma_f16 v56, v121, v118, v56 op_sel:[0,1,0]
	;; [unrolled: 1-line block ×3, first 2 shown]
	v_pk_fma_f16 v73, v91, v111, v73 op_sel_hi:[1,0,1]
	v_pk_fma_f16 v66, v92, v111, v66 op_sel_hi:[1,0,1]
	v_pk_fma_f16 v8, v92, v111, v8 op_sel:[0,1,0]
	v_pk_fma_f16 v9, v92, v112, v9 op_sel_hi:[1,0,1]
	v_pk_fma_f16 v67, v93, v112, v67 op_sel_hi:[1,0,1]
	;; [unrolled: 1-line block ×3, first 2 shown]
	v_pk_fma_f16 v4, v94, v111, v4 op_sel:[0,1,0]
	v_pk_fma_f16 v6, v94, v112, v6 op_sel_hi:[1,0,1]
	v_pk_fma_f16 v5, v94, v112, v5 op_sel:[0,1,0]
	v_pk_fma_f16 v77, v91, v111, v186 op_sel:[0,1,0]
	v_pk_fma_f16 v7, v95, v113, v7 op_sel_hi:[1,0,1]
	v_pk_fma_f16 v10, v95, v113, v10 op_sel:[0,1,0]
	v_pk_fma_f16 v11, v95, v114, v11 op_sel_hi:[1,0,1]
	;; [unrolled: 2-line block ×3, first 2 shown]
	v_pk_fma_f16 v70, v97, v113, v70 op_sel_hi:[1,0,1]
	v_pk_fma_f16 v71, v97, v113, v71 op_sel:[0,1,0]
	v_pk_fma_f16 v74, v97, v114, v74 op_sel_hi:[1,0,1]
	v_pk_fma_f16 v72, v98, v113, v72 op_sel_hi:[1,0,1]
	v_pk_fma_f16 v75, v98, v113, v75 op_sel:[0,1,0]
	v_pk_fma_f16 v76, v98, v114, v76 op_sel_hi:[1,0,1]
	v_pk_fma_f16 v58, v123, v118, v58 op_sel:[0,1,0]
	v_pk_fma_f16 v59, v124, v118, v59 op_sel:[0,1,0]
	;; [unrolled: 1-line block ×4, first 2 shown]
	v_pk_fma_f16 v61, v128, v151, v61 op_sel_hi:[1,0,1]
	v_pk_fma_f16 v55, v128, v152, v55 op_sel:[0,1,0]
	v_pk_fma_f16 v56, v129, v152, v56 op_sel:[0,1,0]
	;; [unrolled: 1-line block ×3, first 2 shown]
	v_pk_fma_f16 v73, v99, v113, v73 op_sel_hi:[1,0,1]
	v_pk_fma_f16 v66, v100, v113, v66 op_sel_hi:[1,0,1]
	v_pk_fma_f16 v8, v100, v113, v8 op_sel:[0,1,0]
	v_pk_fma_f16 v9, v100, v114, v9 op_sel_hi:[1,0,1]
	v_pk_fma_f16 v67, v101, v114, v67 op_sel_hi:[1,0,1]
	;; [unrolled: 1-line block ×3, first 2 shown]
	v_pk_fma_f16 v4, v102, v113, v4 op_sel:[0,1,0]
	v_pk_fma_f16 v6, v102, v114, v6 op_sel_hi:[1,0,1]
	v_pk_fma_f16 v5, v102, v114, v5 op_sel:[0,1,0]
	v_pk_fma_f16 v77, v99, v113, v77 op_sel:[0,1,0]
	v_pk_fma_f16 v7, v103, v115, v7 op_sel_hi:[1,0,1]
	v_pk_fma_f16 v10, v103, v115, v10 op_sel:[0,1,0]
	v_pk_fma_f16 v11, v103, v116, v11 op_sel_hi:[1,0,1]
	;; [unrolled: 2-line block ×3, first 2 shown]
	v_pk_fma_f16 v70, v105, v115, v70 op_sel_hi:[1,0,1]
	v_pk_fma_f16 v71, v105, v115, v71 op_sel:[0,1,0]
	v_pk_fma_f16 v74, v105, v116, v74 op_sel_hi:[1,0,1]
	v_pk_fma_f16 v72, v106, v115, v72 op_sel_hi:[1,0,1]
	v_pk_fma_f16 v75, v106, v115, v75 op_sel:[0,1,0]
	v_pk_fma_f16 v76, v106, v116, v76 op_sel_hi:[1,0,1]
	v_pk_fma_f16 v58, v131, v152, v58 op_sel:[0,1,0]
	v_pk_fma_f16 v59, v132, v152, v59 op_sel:[0,1,0]
	;; [unrolled: 1-line block ×4, first 2 shown]
	v_pk_fma_f16 v61, v136, v153, v61 op_sel_hi:[1,0,1]
	v_pk_fma_f16 v55, v136, v154, v55 op_sel:[0,1,0]
	v_pk_fma_f16 v56, v137, v154, v56 op_sel:[0,1,0]
	;; [unrolled: 1-line block ×3, first 2 shown]
	v_pk_fma_f16 v73, v107, v115, v73 op_sel_hi:[1,0,1]
	v_pk_fma_f16 v66, v108, v115, v66 op_sel_hi:[1,0,1]
	v_pk_fma_f16 v8, v108, v115, v8 op_sel:[0,1,0]
	v_pk_fma_f16 v9, v108, v116, v9 op_sel_hi:[1,0,1]
	v_pk_fma_f16 v67, v109, v116, v67 op_sel_hi:[1,0,1]
	;; [unrolled: 1-line block ×3, first 2 shown]
	v_pk_fma_f16 v4, v110, v115, v4 op_sel:[0,1,0]
	v_pk_fma_f16 v6, v110, v116, v6 op_sel_hi:[1,0,1]
	v_pk_fma_f16 v5, v110, v116, v5 op_sel:[0,1,0]
	v_pk_fma_f16 v78, v91, v112, v78 op_sel_hi:[1,0,1]
	v_pk_fma_f16 v62, v93, v111, v62 op_sel_hi:[1,0,1]
	v_pk_fma_f16 v63, v93, v111, v63 op_sel:[0,1,0]
	v_pk_fma_f16 v77, v107, v115, v77 op_sel:[0,1,0]
	v_pk_fma_f16 v7, v119, v117, v7 op_sel_hi:[1,0,1]
	v_pk_fma_f16 v10, v119, v117, v10 op_sel:[0,1,0]
	v_pk_fma_f16 v11, v119, v118, v11 op_sel_hi:[1,0,1]
	;; [unrolled: 2-line block ×3, first 2 shown]
	v_pk_fma_f16 v70, v121, v117, v70 op_sel_hi:[1,0,1]
	v_pk_fma_f16 v71, v121, v117, v71 op_sel:[0,1,0]
	v_pk_fma_f16 v74, v121, v118, v74 op_sel_hi:[1,0,1]
	v_pk_fma_f16 v72, v122, v117, v72 op_sel_hi:[1,0,1]
	v_pk_fma_f16 v75, v122, v117, v75 op_sel:[0,1,0]
	v_pk_fma_f16 v76, v122, v118, v76 op_sel_hi:[1,0,1]
	v_pk_fma_f16 v58, v139, v154, v58 op_sel:[0,1,0]
	v_pk_fma_f16 v59, v140, v154, v59 op_sel:[0,1,0]
	v_pk_fma_f16 v60, v141, v154, v60 op_sel:[0,1,0]
	v_pk_fma_f16 v54, v143, v156, v54 op_sel:[0,1,0]
	v_pk_fma_f16 v61, v144, v155, v61 op_sel_hi:[1,0,1]
	v_pk_fma_f16 v55, v144, v156, v55 op_sel:[0,1,0]
	v_pk_fma_f16 v56, v145, v156, v56 op_sel:[0,1,0]
	;; [unrolled: 1-line block ×3, first 2 shown]
	v_pk_fma_f16 v73, v123, v117, v73 op_sel_hi:[1,0,1]
	v_pk_fma_f16 v66, v124, v117, v66 op_sel_hi:[1,0,1]
	v_pk_fma_f16 v8, v124, v117, v8 op_sel:[0,1,0]
	v_pk_fma_f16 v9, v124, v118, v9 op_sel_hi:[1,0,1]
	v_pk_fma_f16 v67, v125, v118, v67 op_sel_hi:[1,0,1]
	;; [unrolled: 1-line block ×3, first 2 shown]
	v_pk_fma_f16 v4, v126, v117, v4 op_sel:[0,1,0]
	v_pk_fma_f16 v6, v126, v118, v6 op_sel_hi:[1,0,1]
	v_pk_fma_f16 v5, v126, v118, v5 op_sel:[0,1,0]
	v_pk_fma_f16 v78, v99, v114, v78 op_sel_hi:[1,0,1]
	v_pk_fma_f16 v62, v101, v113, v62 op_sel_hi:[1,0,1]
	v_pk_fma_f16 v63, v101, v113, v63 op_sel:[0,1,0]
	v_pk_fma_f16 v77, v123, v117, v77 op_sel:[0,1,0]
	v_pk_fma_f16 v7, v127, v151, v7 op_sel_hi:[1,0,1]
	v_pk_fma_f16 v10, v127, v151, v10 op_sel:[0,1,0]
	v_pk_fma_f16 v11, v127, v152, v11 op_sel_hi:[1,0,1]
	;; [unrolled: 2-line block ×3, first 2 shown]
	v_pk_fma_f16 v70, v129, v151, v70 op_sel_hi:[1,0,1]
	v_pk_fma_f16 v71, v129, v151, v71 op_sel:[0,1,0]
	v_pk_fma_f16 v74, v129, v152, v74 op_sel_hi:[1,0,1]
	v_pk_fma_f16 v72, v130, v151, v72 op_sel_hi:[1,0,1]
	v_pk_fma_f16 v75, v130, v151, v75 op_sel:[0,1,0]
	v_pk_fma_f16 v76, v130, v152, v76 op_sel_hi:[1,0,1]
	v_pk_fma_f16 v79, v147, v156, v58 op_sel:[0,1,0]
	v_pk_fma_f16 v80, v148, v156, v59 op_sel:[0,1,0]
	;; [unrolled: 1-line block ×4, first 2 shown]
	v_pk_fma_f16 v92, v160, v157, v61 op_sel_hi:[1,0,1]
	v_pk_fma_f16 v94, v160, v158, v55 op_sel:[0,1,0]
	v_pk_fma_f16 v97, v161, v158, v56 op_sel:[0,1,0]
	;; [unrolled: 1-line block ×3, first 2 shown]
	s_waitcnt vmcnt(3)
	ds_store_b128 v43, v[167:170]
	s_waitcnt vmcnt(2)
	ds_store_b128 v44, v[171:174]
	;; [unrolled: 2-line block ×4, first 2 shown]
	s_waitcnt lgkmcnt(0)
	s_barrier
	buffer_gl0_inv
	ds_load_2addr_b64 v[54:57], v90 offset1:32
	ds_load_b128 v[58:61], v42 offset:384
	v_pk_fma_f16 v73, v131, v151, v73 op_sel_hi:[1,0,1]
	v_pk_fma_f16 v66, v132, v151, v66 op_sel_hi:[1,0,1]
	v_pk_fma_f16 v8, v132, v151, v8 op_sel:[0,1,0]
	v_pk_fma_f16 v9, v132, v152, v9 op_sel_hi:[1,0,1]
	v_pk_fma_f16 v67, v133, v152, v67 op_sel_hi:[1,0,1]
	v_pk_fma_f16 v68, v134, v151, v68 op_sel_hi:[1,0,1]
	v_pk_fma_f16 v4, v134, v151, v4 op_sel:[0,1,0]
	v_pk_fma_f16 v6, v134, v152, v6 op_sel_hi:[1,0,1]
	v_pk_fma_f16 v5, v134, v152, v5 op_sel:[0,1,0]
	v_pk_fma_f16 v78, v107, v116, v78 op_sel_hi:[1,0,1]
	v_pk_fma_f16 v62, v109, v115, v62 op_sel_hi:[1,0,1]
	v_pk_fma_f16 v63, v109, v115, v63 op_sel:[0,1,0]
	v_pk_fma_f16 v77, v131, v151, v77 op_sel:[0,1,0]
	v_pk_fma_f16 v7, v135, v153, v7 op_sel_hi:[1,0,1]
	v_pk_fma_f16 v10, v135, v153, v10 op_sel:[0,1,0]
	v_pk_fma_f16 v11, v135, v154, v11 op_sel_hi:[1,0,1]
	v_pk_fma_f16 v64, v136, v153, v64 op_sel:[0,1,0]
	v_pk_fma_f16 v69, v136, v154, v69 op_sel_hi:[1,0,1]
	v_pk_fma_f16 v70, v137, v153, v70 op_sel_hi:[1,0,1]
	v_pk_fma_f16 v71, v137, v153, v71 op_sel:[0,1,0]
	v_pk_fma_f16 v74, v137, v154, v74 op_sel_hi:[1,0,1]
	v_pk_fma_f16 v72, v138, v153, v72 op_sel_hi:[1,0,1]
	v_pk_fma_f16 v75, v138, v153, v75 op_sel:[0,1,0]
	v_pk_fma_f16 v76, v138, v154, v76 op_sel_hi:[1,0,1]
	v_pk_fma_f16 v73, v139, v153, v73 op_sel_hi:[1,0,1]
	v_pk_fma_f16 v66, v140, v153, v66 op_sel_hi:[1,0,1]
	v_pk_fma_f16 v8, v140, v153, v8 op_sel:[0,1,0]
	v_pk_fma_f16 v9, v140, v154, v9 op_sel_hi:[1,0,1]
	v_pk_fma_f16 v67, v141, v154, v67 op_sel_hi:[1,0,1]
	v_pk_fma_f16 v68, v142, v153, v68 op_sel_hi:[1,0,1]
	v_pk_fma_f16 v4, v142, v153, v4 op_sel:[0,1,0]
	v_pk_fma_f16 v6, v142, v154, v6 op_sel_hi:[1,0,1]
	v_pk_fma_f16 v5, v142, v154, v5 op_sel:[0,1,0]
	v_pk_fma_f16 v78, v123, v118, v78 op_sel_hi:[1,0,1]
	v_pk_fma_f16 v62, v125, v117, v62 op_sel_hi:[1,0,1]
	v_pk_fma_f16 v63, v125, v117, v63 op_sel:[0,1,0]
	v_pk_fma_f16 v77, v139, v153, v77 op_sel:[0,1,0]
	v_pk_fma_f16 v7, v143, v155, v7 op_sel_hi:[1,0,1]
	v_pk_fma_f16 v10, v143, v155, v10 op_sel:[0,1,0]
	v_pk_fma_f16 v11, v143, v156, v11 op_sel_hi:[1,0,1]
	v_pk_fma_f16 v64, v144, v155, v64 op_sel:[0,1,0]
	v_pk_fma_f16 v69, v144, v156, v69 op_sel_hi:[1,0,1]
	v_pk_fma_f16 v70, v145, v155, v70 op_sel_hi:[1,0,1]
	v_pk_fma_f16 v71, v145, v155, v71 op_sel:[0,1,0]
	v_pk_fma_f16 v74, v145, v156, v74 op_sel_hi:[1,0,1]
	v_pk_fma_f16 v72, v146, v155, v72 op_sel_hi:[1,0,1]
	v_pk_fma_f16 v75, v146, v155, v75 op_sel:[0,1,0]
	v_pk_fma_f16 v76, v146, v156, v76 op_sel_hi:[1,0,1]
	;; [unrolled: 24-line block ×3, first 2 shown]
	v_pk_fma_f16 v101, v163, v157, v73 op_sel_hi:[1,0,1]
	v_pk_fma_f16 v103, v164, v157, v66 op_sel_hi:[1,0,1]
	v_pk_fma_f16 v104, v164, v157, v8 op_sel:[0,1,0]
	v_pk_fma_f16 v105, v164, v158, v9 op_sel_hi:[1,0,1]
	v_pk_fma_f16 v106, v165, v158, v67 op_sel_hi:[1,0,1]
	;; [unrolled: 1-line block ×3, first 2 shown]
	v_pk_fma_f16 v108, v166, v157, v4 op_sel:[0,1,0]
	v_pk_fma_f16 v109, v166, v158, v6 op_sel_hi:[1,0,1]
	v_pk_fma_f16 v110, v166, v158, v5 op_sel:[0,1,0]
	ds_load_2addr_b64 v[66:69], v90 offset0:64 offset1:96
	ds_load_b128 v[70:73], v42 offset:400
	ds_load_b128 v[8:11], v42 offset:416
	;; [unrolled: 1-line block ×3, first 2 shown]
	v_pk_fma_f16 v78, v139, v154, v78 op_sel_hi:[1,0,1]
	v_pk_fma_f16 v62, v141, v153, v62 op_sel_hi:[1,0,1]
	v_pk_fma_f16 v63, v141, v153, v63 op_sel:[0,1,0]
	v_pk_fma_f16 v102, v163, v157, v77 op_sel:[0,1,0]
	s_waitcnt lgkmcnt(4)
	v_pk_fma_f16 v86, v54, v58, v86 op_sel_hi:[1,0,1]
	v_pk_fma_f16 v87, v54, v58, v87 op_sel:[0,1,0]
	v_pk_fma_f16 v88, v54, v59, v88 op_sel_hi:[1,0,1]
	v_pk_fma_f16 v91, v54, v59, v91 op_sel:[0,1,0]
	;; [unrolled: 2-line block ×7, first 2 shown]
	ds_load_2addr_b64 v[74:77], v90 offset0:128 offset1:160
	v_pk_fma_f16 v99, v57, v59, v99 op_sel_hi:[1,0,1]
	v_pk_fma_f16 v100, v57, v59, v100 op_sel:[0,1,0]
	ds_load_2addr_b64 v[54:57], v90 offset0:192 offset1:224
	v_pk_fma_f16 v78, v147, v156, v78 op_sel_hi:[1,0,1]
	v_pk_fma_f16 v62, v149, v155, v62 op_sel_hi:[1,0,1]
	v_pk_fma_f16 v63, v149, v155, v63 op_sel:[0,1,0]
	v_pk_fma_f16 v79, v163, v158, v79 op_sel:[0,1,0]
	v_pk_fma_f16 v80, v164, v158, v80 op_sel:[0,1,0]
	v_pk_fma_f16 v78, v163, v158, v78 op_sel_hi:[1,0,1]
	v_pk_fma_f16 v62, v165, v157, v62 op_sel_hi:[1,0,1]
	v_pk_fma_f16 v63, v165, v157, v63 op_sel:[0,1,0]
	v_pk_fma_f16 v85, v165, v158, v85 op_sel:[0,1,0]
	s_waitcnt lgkmcnt(5)
	v_pk_fma_f16 v101, v66, v58, v101 op_sel_hi:[1,0,1]
	v_pk_fma_f16 v102, v66, v58, v102 op_sel:[0,1,0]
	v_pk_fma_f16 v78, v66, v59, v78 op_sel_hi:[1,0,1]
	v_pk_fma_f16 v79, v66, v59, v79 op_sel:[0,1,0]
	;; [unrolled: 2-line block ×8, first 2 shown]
	ds_load_2addr_b64 v[66:69], v89 offset1:32
	s_waitcnt lgkmcnt(2)
	v_pk_fma_f16 v86, v74, v60, v86 op_sel_hi:[1,0,1]
	v_pk_fma_f16 v87, v74, v60, v87 op_sel:[0,1,0]
	v_pk_fma_f16 v88, v74, v61, v88 op_sel_hi:[1,0,1]
	v_pk_fma_f16 v91, v74, v61, v91 op_sel:[0,1,0]
	;; [unrolled: 2-line block ×8, first 2 shown]
	s_waitcnt lgkmcnt(1)
	v_pk_fma_f16 v101, v54, v60, v101 op_sel_hi:[1,0,1]
	v_pk_fma_f16 v102, v54, v60, v102 op_sel:[0,1,0]
	v_pk_fma_f16 v78, v54, v61, v78 op_sel_hi:[1,0,1]
	v_pk_fma_f16 v79, v54, v61, v79 op_sel:[0,1,0]
	;; [unrolled: 2-line block ×7, first 2 shown]
	ds_load_2addr_b64 v[74:77], v89 offset0:64 offset1:96
	v_pk_fma_f16 v108, v57, v61, v108 op_sel_hi:[1,0,1]
	v_pk_fma_f16 v111, v57, v61, v59 op_sel:[0,1,0]
	ds_load_2addr_b64 v[54:57], v89 offset0:128 offset1:160
	s_waitcnt lgkmcnt(2)
	v_pk_fma_f16 v86, v66, v70, v86 op_sel_hi:[1,0,1]
	v_pk_fma_f16 v87, v66, v70, v87 op_sel:[0,1,0]
	v_pk_fma_f16 v88, v66, v71, v88 op_sel_hi:[1,0,1]
	v_pk_fma_f16 v66, v66, v71, v91 op_sel:[0,1,0]
	;; [unrolled: 2-line block ×8, first 2 shown]
	s_waitcnt lgkmcnt(1)
	v_pk_fma_f16 v100, v74, v70, v101 op_sel_hi:[1,0,1]
	v_pk_fma_f16 v101, v74, v70, v102 op_sel:[0,1,0]
	v_pk_fma_f16 v78, v74, v71, v78 op_sel_hi:[1,0,1]
	v_pk_fma_f16 v74, v74, v71, v79 op_sel:[0,1,0]
	;; [unrolled: 2-line block ×7, first 2 shown]
	ds_load_2addr_b64 v[58:61], v89 offset0:192 offset1:224
	v_pk_fma_f16 v104, v77, v71, v108 op_sel_hi:[1,0,1]
	v_pk_fma_f16 v71, v77, v71, v111 op_sel:[0,1,0]
	s_waitcnt lgkmcnt(1)
	v_pk_fma_f16 v77, v54, v72, v86 op_sel_hi:[1,0,1]
	v_pk_fma_f16 v86, v54, v72, v87 op_sel:[0,1,0]
	v_pk_fma_f16 v87, v54, v73, v88 op_sel_hi:[1,0,1]
	v_pk_fma_f16 v88, v54, v73, v66 op_sel:[0,1,0]
	v_pk_fma_f16 v105, v55, v73, v67 op_sel:[0,1,0]
	v_pk_fma_f16 v106, v56, v73, v68 op_sel:[0,1,0]
	ds_load_2addr_b64 v[66:69], v52 offset1:32
	v_pk_fma_f16 v91, v55, v72, v91 op_sel_hi:[1,0,1]
	v_pk_fma_f16 v64, v55, v72, v64 op_sel:[0,1,0]
	v_pk_fma_f16 v92, v55, v73, v92 op_sel_hi:[1,0,1]
	v_pk_fma_f16 v93, v56, v72, v93 op_sel_hi:[1,0,1]
	v_pk_fma_f16 v94, v56, v72, v94 op_sel:[0,1,0]
	v_pk_fma_f16 v95, v56, v73, v95 op_sel_hi:[1,0,1]
	;; [unrolled: 3-line block ×3, first 2 shown]
	v_pk_fma_f16 v99, v57, v73, v99 op_sel:[0,1,0]
	ds_load_2addr_b64 v[54:57], v52 offset0:64 offset1:96
	s_or_b32 s8, s3, 64
	s_waitcnt lgkmcnt(2)
	v_pk_fma_f16 v100, v58, v72, v100 op_sel_hi:[1,0,1]
	v_pk_fma_f16 v101, v58, v72, v101 op_sel:[0,1,0]
	v_pk_fma_f16 v78, v58, v73, v78 op_sel_hi:[1,0,1]
	v_pk_fma_f16 v74, v58, v73, v74 op_sel:[0,1,0]
	v_pk_fma_f16 v79, v59, v72, v79 op_sel_hi:[1,0,1]
	v_pk_fma_f16 v102, v59, v72, v102 op_sel:[0,1,0]
	v_pk_fma_f16 v103, v59, v73, v103 op_sel_hi:[1,0,1]
	v_pk_fma_f16 v75, v59, v73, v75 op_sel:[0,1,0]
	v_pk_fma_f16 v62, v60, v72, v62 op_sel_hi:[1,0,1]
	v_pk_fma_f16 v63, v60, v72, v63 op_sel:[0,1,0]
	v_pk_fma_f16 v80, v60, v73, v80 op_sel_hi:[1,0,1]
	v_pk_fma_f16 v76, v60, v73, v76 op_sel:[0,1,0]
	v_pk_fma_f16 v85, v61, v72, v85 op_sel_hi:[1,0,1]
	v_pk_fma_f16 v70, v61, v72, v70 op_sel:[0,1,0]
	v_pk_fma_f16 v72, v61, v73, v104 op_sel_hi:[1,0,1]
	v_pk_fma_f16 v71, v61, v73, v71 op_sel:[0,1,0]
	s_waitcnt lgkmcnt(1)
	v_pk_fma_f16 v73, v66, v8, v77 op_sel_hi:[1,0,1]
	v_pk_fma_f16 v77, v66, v8, v86 op_sel:[0,1,0]
	v_pk_fma_f16 v86, v66, v9, v87 op_sel_hi:[1,0,1]
	v_pk_fma_f16 v87, v66, v9, v88 op_sel:[0,1,0]
	;; [unrolled: 2-line block ×7, first 2 shown]
	ds_load_2addr_b64 v[58:61], v52 offset0:128 offset1:160
	v_pk_fma_f16 v98, v69, v9, v98 op_sel_hi:[1,0,1]
	v_pk_fma_f16 v99, v69, v9, v99 op_sel:[0,1,0]
	ds_load_2addr_b64 v[66:69], v52 offset0:192 offset1:224
	s_mul_hi_i32 s19, s8, s10
	s_mul_i32 s18, s8, s10
	s_waitcnt lgkmcnt(2)
	v_pk_fma_f16 v100, v54, v8, v100 op_sel_hi:[1,0,1]
	s_lshl_b64 s[18:19], s[18:19], 2
	v_pk_fma_f16 v101, v54, v8, v101 op_sel:[0,1,0]
	s_add_u32 s8, s11, s18
	v_pk_fma_f16 v78, v54, v9, v78 op_sel_hi:[1,0,1]
	v_pk_fma_f16 v54, v54, v9, v74 op_sel:[0,1,0]
	v_pk_fma_f16 v74, v55, v8, v79 op_sel_hi:[1,0,1]
	v_pk_fma_f16 v79, v55, v8, v102 op_sel:[0,1,0]
	;; [unrolled: 2-line block ×4, first 2 shown]
	s_addc_u32 s18, s17, s19
	v_add_co_u32 v8, vcc_lo, s8, v27
	v_pk_fma_f16 v183, v55, v9, v103 op_sel_hi:[1,0,1]
	v_pk_fma_f16 v184, v55, v9, v75 op_sel:[0,1,0]
	v_pk_fma_f16 v80, v56, v9, v80 op_sel_hi:[1,0,1]
	v_pk_fma_f16 v187, v56, v9, v76 op_sel:[0,1,0]
	;; [unrolled: 2-line block ×3, first 2 shown]
	v_add_co_ci_u32_e32 v9, vcc_lo, s18, v28, vcc_lo
	v_add_co_u32 v62, vcc_lo, s8, v29
	v_add_co_ci_u32_e32 v63, vcc_lo, s18, v30, vcc_lo
	v_add_co_u32 v8, vcc_lo, v8, v39
	s_delay_alu instid0(VALU_DEP_4) | instskip(NEXT) | instid1(VALU_DEP_4)
	v_add_co_ci_u32_e32 v9, vcc_lo, 0, v9, vcc_lo
	v_add_co_u32 v62, vcc_lo, v62, v39
	s_delay_alu instid0(VALU_DEP_4)
	v_add_co_ci_u32_e32 v63, vcc_lo, 0, v63, vcc_lo
	s_waitcnt lgkmcnt(1)
	v_pk_fma_f16 v192, v58, v10, v73 op_sel_hi:[1,0,1]
	v_pk_fma_f16 v193, v58, v10, v77 op_sel:[0,1,0]
	v_pk_fma_f16 v194, v58, v11, v86 op_sel_hi:[1,0,1]
	v_pk_fma_f16 v195, v58, v11, v87 op_sel:[0,1,0]
	v_pk_fma_f16 v196, v59, v10, v88 op_sel_hi:[1,0,1]
	v_pk_fma_f16 v64, v59, v10, v64 op_sel:[0,1,0]
	v_pk_fma_f16 v197, v59, v11, v91 op_sel_hi:[1,0,1]
	v_pk_fma_f16 v198, v59, v11, v92 op_sel:[0,1,0]
	v_pk_fma_f16 v199, v60, v10, v93 op_sel_hi:[1,0,1]
	v_pk_fma_f16 v200, v60, v10, v94 op_sel:[0,1,0]
	v_pk_fma_f16 v201, v60, v11, v95 op_sel_hi:[1,0,1]
	v_pk_fma_f16 v202, v60, v11, v104 op_sel:[0,1,0]
	v_pk_fma_f16 v203, v61, v10, v96 op_sel_hi:[1,0,1]
	v_pk_fma_f16 v204, v61, v10, v97 op_sel:[0,1,0]
	v_pk_fma_f16 v205, v61, v11, v98 op_sel_hi:[1,0,1]
	v_pk_fma_f16 v206, v61, v11, v99 op_sel:[0,1,0]
	s_waitcnt lgkmcnt(0)
	v_pk_fma_f16 v207, v66, v10, v100 op_sel_hi:[1,0,1]
	v_pk_fma_f16 v208, v66, v10, v101 op_sel:[0,1,0]
	v_pk_fma_f16 v78, v66, v11, v78 op_sel_hi:[1,0,1]
	v_pk_fma_f16 v66, v66, v11, v54 op_sel:[0,1,0]
	v_pk_fma_f16 v209, v67, v10, v74 op_sel_hi:[1,0,1]
	ds_load_2addr_b64 v[54:57], v53 offset1:32
	ds_load_2addr_b64 v[58:61], v53 offset0:64 offset1:96
	ds_load_2addr_b64 v[70:73], v53 offset0:128 offset1:160
	;; [unrolled: 1-line block ×3, first 2 shown]
	ds_load_2addr_b64 v[85:88], v51 offset1:32
	ds_load_2addr_b64 v[91:94], v51 offset0:64 offset1:96
	ds_load_2addr_b64 v[95:98], v51 offset0:128 offset1:160
	;; [unrolled: 1-line block ×3, first 2 shown]
	ds_load_2addr_b64 v[103:106], v50 offset1:32
	ds_load_2addr_b64 v[107:110], v50 offset0:64 offset1:96
	ds_load_b128 v[111:114], v42 offset:448
	ds_load_b128 v[115:118], v42 offset:464
	ds_load_2addr_b64 v[119:122], v50 offset0:128 offset1:160
	ds_load_2addr_b64 v[123:126], v50 offset0:192 offset1:224
	ds_load_2addr_b64 v[127:130], v49 offset1:32
	ds_load_2addr_b64 v[131:134], v49 offset0:64 offset1:96
	ds_load_2addr_b64 v[135:138], v49 offset0:128 offset1:160
	;; [unrolled: 1-line block ×3, first 2 shown]
	ds_load_2addr_b64 v[143:146], v48 offset1:32
	ds_load_2addr_b64 v[147:150], v48 offset0:64 offset1:96
	ds_load_b128 v[151:154], v42 offset:480
	ds_load_b128 v[155:158], v42 offset:496
	ds_load_2addr_b64 v[159:162], v48 offset0:128 offset1:160
	ds_load_2addr_b64 v[163:166], v48 offset0:192 offset1:224
	s_waitcnt lgkmcnt(0)
	s_barrier
	buffer_gl0_inv
	s_clause 0x3
	global_load_b128 v[167:170], v[8:9], off
	global_load_b128 v[171:174], v[8:9], off offset:512
	global_load_b128 v[175:178], v[62:63], off
	global_load_b128 v[179:182], v[62:63], off offset:512
	v_pk_fma_f16 v8, v67, v10, v79 op_sel:[0,1,0]
	v_pk_fma_f16 v9, v67, v11, v183 op_sel_hi:[1,0,1]
	v_pk_fma_f16 v62, v67, v11, v184 op_sel:[0,1,0]
	v_pk_fma_f16 v63, v68, v10, v185 op_sel_hi:[1,0,1]
	;; [unrolled: 2-line block ×24, first 2 shown]
	v_pk_fma_f16 v55, v71, v7, v55 op_sel:[0,1,0]
	v_pk_fma_f16 v56, v72, v7, v56 op_sel:[0,1,0]
	;; [unrolled: 1-line block ×4, first 2 shown]
	v_pk_fma_f16 v79, v71, v7, v187 op_sel_hi:[1,0,1]
	v_pk_fma_f16 v71, v72, v6, v188 op_sel_hi:[1,0,1]
	v_pk_fma_f16 v80, v72, v6, v189 op_sel:[0,1,0]
	v_pk_fma_f16 v183, v72, v7, v190 op_sel_hi:[1,0,1]
	v_pk_fma_f16 v72, v73, v6, v191 op_sel_hi:[1,0,1]
	v_pk_fma_f16 v184, v73, v6, v192 op_sel:[0,1,0]
	;; [unrolled: 3-line block ×3, first 2 shown]
	v_pk_fma_f16 v58, v74, v7, v58 op_sel:[0,1,0]
	v_pk_fma_f16 v66, v75, v6, v66 op_sel_hi:[1,0,1]
	v_pk_fma_f16 v8, v75, v6, v8 op_sel:[0,1,0]
	v_pk_fma_f16 v59, v75, v7, v59 op_sel:[0,1,0]
	v_pk_fma_f16 v62, v76, v6, v62 op_sel_hi:[1,0,1]
	v_pk_fma_f16 v63, v76, v6, v63 op_sel:[0,1,0]
	;; [unrolled: 3-line block ×3, first 2 shown]
	v_pk_fma_f16 v6, v77, v7, v10 op_sel_hi:[1,0,1]
	v_pk_fma_f16 v10, v85, v111, v61 op_sel:[0,1,0]
	v_pk_fma_f16 v54, v85, v112, v54 op_sel:[0,1,0]
	v_pk_fma_f16 v61, v86, v111, v70 op_sel_hi:[1,0,1]
	v_pk_fma_f16 v55, v86, v112, v55 op_sel:[0,1,0]
	v_pk_fma_f16 v56, v87, v112, v56 op_sel:[0,1,0]
	;; [unrolled: 1-line block ×7, first 2 shown]
	v_pk_fma_f16 v61, v96, v113, v61 op_sel_hi:[1,0,1]
	v_pk_fma_f16 v55, v96, v114, v55 op_sel:[0,1,0]
	v_pk_fma_f16 v56, v97, v114, v56 op_sel:[0,1,0]
	;; [unrolled: 1-line block ×7, first 2 shown]
	v_pk_fma_f16 v61, v104, v115, v61 op_sel_hi:[1,0,1]
	v_pk_fma_f16 v55, v104, v116, v55 op_sel:[0,1,0]
	v_pk_fma_f16 v56, v105, v116, v56 op_sel:[0,1,0]
	;; [unrolled: 1-line block ×3, first 2 shown]
	v_pk_fma_f16 v9, v75, v7, v9 op_sel_hi:[1,0,1]
	v_pk_fma_f16 v67, v76, v7, v67 op_sel_hi:[1,0,1]
	v_pk_fma_f16 v5, v77, v7, v5 op_sel:[0,1,0]
	v_pk_fma_f16 v78, v74, v7, v78 op_sel_hi:[1,0,1]
	v_pk_fma_f16 v7, v85, v111, v11 op_sel_hi:[1,0,1]
	;; [unrolled: 1-line block ×3, first 2 shown]
	v_pk_fma_f16 v64, v86, v111, v64 op_sel:[0,1,0]
	v_pk_fma_f16 v69, v86, v112, v79 op_sel_hi:[1,0,1]
	v_pk_fma_f16 v70, v87, v111, v71 op_sel_hi:[1,0,1]
	v_pk_fma_f16 v71, v87, v111, v80 op_sel:[0,1,0]
	v_pk_fma_f16 v74, v87, v112, v183 op_sel_hi:[1,0,1]
	v_pk_fma_f16 v72, v88, v111, v72 op_sel_hi:[1,0,1]
	v_pk_fma_f16 v75, v88, v111, v184 op_sel:[0,1,0]
	v_pk_fma_f16 v76, v88, v112, v185 op_sel_hi:[1,0,1]
	v_pk_fma_f16 v58, v107, v116, v58 op_sel:[0,1,0]
	v_pk_fma_f16 v59, v108, v116, v59 op_sel:[0,1,0]
	;; [unrolled: 1-line block ×4, first 2 shown]
	v_pk_fma_f16 v61, v120, v117, v61 op_sel_hi:[1,0,1]
	v_pk_fma_f16 v55, v120, v118, v55 op_sel:[0,1,0]
	v_pk_fma_f16 v56, v121, v118, v56 op_sel:[0,1,0]
	;; [unrolled: 1-line block ×3, first 2 shown]
	v_pk_fma_f16 v73, v91, v111, v73 op_sel_hi:[1,0,1]
	v_pk_fma_f16 v66, v92, v111, v66 op_sel_hi:[1,0,1]
	v_pk_fma_f16 v8, v92, v111, v8 op_sel:[0,1,0]
	v_pk_fma_f16 v9, v92, v112, v9 op_sel_hi:[1,0,1]
	v_pk_fma_f16 v67, v93, v112, v67 op_sel_hi:[1,0,1]
	;; [unrolled: 1-line block ×3, first 2 shown]
	v_pk_fma_f16 v4, v94, v111, v4 op_sel:[0,1,0]
	v_pk_fma_f16 v6, v94, v112, v6 op_sel_hi:[1,0,1]
	v_pk_fma_f16 v5, v94, v112, v5 op_sel:[0,1,0]
	v_pk_fma_f16 v77, v91, v111, v186 op_sel:[0,1,0]
	v_pk_fma_f16 v7, v95, v113, v7 op_sel_hi:[1,0,1]
	v_pk_fma_f16 v10, v95, v113, v10 op_sel:[0,1,0]
	v_pk_fma_f16 v11, v95, v114, v11 op_sel_hi:[1,0,1]
	;; [unrolled: 2-line block ×3, first 2 shown]
	v_pk_fma_f16 v70, v97, v113, v70 op_sel_hi:[1,0,1]
	v_pk_fma_f16 v71, v97, v113, v71 op_sel:[0,1,0]
	v_pk_fma_f16 v74, v97, v114, v74 op_sel_hi:[1,0,1]
	v_pk_fma_f16 v72, v98, v113, v72 op_sel_hi:[1,0,1]
	v_pk_fma_f16 v75, v98, v113, v75 op_sel:[0,1,0]
	v_pk_fma_f16 v76, v98, v114, v76 op_sel_hi:[1,0,1]
	v_pk_fma_f16 v58, v123, v118, v58 op_sel:[0,1,0]
	v_pk_fma_f16 v59, v124, v118, v59 op_sel:[0,1,0]
	;; [unrolled: 1-line block ×4, first 2 shown]
	v_pk_fma_f16 v61, v128, v151, v61 op_sel_hi:[1,0,1]
	v_pk_fma_f16 v55, v128, v152, v55 op_sel:[0,1,0]
	v_pk_fma_f16 v56, v129, v152, v56 op_sel:[0,1,0]
	;; [unrolled: 1-line block ×3, first 2 shown]
	v_pk_fma_f16 v73, v99, v113, v73 op_sel_hi:[1,0,1]
	v_pk_fma_f16 v66, v100, v113, v66 op_sel_hi:[1,0,1]
	v_pk_fma_f16 v8, v100, v113, v8 op_sel:[0,1,0]
	v_pk_fma_f16 v9, v100, v114, v9 op_sel_hi:[1,0,1]
	v_pk_fma_f16 v67, v101, v114, v67 op_sel_hi:[1,0,1]
	v_pk_fma_f16 v68, v102, v113, v68 op_sel_hi:[1,0,1]
	v_pk_fma_f16 v4, v102, v113, v4 op_sel:[0,1,0]
	v_pk_fma_f16 v6, v102, v114, v6 op_sel_hi:[1,0,1]
	v_pk_fma_f16 v5, v102, v114, v5 op_sel:[0,1,0]
	v_pk_fma_f16 v77, v99, v113, v77 op_sel:[0,1,0]
	v_pk_fma_f16 v7, v103, v115, v7 op_sel_hi:[1,0,1]
	v_pk_fma_f16 v10, v103, v115, v10 op_sel:[0,1,0]
	v_pk_fma_f16 v11, v103, v116, v11 op_sel_hi:[1,0,1]
	;; [unrolled: 2-line block ×3, first 2 shown]
	v_pk_fma_f16 v70, v105, v115, v70 op_sel_hi:[1,0,1]
	v_pk_fma_f16 v71, v105, v115, v71 op_sel:[0,1,0]
	v_pk_fma_f16 v74, v105, v116, v74 op_sel_hi:[1,0,1]
	v_pk_fma_f16 v72, v106, v115, v72 op_sel_hi:[1,0,1]
	v_pk_fma_f16 v75, v106, v115, v75 op_sel:[0,1,0]
	v_pk_fma_f16 v76, v106, v116, v76 op_sel_hi:[1,0,1]
	v_pk_fma_f16 v58, v131, v152, v58 op_sel:[0,1,0]
	v_pk_fma_f16 v59, v132, v152, v59 op_sel:[0,1,0]
	;; [unrolled: 1-line block ×4, first 2 shown]
	v_pk_fma_f16 v61, v136, v153, v61 op_sel_hi:[1,0,1]
	v_pk_fma_f16 v55, v136, v154, v55 op_sel:[0,1,0]
	v_pk_fma_f16 v56, v137, v154, v56 op_sel:[0,1,0]
	;; [unrolled: 1-line block ×3, first 2 shown]
	v_pk_fma_f16 v73, v107, v115, v73 op_sel_hi:[1,0,1]
	v_pk_fma_f16 v66, v108, v115, v66 op_sel_hi:[1,0,1]
	v_pk_fma_f16 v8, v108, v115, v8 op_sel:[0,1,0]
	v_pk_fma_f16 v9, v108, v116, v9 op_sel_hi:[1,0,1]
	v_pk_fma_f16 v67, v109, v116, v67 op_sel_hi:[1,0,1]
	;; [unrolled: 1-line block ×3, first 2 shown]
	v_pk_fma_f16 v4, v110, v115, v4 op_sel:[0,1,0]
	v_pk_fma_f16 v6, v110, v116, v6 op_sel_hi:[1,0,1]
	v_pk_fma_f16 v5, v110, v116, v5 op_sel:[0,1,0]
	v_pk_fma_f16 v78, v91, v112, v78 op_sel_hi:[1,0,1]
	v_pk_fma_f16 v62, v93, v111, v62 op_sel_hi:[1,0,1]
	v_pk_fma_f16 v63, v93, v111, v63 op_sel:[0,1,0]
	v_pk_fma_f16 v77, v107, v115, v77 op_sel:[0,1,0]
	v_pk_fma_f16 v7, v119, v117, v7 op_sel_hi:[1,0,1]
	v_pk_fma_f16 v10, v119, v117, v10 op_sel:[0,1,0]
	v_pk_fma_f16 v11, v119, v118, v11 op_sel_hi:[1,0,1]
	;; [unrolled: 2-line block ×3, first 2 shown]
	v_pk_fma_f16 v70, v121, v117, v70 op_sel_hi:[1,0,1]
	v_pk_fma_f16 v71, v121, v117, v71 op_sel:[0,1,0]
	v_pk_fma_f16 v74, v121, v118, v74 op_sel_hi:[1,0,1]
	v_pk_fma_f16 v72, v122, v117, v72 op_sel_hi:[1,0,1]
	v_pk_fma_f16 v75, v122, v117, v75 op_sel:[0,1,0]
	v_pk_fma_f16 v76, v122, v118, v76 op_sel_hi:[1,0,1]
	v_pk_fma_f16 v58, v139, v154, v58 op_sel:[0,1,0]
	v_pk_fma_f16 v59, v140, v154, v59 op_sel:[0,1,0]
	;; [unrolled: 1-line block ×4, first 2 shown]
	v_pk_fma_f16 v61, v144, v155, v61 op_sel_hi:[1,0,1]
	v_pk_fma_f16 v55, v144, v156, v55 op_sel:[0,1,0]
	v_pk_fma_f16 v56, v145, v156, v56 op_sel:[0,1,0]
	;; [unrolled: 1-line block ×3, first 2 shown]
	v_pk_fma_f16 v73, v123, v117, v73 op_sel_hi:[1,0,1]
	v_pk_fma_f16 v66, v124, v117, v66 op_sel_hi:[1,0,1]
	v_pk_fma_f16 v8, v124, v117, v8 op_sel:[0,1,0]
	v_pk_fma_f16 v9, v124, v118, v9 op_sel_hi:[1,0,1]
	v_pk_fma_f16 v67, v125, v118, v67 op_sel_hi:[1,0,1]
	;; [unrolled: 1-line block ×3, first 2 shown]
	v_pk_fma_f16 v4, v126, v117, v4 op_sel:[0,1,0]
	v_pk_fma_f16 v6, v126, v118, v6 op_sel_hi:[1,0,1]
	v_pk_fma_f16 v5, v126, v118, v5 op_sel:[0,1,0]
	v_pk_fma_f16 v78, v99, v114, v78 op_sel_hi:[1,0,1]
	v_pk_fma_f16 v62, v101, v113, v62 op_sel_hi:[1,0,1]
	v_pk_fma_f16 v63, v101, v113, v63 op_sel:[0,1,0]
	v_pk_fma_f16 v77, v123, v117, v77 op_sel:[0,1,0]
	v_pk_fma_f16 v7, v127, v151, v7 op_sel_hi:[1,0,1]
	v_pk_fma_f16 v10, v127, v151, v10 op_sel:[0,1,0]
	v_pk_fma_f16 v11, v127, v152, v11 op_sel_hi:[1,0,1]
	;; [unrolled: 2-line block ×3, first 2 shown]
	v_pk_fma_f16 v70, v129, v151, v70 op_sel_hi:[1,0,1]
	v_pk_fma_f16 v71, v129, v151, v71 op_sel:[0,1,0]
	v_pk_fma_f16 v74, v129, v152, v74 op_sel_hi:[1,0,1]
	v_pk_fma_f16 v72, v130, v151, v72 op_sel_hi:[1,0,1]
	v_pk_fma_f16 v75, v130, v151, v75 op_sel:[0,1,0]
	v_pk_fma_f16 v76, v130, v152, v76 op_sel_hi:[1,0,1]
	v_pk_fma_f16 v79, v147, v156, v58 op_sel:[0,1,0]
	v_pk_fma_f16 v80, v148, v156, v59 op_sel:[0,1,0]
	;; [unrolled: 1-line block ×4, first 2 shown]
	v_pk_fma_f16 v92, v160, v157, v61 op_sel_hi:[1,0,1]
	v_pk_fma_f16 v94, v160, v158, v55 op_sel:[0,1,0]
	v_pk_fma_f16 v97, v161, v158, v56 op_sel:[0,1,0]
	;; [unrolled: 1-line block ×3, first 2 shown]
	s_waitcnt vmcnt(3)
	ds_store_b128 v43, v[167:170]
	s_waitcnt vmcnt(2)
	ds_store_b128 v44, v[171:174]
	;; [unrolled: 2-line block ×4, first 2 shown]
	s_waitcnt lgkmcnt(0)
	s_barrier
	buffer_gl0_inv
	ds_load_2addr_b64 v[54:57], v90 offset1:32
	ds_load_b128 v[58:61], v42 offset:512
	v_pk_fma_f16 v73, v131, v151, v73 op_sel_hi:[1,0,1]
	v_pk_fma_f16 v66, v132, v151, v66 op_sel_hi:[1,0,1]
	v_pk_fma_f16 v8, v132, v151, v8 op_sel:[0,1,0]
	v_pk_fma_f16 v9, v132, v152, v9 op_sel_hi:[1,0,1]
	v_pk_fma_f16 v67, v133, v152, v67 op_sel_hi:[1,0,1]
	v_pk_fma_f16 v68, v134, v151, v68 op_sel_hi:[1,0,1]
	v_pk_fma_f16 v4, v134, v151, v4 op_sel:[0,1,0]
	v_pk_fma_f16 v6, v134, v152, v6 op_sel_hi:[1,0,1]
	v_pk_fma_f16 v5, v134, v152, v5 op_sel:[0,1,0]
	v_pk_fma_f16 v78, v107, v116, v78 op_sel_hi:[1,0,1]
	v_pk_fma_f16 v62, v109, v115, v62 op_sel_hi:[1,0,1]
	v_pk_fma_f16 v63, v109, v115, v63 op_sel:[0,1,0]
	v_pk_fma_f16 v77, v131, v151, v77 op_sel:[0,1,0]
	v_pk_fma_f16 v7, v135, v153, v7 op_sel_hi:[1,0,1]
	v_pk_fma_f16 v10, v135, v153, v10 op_sel:[0,1,0]
	v_pk_fma_f16 v11, v135, v154, v11 op_sel_hi:[1,0,1]
	v_pk_fma_f16 v64, v136, v153, v64 op_sel:[0,1,0]
	v_pk_fma_f16 v69, v136, v154, v69 op_sel_hi:[1,0,1]
	v_pk_fma_f16 v70, v137, v153, v70 op_sel_hi:[1,0,1]
	v_pk_fma_f16 v71, v137, v153, v71 op_sel:[0,1,0]
	v_pk_fma_f16 v74, v137, v154, v74 op_sel_hi:[1,0,1]
	v_pk_fma_f16 v72, v138, v153, v72 op_sel_hi:[1,0,1]
	v_pk_fma_f16 v75, v138, v153, v75 op_sel:[0,1,0]
	v_pk_fma_f16 v76, v138, v154, v76 op_sel_hi:[1,0,1]
	v_pk_fma_f16 v73, v139, v153, v73 op_sel_hi:[1,0,1]
	v_pk_fma_f16 v66, v140, v153, v66 op_sel_hi:[1,0,1]
	v_pk_fma_f16 v8, v140, v153, v8 op_sel:[0,1,0]
	v_pk_fma_f16 v9, v140, v154, v9 op_sel_hi:[1,0,1]
	v_pk_fma_f16 v67, v141, v154, v67 op_sel_hi:[1,0,1]
	v_pk_fma_f16 v68, v142, v153, v68 op_sel_hi:[1,0,1]
	v_pk_fma_f16 v4, v142, v153, v4 op_sel:[0,1,0]
	v_pk_fma_f16 v6, v142, v154, v6 op_sel_hi:[1,0,1]
	v_pk_fma_f16 v5, v142, v154, v5 op_sel:[0,1,0]
	v_pk_fma_f16 v78, v123, v118, v78 op_sel_hi:[1,0,1]
	v_pk_fma_f16 v62, v125, v117, v62 op_sel_hi:[1,0,1]
	v_pk_fma_f16 v63, v125, v117, v63 op_sel:[0,1,0]
	v_pk_fma_f16 v77, v139, v153, v77 op_sel:[0,1,0]
	v_pk_fma_f16 v7, v143, v155, v7 op_sel_hi:[1,0,1]
	v_pk_fma_f16 v10, v143, v155, v10 op_sel:[0,1,0]
	v_pk_fma_f16 v11, v143, v156, v11 op_sel_hi:[1,0,1]
	v_pk_fma_f16 v64, v144, v155, v64 op_sel:[0,1,0]
	v_pk_fma_f16 v69, v144, v156, v69 op_sel_hi:[1,0,1]
	v_pk_fma_f16 v70, v145, v155, v70 op_sel_hi:[1,0,1]
	v_pk_fma_f16 v71, v145, v155, v71 op_sel:[0,1,0]
	v_pk_fma_f16 v74, v145, v156, v74 op_sel_hi:[1,0,1]
	v_pk_fma_f16 v72, v146, v155, v72 op_sel_hi:[1,0,1]
	v_pk_fma_f16 v75, v146, v155, v75 op_sel:[0,1,0]
	v_pk_fma_f16 v76, v146, v156, v76 op_sel_hi:[1,0,1]
	;; [unrolled: 24-line block ×3, first 2 shown]
	v_pk_fma_f16 v101, v163, v157, v73 op_sel_hi:[1,0,1]
	v_pk_fma_f16 v103, v164, v157, v66 op_sel_hi:[1,0,1]
	v_pk_fma_f16 v104, v164, v157, v8 op_sel:[0,1,0]
	v_pk_fma_f16 v105, v164, v158, v9 op_sel_hi:[1,0,1]
	v_pk_fma_f16 v106, v165, v158, v67 op_sel_hi:[1,0,1]
	;; [unrolled: 1-line block ×3, first 2 shown]
	v_pk_fma_f16 v108, v166, v157, v4 op_sel:[0,1,0]
	v_pk_fma_f16 v109, v166, v158, v6 op_sel_hi:[1,0,1]
	v_pk_fma_f16 v110, v166, v158, v5 op_sel:[0,1,0]
	ds_load_2addr_b64 v[66:69], v90 offset0:64 offset1:96
	ds_load_b128 v[70:73], v42 offset:528
	ds_load_b128 v[8:11], v42 offset:544
	;; [unrolled: 1-line block ×3, first 2 shown]
	v_pk_fma_f16 v78, v139, v154, v78 op_sel_hi:[1,0,1]
	v_pk_fma_f16 v62, v141, v153, v62 op_sel_hi:[1,0,1]
	v_pk_fma_f16 v63, v141, v153, v63 op_sel:[0,1,0]
	v_pk_fma_f16 v102, v163, v157, v77 op_sel:[0,1,0]
	s_waitcnt lgkmcnt(4)
	v_pk_fma_f16 v86, v54, v58, v86 op_sel_hi:[1,0,1]
	v_pk_fma_f16 v87, v54, v58, v87 op_sel:[0,1,0]
	v_pk_fma_f16 v88, v54, v59, v88 op_sel_hi:[1,0,1]
	v_pk_fma_f16 v91, v54, v59, v91 op_sel:[0,1,0]
	;; [unrolled: 2-line block ×7, first 2 shown]
	ds_load_2addr_b64 v[74:77], v90 offset0:128 offset1:160
	v_pk_fma_f16 v99, v57, v59, v99 op_sel_hi:[1,0,1]
	v_pk_fma_f16 v100, v57, v59, v100 op_sel:[0,1,0]
	ds_load_2addr_b64 v[54:57], v90 offset0:192 offset1:224
	v_pk_fma_f16 v78, v147, v156, v78 op_sel_hi:[1,0,1]
	v_pk_fma_f16 v62, v149, v155, v62 op_sel_hi:[1,0,1]
	v_pk_fma_f16 v63, v149, v155, v63 op_sel:[0,1,0]
	v_pk_fma_f16 v79, v163, v158, v79 op_sel:[0,1,0]
	v_pk_fma_f16 v80, v164, v158, v80 op_sel:[0,1,0]
	v_pk_fma_f16 v78, v163, v158, v78 op_sel_hi:[1,0,1]
	v_pk_fma_f16 v62, v165, v157, v62 op_sel_hi:[1,0,1]
	v_pk_fma_f16 v63, v165, v157, v63 op_sel:[0,1,0]
	v_pk_fma_f16 v85, v165, v158, v85 op_sel:[0,1,0]
	s_waitcnt lgkmcnt(5)
	v_pk_fma_f16 v101, v66, v58, v101 op_sel_hi:[1,0,1]
	v_pk_fma_f16 v102, v66, v58, v102 op_sel:[0,1,0]
	v_pk_fma_f16 v78, v66, v59, v78 op_sel_hi:[1,0,1]
	v_pk_fma_f16 v79, v66, v59, v79 op_sel:[0,1,0]
	;; [unrolled: 2-line block ×8, first 2 shown]
	ds_load_2addr_b64 v[66:69], v89 offset1:32
	s_waitcnt lgkmcnt(2)
	v_pk_fma_f16 v86, v74, v60, v86 op_sel_hi:[1,0,1]
	v_pk_fma_f16 v87, v74, v60, v87 op_sel:[0,1,0]
	v_pk_fma_f16 v88, v74, v61, v88 op_sel_hi:[1,0,1]
	v_pk_fma_f16 v91, v74, v61, v91 op_sel:[0,1,0]
	;; [unrolled: 2-line block ×8, first 2 shown]
	s_waitcnt lgkmcnt(1)
	v_pk_fma_f16 v101, v54, v60, v101 op_sel_hi:[1,0,1]
	v_pk_fma_f16 v102, v54, v60, v102 op_sel:[0,1,0]
	v_pk_fma_f16 v78, v54, v61, v78 op_sel_hi:[1,0,1]
	v_pk_fma_f16 v79, v54, v61, v79 op_sel:[0,1,0]
	;; [unrolled: 2-line block ×7, first 2 shown]
	ds_load_2addr_b64 v[74:77], v89 offset0:64 offset1:96
	v_pk_fma_f16 v108, v57, v61, v108 op_sel_hi:[1,0,1]
	v_pk_fma_f16 v111, v57, v61, v59 op_sel:[0,1,0]
	ds_load_2addr_b64 v[54:57], v89 offset0:128 offset1:160
	s_waitcnt lgkmcnt(2)
	v_pk_fma_f16 v86, v66, v70, v86 op_sel_hi:[1,0,1]
	v_pk_fma_f16 v87, v66, v70, v87 op_sel:[0,1,0]
	v_pk_fma_f16 v88, v66, v71, v88 op_sel_hi:[1,0,1]
	v_pk_fma_f16 v66, v66, v71, v91 op_sel:[0,1,0]
	;; [unrolled: 2-line block ×8, first 2 shown]
	s_waitcnt lgkmcnt(1)
	v_pk_fma_f16 v100, v74, v70, v101 op_sel_hi:[1,0,1]
	v_pk_fma_f16 v101, v74, v70, v102 op_sel:[0,1,0]
	v_pk_fma_f16 v78, v74, v71, v78 op_sel_hi:[1,0,1]
	v_pk_fma_f16 v74, v74, v71, v79 op_sel:[0,1,0]
	;; [unrolled: 2-line block ×7, first 2 shown]
	ds_load_2addr_b64 v[58:61], v89 offset0:192 offset1:224
	v_pk_fma_f16 v104, v77, v71, v108 op_sel_hi:[1,0,1]
	v_pk_fma_f16 v71, v77, v71, v111 op_sel:[0,1,0]
	s_waitcnt lgkmcnt(1)
	v_pk_fma_f16 v77, v54, v72, v86 op_sel_hi:[1,0,1]
	v_pk_fma_f16 v86, v54, v72, v87 op_sel:[0,1,0]
	v_pk_fma_f16 v87, v54, v73, v88 op_sel_hi:[1,0,1]
	v_pk_fma_f16 v88, v54, v73, v66 op_sel:[0,1,0]
	v_pk_fma_f16 v105, v55, v73, v67 op_sel:[0,1,0]
	;; [unrolled: 1-line block ×3, first 2 shown]
	ds_load_2addr_b64 v[66:69], v52 offset1:32
	v_pk_fma_f16 v91, v55, v72, v91 op_sel_hi:[1,0,1]
	v_pk_fma_f16 v64, v55, v72, v64 op_sel:[0,1,0]
	v_pk_fma_f16 v92, v55, v73, v92 op_sel_hi:[1,0,1]
	v_pk_fma_f16 v93, v56, v72, v93 op_sel_hi:[1,0,1]
	v_pk_fma_f16 v94, v56, v72, v94 op_sel:[0,1,0]
	v_pk_fma_f16 v95, v56, v73, v95 op_sel_hi:[1,0,1]
	;; [unrolled: 3-line block ×3, first 2 shown]
	v_pk_fma_f16 v99, v57, v73, v99 op_sel:[0,1,0]
	ds_load_2addr_b64 v[54:57], v52 offset0:64 offset1:96
	s_or_b32 s8, s3, 0x50
	s_waitcnt lgkmcnt(2)
	v_pk_fma_f16 v100, v58, v72, v100 op_sel_hi:[1,0,1]
	v_pk_fma_f16 v101, v58, v72, v101 op_sel:[0,1,0]
	v_pk_fma_f16 v78, v58, v73, v78 op_sel_hi:[1,0,1]
	v_pk_fma_f16 v74, v58, v73, v74 op_sel:[0,1,0]
	;; [unrolled: 2-line block ×8, first 2 shown]
	s_waitcnt lgkmcnt(1)
	v_pk_fma_f16 v73, v66, v8, v77 op_sel_hi:[1,0,1]
	v_pk_fma_f16 v77, v66, v8, v86 op_sel:[0,1,0]
	v_pk_fma_f16 v86, v66, v9, v87 op_sel_hi:[1,0,1]
	v_pk_fma_f16 v87, v66, v9, v88 op_sel:[0,1,0]
	;; [unrolled: 2-line block ×7, first 2 shown]
	ds_load_2addr_b64 v[58:61], v52 offset0:128 offset1:160
	v_pk_fma_f16 v98, v69, v9, v98 op_sel_hi:[1,0,1]
	v_pk_fma_f16 v99, v69, v9, v99 op_sel:[0,1,0]
	ds_load_2addr_b64 v[66:69], v52 offset0:192 offset1:224
	s_mul_hi_i32 s19, s8, s10
	s_mul_i32 s18, s8, s10
	s_waitcnt lgkmcnt(2)
	v_pk_fma_f16 v100, v54, v8, v100 op_sel_hi:[1,0,1]
	s_lshl_b64 s[18:19], s[18:19], 2
	v_pk_fma_f16 v101, v54, v8, v101 op_sel:[0,1,0]
	s_add_u32 s8, s11, s18
	v_pk_fma_f16 v78, v54, v9, v78 op_sel_hi:[1,0,1]
	v_pk_fma_f16 v54, v54, v9, v74 op_sel:[0,1,0]
	v_pk_fma_f16 v74, v55, v8, v79 op_sel_hi:[1,0,1]
	v_pk_fma_f16 v79, v55, v8, v102 op_sel:[0,1,0]
	;; [unrolled: 2-line block ×4, first 2 shown]
	s_addc_u32 s18, s17, s19
	v_add_co_u32 v8, vcc_lo, s8, v27
	v_pk_fma_f16 v183, v55, v9, v103 op_sel_hi:[1,0,1]
	v_pk_fma_f16 v184, v55, v9, v75 op_sel:[0,1,0]
	v_pk_fma_f16 v80, v56, v9, v80 op_sel_hi:[1,0,1]
	v_pk_fma_f16 v187, v56, v9, v76 op_sel:[0,1,0]
	;; [unrolled: 2-line block ×3, first 2 shown]
	v_add_co_ci_u32_e32 v9, vcc_lo, s18, v28, vcc_lo
	v_add_co_u32 v62, vcc_lo, s8, v29
	v_add_co_ci_u32_e32 v63, vcc_lo, s18, v30, vcc_lo
	v_add_co_u32 v8, vcc_lo, v8, v39
	s_delay_alu instid0(VALU_DEP_4) | instskip(NEXT) | instid1(VALU_DEP_4)
	v_add_co_ci_u32_e32 v9, vcc_lo, 0, v9, vcc_lo
	v_add_co_u32 v62, vcc_lo, v62, v39
	s_delay_alu instid0(VALU_DEP_4)
	v_add_co_ci_u32_e32 v63, vcc_lo, 0, v63, vcc_lo
	s_waitcnt lgkmcnt(1)
	v_pk_fma_f16 v192, v58, v10, v73 op_sel_hi:[1,0,1]
	v_pk_fma_f16 v193, v58, v10, v77 op_sel:[0,1,0]
	v_pk_fma_f16 v194, v58, v11, v86 op_sel_hi:[1,0,1]
	v_pk_fma_f16 v195, v58, v11, v87 op_sel:[0,1,0]
	;; [unrolled: 2-line block ×8, first 2 shown]
	s_waitcnt lgkmcnt(0)
	v_pk_fma_f16 v207, v66, v10, v100 op_sel_hi:[1,0,1]
	v_pk_fma_f16 v208, v66, v10, v101 op_sel:[0,1,0]
	v_pk_fma_f16 v78, v66, v11, v78 op_sel_hi:[1,0,1]
	v_pk_fma_f16 v66, v66, v11, v54 op_sel:[0,1,0]
	v_pk_fma_f16 v209, v67, v10, v74 op_sel_hi:[1,0,1]
	ds_load_2addr_b64 v[54:57], v53 offset1:32
	ds_load_2addr_b64 v[58:61], v53 offset0:64 offset1:96
	ds_load_2addr_b64 v[70:73], v53 offset0:128 offset1:160
	;; [unrolled: 1-line block ×3, first 2 shown]
	ds_load_2addr_b64 v[85:88], v51 offset1:32
	ds_load_2addr_b64 v[91:94], v51 offset0:64 offset1:96
	ds_load_2addr_b64 v[95:98], v51 offset0:128 offset1:160
	;; [unrolled: 1-line block ×3, first 2 shown]
	ds_load_2addr_b64 v[103:106], v50 offset1:32
	ds_load_2addr_b64 v[107:110], v50 offset0:64 offset1:96
	ds_load_b128 v[111:114], v42 offset:576
	ds_load_b128 v[115:118], v42 offset:592
	ds_load_2addr_b64 v[119:122], v50 offset0:128 offset1:160
	ds_load_2addr_b64 v[123:126], v50 offset0:192 offset1:224
	ds_load_2addr_b64 v[127:130], v49 offset1:32
	ds_load_2addr_b64 v[131:134], v49 offset0:64 offset1:96
	ds_load_2addr_b64 v[135:138], v49 offset0:128 offset1:160
	;; [unrolled: 1-line block ×3, first 2 shown]
	ds_load_2addr_b64 v[143:146], v48 offset1:32
	ds_load_2addr_b64 v[147:150], v48 offset0:64 offset1:96
	ds_load_b128 v[151:154], v42 offset:608
	ds_load_b128 v[155:158], v42 offset:624
	ds_load_2addr_b64 v[159:162], v48 offset0:128 offset1:160
	ds_load_2addr_b64 v[163:166], v48 offset0:192 offset1:224
	s_waitcnt lgkmcnt(0)
	s_barrier
	buffer_gl0_inv
	s_clause 0x3
	global_load_b128 v[167:170], v[8:9], off
	global_load_b128 v[171:174], v[8:9], off offset:512
	global_load_b128 v[175:178], v[62:63], off
	global_load_b128 v[179:182], v[62:63], off offset:512
	v_pk_fma_f16 v8, v67, v10, v79 op_sel:[0,1,0]
	v_pk_fma_f16 v9, v67, v11, v183 op_sel_hi:[1,0,1]
	v_pk_fma_f16 v62, v67, v11, v184 op_sel:[0,1,0]
	v_pk_fma_f16 v63, v68, v10, v185 op_sel_hi:[1,0,1]
	;; [unrolled: 2-line block ×24, first 2 shown]
	v_pk_fma_f16 v55, v71, v7, v55 op_sel:[0,1,0]
	v_pk_fma_f16 v56, v72, v7, v56 op_sel:[0,1,0]
	;; [unrolled: 1-line block ×4, first 2 shown]
	v_pk_fma_f16 v79, v71, v7, v187 op_sel_hi:[1,0,1]
	v_pk_fma_f16 v71, v72, v6, v188 op_sel_hi:[1,0,1]
	v_pk_fma_f16 v80, v72, v6, v189 op_sel:[0,1,0]
	v_pk_fma_f16 v183, v72, v7, v190 op_sel_hi:[1,0,1]
	v_pk_fma_f16 v72, v73, v6, v191 op_sel_hi:[1,0,1]
	v_pk_fma_f16 v184, v73, v6, v192 op_sel:[0,1,0]
	;; [unrolled: 3-line block ×3, first 2 shown]
	v_pk_fma_f16 v58, v74, v7, v58 op_sel:[0,1,0]
	v_pk_fma_f16 v66, v75, v6, v66 op_sel_hi:[1,0,1]
	v_pk_fma_f16 v8, v75, v6, v8 op_sel:[0,1,0]
	v_pk_fma_f16 v59, v75, v7, v59 op_sel:[0,1,0]
	v_pk_fma_f16 v62, v76, v6, v62 op_sel_hi:[1,0,1]
	v_pk_fma_f16 v63, v76, v6, v63 op_sel:[0,1,0]
	;; [unrolled: 3-line block ×3, first 2 shown]
	v_pk_fma_f16 v6, v77, v7, v10 op_sel_hi:[1,0,1]
	v_pk_fma_f16 v10, v85, v111, v61 op_sel:[0,1,0]
	v_pk_fma_f16 v54, v85, v112, v54 op_sel:[0,1,0]
	v_pk_fma_f16 v61, v86, v111, v70 op_sel_hi:[1,0,1]
	v_pk_fma_f16 v55, v86, v112, v55 op_sel:[0,1,0]
	v_pk_fma_f16 v56, v87, v112, v56 op_sel:[0,1,0]
	;; [unrolled: 1-line block ×7, first 2 shown]
	v_pk_fma_f16 v61, v96, v113, v61 op_sel_hi:[1,0,1]
	v_pk_fma_f16 v55, v96, v114, v55 op_sel:[0,1,0]
	v_pk_fma_f16 v56, v97, v114, v56 op_sel:[0,1,0]
	v_pk_fma_f16 v57, v98, v114, v57 op_sel:[0,1,0]
	v_pk_fma_f16 v58, v99, v114, v58 op_sel:[0,1,0]
	v_pk_fma_f16 v59, v100, v114, v59 op_sel:[0,1,0]
	v_pk_fma_f16 v60, v101, v114, v60 op_sel:[0,1,0]
	v_pk_fma_f16 v54, v103, v116, v54 op_sel:[0,1,0]
	v_pk_fma_f16 v61, v104, v115, v61 op_sel_hi:[1,0,1]
	v_pk_fma_f16 v55, v104, v116, v55 op_sel:[0,1,0]
	v_pk_fma_f16 v56, v105, v116, v56 op_sel:[0,1,0]
	;; [unrolled: 1-line block ×3, first 2 shown]
	v_pk_fma_f16 v9, v75, v7, v9 op_sel_hi:[1,0,1]
	v_pk_fma_f16 v67, v76, v7, v67 op_sel_hi:[1,0,1]
	v_pk_fma_f16 v5, v77, v7, v5 op_sel:[0,1,0]
	v_pk_fma_f16 v78, v74, v7, v78 op_sel_hi:[1,0,1]
	v_pk_fma_f16 v7, v85, v111, v11 op_sel_hi:[1,0,1]
	;; [unrolled: 1-line block ×3, first 2 shown]
	v_pk_fma_f16 v64, v86, v111, v64 op_sel:[0,1,0]
	v_pk_fma_f16 v69, v86, v112, v79 op_sel_hi:[1,0,1]
	v_pk_fma_f16 v70, v87, v111, v71 op_sel_hi:[1,0,1]
	v_pk_fma_f16 v71, v87, v111, v80 op_sel:[0,1,0]
	v_pk_fma_f16 v74, v87, v112, v183 op_sel_hi:[1,0,1]
	v_pk_fma_f16 v72, v88, v111, v72 op_sel_hi:[1,0,1]
	v_pk_fma_f16 v75, v88, v111, v184 op_sel:[0,1,0]
	v_pk_fma_f16 v76, v88, v112, v185 op_sel_hi:[1,0,1]
	v_pk_fma_f16 v58, v107, v116, v58 op_sel:[0,1,0]
	v_pk_fma_f16 v59, v108, v116, v59 op_sel:[0,1,0]
	v_pk_fma_f16 v60, v109, v116, v60 op_sel:[0,1,0]
	v_pk_fma_f16 v54, v119, v118, v54 op_sel:[0,1,0]
	v_pk_fma_f16 v61, v120, v117, v61 op_sel_hi:[1,0,1]
	v_pk_fma_f16 v55, v120, v118, v55 op_sel:[0,1,0]
	v_pk_fma_f16 v56, v121, v118, v56 op_sel:[0,1,0]
	;; [unrolled: 1-line block ×3, first 2 shown]
	v_pk_fma_f16 v73, v91, v111, v73 op_sel_hi:[1,0,1]
	v_pk_fma_f16 v66, v92, v111, v66 op_sel_hi:[1,0,1]
	v_pk_fma_f16 v8, v92, v111, v8 op_sel:[0,1,0]
	v_pk_fma_f16 v9, v92, v112, v9 op_sel_hi:[1,0,1]
	v_pk_fma_f16 v67, v93, v112, v67 op_sel_hi:[1,0,1]
	;; [unrolled: 1-line block ×3, first 2 shown]
	v_pk_fma_f16 v4, v94, v111, v4 op_sel:[0,1,0]
	v_pk_fma_f16 v6, v94, v112, v6 op_sel_hi:[1,0,1]
	v_pk_fma_f16 v5, v94, v112, v5 op_sel:[0,1,0]
	v_pk_fma_f16 v77, v91, v111, v186 op_sel:[0,1,0]
	v_pk_fma_f16 v7, v95, v113, v7 op_sel_hi:[1,0,1]
	v_pk_fma_f16 v10, v95, v113, v10 op_sel:[0,1,0]
	v_pk_fma_f16 v11, v95, v114, v11 op_sel_hi:[1,0,1]
	;; [unrolled: 2-line block ×3, first 2 shown]
	v_pk_fma_f16 v70, v97, v113, v70 op_sel_hi:[1,0,1]
	v_pk_fma_f16 v71, v97, v113, v71 op_sel:[0,1,0]
	v_pk_fma_f16 v74, v97, v114, v74 op_sel_hi:[1,0,1]
	v_pk_fma_f16 v72, v98, v113, v72 op_sel_hi:[1,0,1]
	v_pk_fma_f16 v75, v98, v113, v75 op_sel:[0,1,0]
	v_pk_fma_f16 v76, v98, v114, v76 op_sel_hi:[1,0,1]
	v_pk_fma_f16 v58, v123, v118, v58 op_sel:[0,1,0]
	v_pk_fma_f16 v59, v124, v118, v59 op_sel:[0,1,0]
	;; [unrolled: 1-line block ×4, first 2 shown]
	v_pk_fma_f16 v61, v128, v151, v61 op_sel_hi:[1,0,1]
	v_pk_fma_f16 v55, v128, v152, v55 op_sel:[0,1,0]
	v_pk_fma_f16 v56, v129, v152, v56 op_sel:[0,1,0]
	;; [unrolled: 1-line block ×3, first 2 shown]
	v_pk_fma_f16 v73, v99, v113, v73 op_sel_hi:[1,0,1]
	v_pk_fma_f16 v66, v100, v113, v66 op_sel_hi:[1,0,1]
	v_pk_fma_f16 v8, v100, v113, v8 op_sel:[0,1,0]
	v_pk_fma_f16 v9, v100, v114, v9 op_sel_hi:[1,0,1]
	v_pk_fma_f16 v67, v101, v114, v67 op_sel_hi:[1,0,1]
	v_pk_fma_f16 v68, v102, v113, v68 op_sel_hi:[1,0,1]
	v_pk_fma_f16 v4, v102, v113, v4 op_sel:[0,1,0]
	v_pk_fma_f16 v6, v102, v114, v6 op_sel_hi:[1,0,1]
	v_pk_fma_f16 v5, v102, v114, v5 op_sel:[0,1,0]
	v_pk_fma_f16 v77, v99, v113, v77 op_sel:[0,1,0]
	v_pk_fma_f16 v7, v103, v115, v7 op_sel_hi:[1,0,1]
	v_pk_fma_f16 v10, v103, v115, v10 op_sel:[0,1,0]
	v_pk_fma_f16 v11, v103, v116, v11 op_sel_hi:[1,0,1]
	;; [unrolled: 2-line block ×3, first 2 shown]
	v_pk_fma_f16 v70, v105, v115, v70 op_sel_hi:[1,0,1]
	v_pk_fma_f16 v71, v105, v115, v71 op_sel:[0,1,0]
	v_pk_fma_f16 v74, v105, v116, v74 op_sel_hi:[1,0,1]
	v_pk_fma_f16 v72, v106, v115, v72 op_sel_hi:[1,0,1]
	v_pk_fma_f16 v75, v106, v115, v75 op_sel:[0,1,0]
	v_pk_fma_f16 v76, v106, v116, v76 op_sel_hi:[1,0,1]
	v_pk_fma_f16 v58, v131, v152, v58 op_sel:[0,1,0]
	v_pk_fma_f16 v59, v132, v152, v59 op_sel:[0,1,0]
	;; [unrolled: 1-line block ×4, first 2 shown]
	v_pk_fma_f16 v61, v136, v153, v61 op_sel_hi:[1,0,1]
	v_pk_fma_f16 v55, v136, v154, v55 op_sel:[0,1,0]
	v_pk_fma_f16 v56, v137, v154, v56 op_sel:[0,1,0]
	v_pk_fma_f16 v57, v138, v154, v57 op_sel:[0,1,0]
	v_pk_fma_f16 v73, v107, v115, v73 op_sel_hi:[1,0,1]
	v_pk_fma_f16 v66, v108, v115, v66 op_sel_hi:[1,0,1]
	v_pk_fma_f16 v8, v108, v115, v8 op_sel:[0,1,0]
	v_pk_fma_f16 v9, v108, v116, v9 op_sel_hi:[1,0,1]
	v_pk_fma_f16 v67, v109, v116, v67 op_sel_hi:[1,0,1]
	;; [unrolled: 1-line block ×3, first 2 shown]
	v_pk_fma_f16 v4, v110, v115, v4 op_sel:[0,1,0]
	v_pk_fma_f16 v6, v110, v116, v6 op_sel_hi:[1,0,1]
	v_pk_fma_f16 v5, v110, v116, v5 op_sel:[0,1,0]
	v_pk_fma_f16 v78, v91, v112, v78 op_sel_hi:[1,0,1]
	v_pk_fma_f16 v62, v93, v111, v62 op_sel_hi:[1,0,1]
	v_pk_fma_f16 v63, v93, v111, v63 op_sel:[0,1,0]
	v_pk_fma_f16 v77, v107, v115, v77 op_sel:[0,1,0]
	v_pk_fma_f16 v7, v119, v117, v7 op_sel_hi:[1,0,1]
	v_pk_fma_f16 v10, v119, v117, v10 op_sel:[0,1,0]
	v_pk_fma_f16 v11, v119, v118, v11 op_sel_hi:[1,0,1]
	;; [unrolled: 2-line block ×3, first 2 shown]
	v_pk_fma_f16 v70, v121, v117, v70 op_sel_hi:[1,0,1]
	v_pk_fma_f16 v71, v121, v117, v71 op_sel:[0,1,0]
	v_pk_fma_f16 v74, v121, v118, v74 op_sel_hi:[1,0,1]
	v_pk_fma_f16 v72, v122, v117, v72 op_sel_hi:[1,0,1]
	v_pk_fma_f16 v75, v122, v117, v75 op_sel:[0,1,0]
	v_pk_fma_f16 v76, v122, v118, v76 op_sel_hi:[1,0,1]
	v_pk_fma_f16 v58, v139, v154, v58 op_sel:[0,1,0]
	v_pk_fma_f16 v59, v140, v154, v59 op_sel:[0,1,0]
	;; [unrolled: 1-line block ×4, first 2 shown]
	v_pk_fma_f16 v61, v144, v155, v61 op_sel_hi:[1,0,1]
	v_pk_fma_f16 v55, v144, v156, v55 op_sel:[0,1,0]
	v_pk_fma_f16 v56, v145, v156, v56 op_sel:[0,1,0]
	;; [unrolled: 1-line block ×3, first 2 shown]
	v_pk_fma_f16 v73, v123, v117, v73 op_sel_hi:[1,0,1]
	v_pk_fma_f16 v66, v124, v117, v66 op_sel_hi:[1,0,1]
	v_pk_fma_f16 v8, v124, v117, v8 op_sel:[0,1,0]
	v_pk_fma_f16 v9, v124, v118, v9 op_sel_hi:[1,0,1]
	v_pk_fma_f16 v67, v125, v118, v67 op_sel_hi:[1,0,1]
	;; [unrolled: 1-line block ×3, first 2 shown]
	v_pk_fma_f16 v4, v126, v117, v4 op_sel:[0,1,0]
	v_pk_fma_f16 v6, v126, v118, v6 op_sel_hi:[1,0,1]
	v_pk_fma_f16 v5, v126, v118, v5 op_sel:[0,1,0]
	v_pk_fma_f16 v78, v99, v114, v78 op_sel_hi:[1,0,1]
	v_pk_fma_f16 v62, v101, v113, v62 op_sel_hi:[1,0,1]
	v_pk_fma_f16 v63, v101, v113, v63 op_sel:[0,1,0]
	v_pk_fma_f16 v77, v123, v117, v77 op_sel:[0,1,0]
	v_pk_fma_f16 v7, v127, v151, v7 op_sel_hi:[1,0,1]
	v_pk_fma_f16 v10, v127, v151, v10 op_sel:[0,1,0]
	v_pk_fma_f16 v11, v127, v152, v11 op_sel_hi:[1,0,1]
	;; [unrolled: 2-line block ×3, first 2 shown]
	v_pk_fma_f16 v70, v129, v151, v70 op_sel_hi:[1,0,1]
	v_pk_fma_f16 v71, v129, v151, v71 op_sel:[0,1,0]
	v_pk_fma_f16 v74, v129, v152, v74 op_sel_hi:[1,0,1]
	v_pk_fma_f16 v72, v130, v151, v72 op_sel_hi:[1,0,1]
	v_pk_fma_f16 v75, v130, v151, v75 op_sel:[0,1,0]
	v_pk_fma_f16 v76, v130, v152, v76 op_sel_hi:[1,0,1]
	v_pk_fma_f16 v79, v147, v156, v58 op_sel:[0,1,0]
	v_pk_fma_f16 v80, v148, v156, v59 op_sel:[0,1,0]
	;; [unrolled: 1-line block ×4, first 2 shown]
	v_pk_fma_f16 v92, v160, v157, v61 op_sel_hi:[1,0,1]
	v_pk_fma_f16 v94, v160, v158, v55 op_sel:[0,1,0]
	v_pk_fma_f16 v97, v161, v158, v56 op_sel:[0,1,0]
	;; [unrolled: 1-line block ×3, first 2 shown]
	s_waitcnt vmcnt(3)
	ds_store_b128 v43, v[167:170]
	s_waitcnt vmcnt(2)
	ds_store_b128 v44, v[171:174]
	;; [unrolled: 2-line block ×4, first 2 shown]
	s_waitcnt lgkmcnt(0)
	s_barrier
	buffer_gl0_inv
	ds_load_2addr_b64 v[54:57], v90 offset1:32
	ds_load_b128 v[58:61], v42 offset:640
	v_pk_fma_f16 v73, v131, v151, v73 op_sel_hi:[1,0,1]
	v_pk_fma_f16 v66, v132, v151, v66 op_sel_hi:[1,0,1]
	v_pk_fma_f16 v8, v132, v151, v8 op_sel:[0,1,0]
	v_pk_fma_f16 v9, v132, v152, v9 op_sel_hi:[1,0,1]
	v_pk_fma_f16 v67, v133, v152, v67 op_sel_hi:[1,0,1]
	v_pk_fma_f16 v68, v134, v151, v68 op_sel_hi:[1,0,1]
	v_pk_fma_f16 v4, v134, v151, v4 op_sel:[0,1,0]
	v_pk_fma_f16 v6, v134, v152, v6 op_sel_hi:[1,0,1]
	v_pk_fma_f16 v5, v134, v152, v5 op_sel:[0,1,0]
	v_pk_fma_f16 v78, v107, v116, v78 op_sel_hi:[1,0,1]
	v_pk_fma_f16 v62, v109, v115, v62 op_sel_hi:[1,0,1]
	v_pk_fma_f16 v63, v109, v115, v63 op_sel:[0,1,0]
	v_pk_fma_f16 v77, v131, v151, v77 op_sel:[0,1,0]
	v_pk_fma_f16 v7, v135, v153, v7 op_sel_hi:[1,0,1]
	v_pk_fma_f16 v10, v135, v153, v10 op_sel:[0,1,0]
	v_pk_fma_f16 v11, v135, v154, v11 op_sel_hi:[1,0,1]
	v_pk_fma_f16 v64, v136, v153, v64 op_sel:[0,1,0]
	v_pk_fma_f16 v69, v136, v154, v69 op_sel_hi:[1,0,1]
	v_pk_fma_f16 v70, v137, v153, v70 op_sel_hi:[1,0,1]
	v_pk_fma_f16 v71, v137, v153, v71 op_sel:[0,1,0]
	v_pk_fma_f16 v74, v137, v154, v74 op_sel_hi:[1,0,1]
	v_pk_fma_f16 v72, v138, v153, v72 op_sel_hi:[1,0,1]
	v_pk_fma_f16 v75, v138, v153, v75 op_sel:[0,1,0]
	v_pk_fma_f16 v76, v138, v154, v76 op_sel_hi:[1,0,1]
	v_pk_fma_f16 v73, v139, v153, v73 op_sel_hi:[1,0,1]
	v_pk_fma_f16 v66, v140, v153, v66 op_sel_hi:[1,0,1]
	v_pk_fma_f16 v8, v140, v153, v8 op_sel:[0,1,0]
	v_pk_fma_f16 v9, v140, v154, v9 op_sel_hi:[1,0,1]
	v_pk_fma_f16 v67, v141, v154, v67 op_sel_hi:[1,0,1]
	v_pk_fma_f16 v68, v142, v153, v68 op_sel_hi:[1,0,1]
	v_pk_fma_f16 v4, v142, v153, v4 op_sel:[0,1,0]
	v_pk_fma_f16 v6, v142, v154, v6 op_sel_hi:[1,0,1]
	v_pk_fma_f16 v5, v142, v154, v5 op_sel:[0,1,0]
	v_pk_fma_f16 v78, v123, v118, v78 op_sel_hi:[1,0,1]
	v_pk_fma_f16 v62, v125, v117, v62 op_sel_hi:[1,0,1]
	v_pk_fma_f16 v63, v125, v117, v63 op_sel:[0,1,0]
	v_pk_fma_f16 v77, v139, v153, v77 op_sel:[0,1,0]
	v_pk_fma_f16 v7, v143, v155, v7 op_sel_hi:[1,0,1]
	v_pk_fma_f16 v10, v143, v155, v10 op_sel:[0,1,0]
	v_pk_fma_f16 v11, v143, v156, v11 op_sel_hi:[1,0,1]
	v_pk_fma_f16 v64, v144, v155, v64 op_sel:[0,1,0]
	v_pk_fma_f16 v69, v144, v156, v69 op_sel_hi:[1,0,1]
	v_pk_fma_f16 v70, v145, v155, v70 op_sel_hi:[1,0,1]
	v_pk_fma_f16 v71, v145, v155, v71 op_sel:[0,1,0]
	v_pk_fma_f16 v74, v145, v156, v74 op_sel_hi:[1,0,1]
	v_pk_fma_f16 v72, v146, v155, v72 op_sel_hi:[1,0,1]
	v_pk_fma_f16 v75, v146, v155, v75 op_sel:[0,1,0]
	v_pk_fma_f16 v76, v146, v156, v76 op_sel_hi:[1,0,1]
	;; [unrolled: 24-line block ×3, first 2 shown]
	v_pk_fma_f16 v101, v163, v157, v73 op_sel_hi:[1,0,1]
	v_pk_fma_f16 v103, v164, v157, v66 op_sel_hi:[1,0,1]
	v_pk_fma_f16 v104, v164, v157, v8 op_sel:[0,1,0]
	v_pk_fma_f16 v105, v164, v158, v9 op_sel_hi:[1,0,1]
	v_pk_fma_f16 v106, v165, v158, v67 op_sel_hi:[1,0,1]
	;; [unrolled: 1-line block ×3, first 2 shown]
	v_pk_fma_f16 v108, v166, v157, v4 op_sel:[0,1,0]
	v_pk_fma_f16 v109, v166, v158, v6 op_sel_hi:[1,0,1]
	v_pk_fma_f16 v110, v166, v158, v5 op_sel:[0,1,0]
	ds_load_2addr_b64 v[66:69], v90 offset0:64 offset1:96
	ds_load_b128 v[70:73], v42 offset:656
	ds_load_b128 v[8:11], v42 offset:672
	;; [unrolled: 1-line block ×3, first 2 shown]
	v_pk_fma_f16 v78, v139, v154, v78 op_sel_hi:[1,0,1]
	v_pk_fma_f16 v62, v141, v153, v62 op_sel_hi:[1,0,1]
	v_pk_fma_f16 v63, v141, v153, v63 op_sel:[0,1,0]
	v_pk_fma_f16 v102, v163, v157, v77 op_sel:[0,1,0]
	s_waitcnt lgkmcnt(4)
	v_pk_fma_f16 v86, v54, v58, v86 op_sel_hi:[1,0,1]
	v_pk_fma_f16 v87, v54, v58, v87 op_sel:[0,1,0]
	v_pk_fma_f16 v88, v54, v59, v88 op_sel_hi:[1,0,1]
	v_pk_fma_f16 v91, v54, v59, v91 op_sel:[0,1,0]
	;; [unrolled: 2-line block ×7, first 2 shown]
	ds_load_2addr_b64 v[74:77], v90 offset0:128 offset1:160
	v_pk_fma_f16 v99, v57, v59, v99 op_sel_hi:[1,0,1]
	v_pk_fma_f16 v100, v57, v59, v100 op_sel:[0,1,0]
	ds_load_2addr_b64 v[54:57], v90 offset0:192 offset1:224
	v_pk_fma_f16 v78, v147, v156, v78 op_sel_hi:[1,0,1]
	v_pk_fma_f16 v62, v149, v155, v62 op_sel_hi:[1,0,1]
	v_pk_fma_f16 v63, v149, v155, v63 op_sel:[0,1,0]
	v_pk_fma_f16 v79, v163, v158, v79 op_sel:[0,1,0]
	;; [unrolled: 1-line block ×3, first 2 shown]
	v_pk_fma_f16 v78, v163, v158, v78 op_sel_hi:[1,0,1]
	v_pk_fma_f16 v62, v165, v157, v62 op_sel_hi:[1,0,1]
	v_pk_fma_f16 v63, v165, v157, v63 op_sel:[0,1,0]
	v_pk_fma_f16 v85, v165, v158, v85 op_sel:[0,1,0]
	s_waitcnt lgkmcnt(5)
	v_pk_fma_f16 v101, v66, v58, v101 op_sel_hi:[1,0,1]
	v_pk_fma_f16 v102, v66, v58, v102 op_sel:[0,1,0]
	v_pk_fma_f16 v78, v66, v59, v78 op_sel_hi:[1,0,1]
	v_pk_fma_f16 v79, v66, v59, v79 op_sel:[0,1,0]
	;; [unrolled: 2-line block ×8, first 2 shown]
	ds_load_2addr_b64 v[66:69], v89 offset1:32
	s_waitcnt lgkmcnt(2)
	v_pk_fma_f16 v86, v74, v60, v86 op_sel_hi:[1,0,1]
	v_pk_fma_f16 v87, v74, v60, v87 op_sel:[0,1,0]
	v_pk_fma_f16 v88, v74, v61, v88 op_sel_hi:[1,0,1]
	v_pk_fma_f16 v91, v74, v61, v91 op_sel:[0,1,0]
	;; [unrolled: 2-line block ×8, first 2 shown]
	s_waitcnt lgkmcnt(1)
	v_pk_fma_f16 v101, v54, v60, v101 op_sel_hi:[1,0,1]
	v_pk_fma_f16 v102, v54, v60, v102 op_sel:[0,1,0]
	v_pk_fma_f16 v78, v54, v61, v78 op_sel_hi:[1,0,1]
	v_pk_fma_f16 v79, v54, v61, v79 op_sel:[0,1,0]
	;; [unrolled: 2-line block ×7, first 2 shown]
	ds_load_2addr_b64 v[74:77], v89 offset0:64 offset1:96
	v_pk_fma_f16 v108, v57, v61, v108 op_sel_hi:[1,0,1]
	v_pk_fma_f16 v111, v57, v61, v59 op_sel:[0,1,0]
	ds_load_2addr_b64 v[54:57], v89 offset0:128 offset1:160
	s_waitcnt lgkmcnt(2)
	v_pk_fma_f16 v86, v66, v70, v86 op_sel_hi:[1,0,1]
	v_pk_fma_f16 v87, v66, v70, v87 op_sel:[0,1,0]
	v_pk_fma_f16 v88, v66, v71, v88 op_sel_hi:[1,0,1]
	v_pk_fma_f16 v66, v66, v71, v91 op_sel:[0,1,0]
	;; [unrolled: 2-line block ×8, first 2 shown]
	s_waitcnt lgkmcnt(1)
	v_pk_fma_f16 v100, v74, v70, v101 op_sel_hi:[1,0,1]
	v_pk_fma_f16 v101, v74, v70, v102 op_sel:[0,1,0]
	v_pk_fma_f16 v78, v74, v71, v78 op_sel_hi:[1,0,1]
	v_pk_fma_f16 v74, v74, v71, v79 op_sel:[0,1,0]
	;; [unrolled: 2-line block ×7, first 2 shown]
	ds_load_2addr_b64 v[58:61], v89 offset0:192 offset1:224
	v_pk_fma_f16 v104, v77, v71, v108 op_sel_hi:[1,0,1]
	v_pk_fma_f16 v71, v77, v71, v111 op_sel:[0,1,0]
	s_waitcnt lgkmcnt(1)
	v_pk_fma_f16 v77, v54, v72, v86 op_sel_hi:[1,0,1]
	v_pk_fma_f16 v86, v54, v72, v87 op_sel:[0,1,0]
	v_pk_fma_f16 v87, v54, v73, v88 op_sel_hi:[1,0,1]
	v_pk_fma_f16 v88, v54, v73, v66 op_sel:[0,1,0]
	v_pk_fma_f16 v105, v55, v73, v67 op_sel:[0,1,0]
	;; [unrolled: 1-line block ×3, first 2 shown]
	ds_load_2addr_b64 v[66:69], v52 offset1:32
	v_pk_fma_f16 v91, v55, v72, v91 op_sel_hi:[1,0,1]
	v_pk_fma_f16 v64, v55, v72, v64 op_sel:[0,1,0]
	v_pk_fma_f16 v92, v55, v73, v92 op_sel_hi:[1,0,1]
	v_pk_fma_f16 v93, v56, v72, v93 op_sel_hi:[1,0,1]
	v_pk_fma_f16 v94, v56, v72, v94 op_sel:[0,1,0]
	v_pk_fma_f16 v95, v56, v73, v95 op_sel_hi:[1,0,1]
	v_pk_fma_f16 v96, v57, v72, v96 op_sel_hi:[1,0,1]
	v_pk_fma_f16 v97, v57, v72, v97 op_sel:[0,1,0]
	v_pk_fma_f16 v98, v57, v73, v98 op_sel_hi:[1,0,1]
	v_pk_fma_f16 v99, v57, v73, v99 op_sel:[0,1,0]
	ds_load_2addr_b64 v[54:57], v52 offset0:64 offset1:96
	s_or_b32 s8, s3, 0x60
	s_waitcnt lgkmcnt(2)
	v_pk_fma_f16 v100, v58, v72, v100 op_sel_hi:[1,0,1]
	v_pk_fma_f16 v101, v58, v72, v101 op_sel:[0,1,0]
	v_pk_fma_f16 v78, v58, v73, v78 op_sel_hi:[1,0,1]
	v_pk_fma_f16 v74, v58, v73, v74 op_sel:[0,1,0]
	;; [unrolled: 2-line block ×8, first 2 shown]
	s_waitcnt lgkmcnt(1)
	v_pk_fma_f16 v73, v66, v8, v77 op_sel_hi:[1,0,1]
	v_pk_fma_f16 v77, v66, v8, v86 op_sel:[0,1,0]
	v_pk_fma_f16 v86, v66, v9, v87 op_sel_hi:[1,0,1]
	v_pk_fma_f16 v87, v66, v9, v88 op_sel:[0,1,0]
	;; [unrolled: 2-line block ×7, first 2 shown]
	ds_load_2addr_b64 v[58:61], v52 offset0:128 offset1:160
	v_pk_fma_f16 v98, v69, v9, v98 op_sel_hi:[1,0,1]
	v_pk_fma_f16 v99, v69, v9, v99 op_sel:[0,1,0]
	ds_load_2addr_b64 v[66:69], v52 offset0:192 offset1:224
	s_mul_hi_i32 s19, s8, s10
	s_mul_i32 s18, s8, s10
	s_waitcnt lgkmcnt(2)
	v_pk_fma_f16 v100, v54, v8, v100 op_sel_hi:[1,0,1]
	s_lshl_b64 s[18:19], s[18:19], 2
	v_pk_fma_f16 v101, v54, v8, v101 op_sel:[0,1,0]
	s_add_u32 s8, s11, s18
	v_pk_fma_f16 v78, v54, v9, v78 op_sel_hi:[1,0,1]
	v_pk_fma_f16 v54, v54, v9, v74 op_sel:[0,1,0]
	v_pk_fma_f16 v74, v55, v8, v79 op_sel_hi:[1,0,1]
	v_pk_fma_f16 v79, v55, v8, v102 op_sel:[0,1,0]
	;; [unrolled: 2-line block ×4, first 2 shown]
	s_addc_u32 s18, s17, s19
	v_add_co_u32 v8, vcc_lo, s8, v27
	v_pk_fma_f16 v183, v55, v9, v103 op_sel_hi:[1,0,1]
	v_pk_fma_f16 v184, v55, v9, v75 op_sel:[0,1,0]
	v_pk_fma_f16 v80, v56, v9, v80 op_sel_hi:[1,0,1]
	v_pk_fma_f16 v187, v56, v9, v76 op_sel:[0,1,0]
	;; [unrolled: 2-line block ×3, first 2 shown]
	v_add_co_ci_u32_e32 v9, vcc_lo, s18, v28, vcc_lo
	v_add_co_u32 v62, vcc_lo, s8, v29
	v_add_co_ci_u32_e32 v63, vcc_lo, s18, v30, vcc_lo
	v_add_co_u32 v8, vcc_lo, v8, v39
	s_delay_alu instid0(VALU_DEP_4) | instskip(NEXT) | instid1(VALU_DEP_4)
	v_add_co_ci_u32_e32 v9, vcc_lo, 0, v9, vcc_lo
	v_add_co_u32 v62, vcc_lo, v62, v39
	s_delay_alu instid0(VALU_DEP_4)
	v_add_co_ci_u32_e32 v63, vcc_lo, 0, v63, vcc_lo
	s_waitcnt lgkmcnt(1)
	v_pk_fma_f16 v192, v58, v10, v73 op_sel_hi:[1,0,1]
	v_pk_fma_f16 v193, v58, v10, v77 op_sel:[0,1,0]
	v_pk_fma_f16 v194, v58, v11, v86 op_sel_hi:[1,0,1]
	v_pk_fma_f16 v195, v58, v11, v87 op_sel:[0,1,0]
	;; [unrolled: 2-line block ×8, first 2 shown]
	s_waitcnt lgkmcnt(0)
	v_pk_fma_f16 v207, v66, v10, v100 op_sel_hi:[1,0,1]
	v_pk_fma_f16 v208, v66, v10, v101 op_sel:[0,1,0]
	v_pk_fma_f16 v78, v66, v11, v78 op_sel_hi:[1,0,1]
	v_pk_fma_f16 v66, v66, v11, v54 op_sel:[0,1,0]
	v_pk_fma_f16 v209, v67, v10, v74 op_sel_hi:[1,0,1]
	ds_load_2addr_b64 v[54:57], v53 offset1:32
	ds_load_2addr_b64 v[58:61], v53 offset0:64 offset1:96
	ds_load_2addr_b64 v[70:73], v53 offset0:128 offset1:160
	ds_load_2addr_b64 v[74:77], v53 offset0:192 offset1:224
	ds_load_2addr_b64 v[85:88], v51 offset1:32
	ds_load_2addr_b64 v[91:94], v51 offset0:64 offset1:96
	ds_load_2addr_b64 v[95:98], v51 offset0:128 offset1:160
	;; [unrolled: 1-line block ×3, first 2 shown]
	ds_load_2addr_b64 v[103:106], v50 offset1:32
	ds_load_2addr_b64 v[107:110], v50 offset0:64 offset1:96
	ds_load_b128 v[111:114], v42 offset:704
	ds_load_b128 v[115:118], v42 offset:720
	ds_load_2addr_b64 v[119:122], v50 offset0:128 offset1:160
	ds_load_2addr_b64 v[123:126], v50 offset0:192 offset1:224
	ds_load_2addr_b64 v[127:130], v49 offset1:32
	ds_load_2addr_b64 v[131:134], v49 offset0:64 offset1:96
	ds_load_2addr_b64 v[135:138], v49 offset0:128 offset1:160
	;; [unrolled: 1-line block ×3, first 2 shown]
	ds_load_2addr_b64 v[143:146], v48 offset1:32
	ds_load_2addr_b64 v[147:150], v48 offset0:64 offset1:96
	ds_load_b128 v[151:154], v42 offset:736
	ds_load_b128 v[155:158], v42 offset:752
	ds_load_2addr_b64 v[159:162], v48 offset0:128 offset1:160
	ds_load_2addr_b64 v[163:166], v48 offset0:192 offset1:224
	s_waitcnt lgkmcnt(0)
	s_barrier
	buffer_gl0_inv
	s_clause 0x3
	global_load_b128 v[167:170], v[8:9], off
	global_load_b128 v[171:174], v[8:9], off offset:512
	global_load_b128 v[175:178], v[62:63], off
	global_load_b128 v[179:182], v[62:63], off offset:512
	v_pk_fma_f16 v8, v67, v10, v79 op_sel:[0,1,0]
	v_pk_fma_f16 v9, v67, v11, v183 op_sel_hi:[1,0,1]
	v_pk_fma_f16 v62, v67, v11, v184 op_sel:[0,1,0]
	v_pk_fma_f16 v63, v68, v10, v185 op_sel_hi:[1,0,1]
	;; [unrolled: 2-line block ×24, first 2 shown]
	v_pk_fma_f16 v55, v71, v7, v55 op_sel:[0,1,0]
	v_pk_fma_f16 v56, v72, v7, v56 op_sel:[0,1,0]
	;; [unrolled: 1-line block ×4, first 2 shown]
	v_pk_fma_f16 v79, v71, v7, v187 op_sel_hi:[1,0,1]
	v_pk_fma_f16 v71, v72, v6, v188 op_sel_hi:[1,0,1]
	v_pk_fma_f16 v80, v72, v6, v189 op_sel:[0,1,0]
	v_pk_fma_f16 v183, v72, v7, v190 op_sel_hi:[1,0,1]
	v_pk_fma_f16 v72, v73, v6, v191 op_sel_hi:[1,0,1]
	v_pk_fma_f16 v184, v73, v6, v192 op_sel:[0,1,0]
	;; [unrolled: 3-line block ×3, first 2 shown]
	v_pk_fma_f16 v58, v74, v7, v58 op_sel:[0,1,0]
	v_pk_fma_f16 v66, v75, v6, v66 op_sel_hi:[1,0,1]
	v_pk_fma_f16 v8, v75, v6, v8 op_sel:[0,1,0]
	v_pk_fma_f16 v59, v75, v7, v59 op_sel:[0,1,0]
	v_pk_fma_f16 v62, v76, v6, v62 op_sel_hi:[1,0,1]
	v_pk_fma_f16 v63, v76, v6, v63 op_sel:[0,1,0]
	;; [unrolled: 3-line block ×3, first 2 shown]
	v_pk_fma_f16 v6, v77, v7, v10 op_sel_hi:[1,0,1]
	v_pk_fma_f16 v10, v85, v111, v61 op_sel:[0,1,0]
	v_pk_fma_f16 v54, v85, v112, v54 op_sel:[0,1,0]
	v_pk_fma_f16 v61, v86, v111, v70 op_sel_hi:[1,0,1]
	v_pk_fma_f16 v55, v86, v112, v55 op_sel:[0,1,0]
	v_pk_fma_f16 v56, v87, v112, v56 op_sel:[0,1,0]
	;; [unrolled: 1-line block ×7, first 2 shown]
	v_pk_fma_f16 v61, v96, v113, v61 op_sel_hi:[1,0,1]
	v_pk_fma_f16 v55, v96, v114, v55 op_sel:[0,1,0]
	v_pk_fma_f16 v56, v97, v114, v56 op_sel:[0,1,0]
	;; [unrolled: 1-line block ×7, first 2 shown]
	v_pk_fma_f16 v61, v104, v115, v61 op_sel_hi:[1,0,1]
	v_pk_fma_f16 v55, v104, v116, v55 op_sel:[0,1,0]
	v_pk_fma_f16 v56, v105, v116, v56 op_sel:[0,1,0]
	v_pk_fma_f16 v57, v106, v116, v57 op_sel:[0,1,0]
	v_pk_fma_f16 v9, v75, v7, v9 op_sel_hi:[1,0,1]
	v_pk_fma_f16 v67, v76, v7, v67 op_sel_hi:[1,0,1]
	v_pk_fma_f16 v5, v77, v7, v5 op_sel:[0,1,0]
	v_pk_fma_f16 v78, v74, v7, v78 op_sel_hi:[1,0,1]
	v_pk_fma_f16 v7, v85, v111, v11 op_sel_hi:[1,0,1]
	v_pk_fma_f16 v11, v85, v112, v69 op_sel_hi:[1,0,1]
	v_pk_fma_f16 v64, v86, v111, v64 op_sel:[0,1,0]
	v_pk_fma_f16 v69, v86, v112, v79 op_sel_hi:[1,0,1]
	v_pk_fma_f16 v70, v87, v111, v71 op_sel_hi:[1,0,1]
	v_pk_fma_f16 v71, v87, v111, v80 op_sel:[0,1,0]
	v_pk_fma_f16 v74, v87, v112, v183 op_sel_hi:[1,0,1]
	v_pk_fma_f16 v72, v88, v111, v72 op_sel_hi:[1,0,1]
	v_pk_fma_f16 v75, v88, v111, v184 op_sel:[0,1,0]
	v_pk_fma_f16 v76, v88, v112, v185 op_sel_hi:[1,0,1]
	v_pk_fma_f16 v58, v107, v116, v58 op_sel:[0,1,0]
	v_pk_fma_f16 v59, v108, v116, v59 op_sel:[0,1,0]
	;; [unrolled: 1-line block ×4, first 2 shown]
	v_pk_fma_f16 v61, v120, v117, v61 op_sel_hi:[1,0,1]
	v_pk_fma_f16 v55, v120, v118, v55 op_sel:[0,1,0]
	v_pk_fma_f16 v56, v121, v118, v56 op_sel:[0,1,0]
	;; [unrolled: 1-line block ×3, first 2 shown]
	v_pk_fma_f16 v73, v91, v111, v73 op_sel_hi:[1,0,1]
	v_pk_fma_f16 v66, v92, v111, v66 op_sel_hi:[1,0,1]
	v_pk_fma_f16 v8, v92, v111, v8 op_sel:[0,1,0]
	v_pk_fma_f16 v9, v92, v112, v9 op_sel_hi:[1,0,1]
	v_pk_fma_f16 v67, v93, v112, v67 op_sel_hi:[1,0,1]
	;; [unrolled: 1-line block ×3, first 2 shown]
	v_pk_fma_f16 v4, v94, v111, v4 op_sel:[0,1,0]
	v_pk_fma_f16 v6, v94, v112, v6 op_sel_hi:[1,0,1]
	v_pk_fma_f16 v5, v94, v112, v5 op_sel:[0,1,0]
	v_pk_fma_f16 v77, v91, v111, v186 op_sel:[0,1,0]
	v_pk_fma_f16 v7, v95, v113, v7 op_sel_hi:[1,0,1]
	v_pk_fma_f16 v10, v95, v113, v10 op_sel:[0,1,0]
	v_pk_fma_f16 v11, v95, v114, v11 op_sel_hi:[1,0,1]
	;; [unrolled: 2-line block ×3, first 2 shown]
	v_pk_fma_f16 v70, v97, v113, v70 op_sel_hi:[1,0,1]
	v_pk_fma_f16 v71, v97, v113, v71 op_sel:[0,1,0]
	v_pk_fma_f16 v74, v97, v114, v74 op_sel_hi:[1,0,1]
	v_pk_fma_f16 v72, v98, v113, v72 op_sel_hi:[1,0,1]
	v_pk_fma_f16 v75, v98, v113, v75 op_sel:[0,1,0]
	v_pk_fma_f16 v76, v98, v114, v76 op_sel_hi:[1,0,1]
	v_pk_fma_f16 v58, v123, v118, v58 op_sel:[0,1,0]
	v_pk_fma_f16 v59, v124, v118, v59 op_sel:[0,1,0]
	;; [unrolled: 1-line block ×4, first 2 shown]
	v_pk_fma_f16 v61, v128, v151, v61 op_sel_hi:[1,0,1]
	v_pk_fma_f16 v55, v128, v152, v55 op_sel:[0,1,0]
	v_pk_fma_f16 v56, v129, v152, v56 op_sel:[0,1,0]
	;; [unrolled: 1-line block ×3, first 2 shown]
	v_pk_fma_f16 v73, v99, v113, v73 op_sel_hi:[1,0,1]
	v_pk_fma_f16 v66, v100, v113, v66 op_sel_hi:[1,0,1]
	v_pk_fma_f16 v8, v100, v113, v8 op_sel:[0,1,0]
	v_pk_fma_f16 v9, v100, v114, v9 op_sel_hi:[1,0,1]
	v_pk_fma_f16 v67, v101, v114, v67 op_sel_hi:[1,0,1]
	;; [unrolled: 1-line block ×3, first 2 shown]
	v_pk_fma_f16 v4, v102, v113, v4 op_sel:[0,1,0]
	v_pk_fma_f16 v6, v102, v114, v6 op_sel_hi:[1,0,1]
	v_pk_fma_f16 v5, v102, v114, v5 op_sel:[0,1,0]
	v_pk_fma_f16 v77, v99, v113, v77 op_sel:[0,1,0]
	v_pk_fma_f16 v7, v103, v115, v7 op_sel_hi:[1,0,1]
	v_pk_fma_f16 v10, v103, v115, v10 op_sel:[0,1,0]
	v_pk_fma_f16 v11, v103, v116, v11 op_sel_hi:[1,0,1]
	;; [unrolled: 2-line block ×3, first 2 shown]
	v_pk_fma_f16 v70, v105, v115, v70 op_sel_hi:[1,0,1]
	v_pk_fma_f16 v71, v105, v115, v71 op_sel:[0,1,0]
	v_pk_fma_f16 v74, v105, v116, v74 op_sel_hi:[1,0,1]
	v_pk_fma_f16 v72, v106, v115, v72 op_sel_hi:[1,0,1]
	v_pk_fma_f16 v75, v106, v115, v75 op_sel:[0,1,0]
	v_pk_fma_f16 v76, v106, v116, v76 op_sel_hi:[1,0,1]
	v_pk_fma_f16 v58, v131, v152, v58 op_sel:[0,1,0]
	v_pk_fma_f16 v59, v132, v152, v59 op_sel:[0,1,0]
	;; [unrolled: 1-line block ×4, first 2 shown]
	v_pk_fma_f16 v61, v136, v153, v61 op_sel_hi:[1,0,1]
	v_pk_fma_f16 v55, v136, v154, v55 op_sel:[0,1,0]
	v_pk_fma_f16 v56, v137, v154, v56 op_sel:[0,1,0]
	;; [unrolled: 1-line block ×3, first 2 shown]
	v_pk_fma_f16 v73, v107, v115, v73 op_sel_hi:[1,0,1]
	v_pk_fma_f16 v66, v108, v115, v66 op_sel_hi:[1,0,1]
	v_pk_fma_f16 v8, v108, v115, v8 op_sel:[0,1,0]
	v_pk_fma_f16 v9, v108, v116, v9 op_sel_hi:[1,0,1]
	v_pk_fma_f16 v67, v109, v116, v67 op_sel_hi:[1,0,1]
	;; [unrolled: 1-line block ×3, first 2 shown]
	v_pk_fma_f16 v4, v110, v115, v4 op_sel:[0,1,0]
	v_pk_fma_f16 v6, v110, v116, v6 op_sel_hi:[1,0,1]
	v_pk_fma_f16 v5, v110, v116, v5 op_sel:[0,1,0]
	v_pk_fma_f16 v78, v91, v112, v78 op_sel_hi:[1,0,1]
	v_pk_fma_f16 v62, v93, v111, v62 op_sel_hi:[1,0,1]
	v_pk_fma_f16 v63, v93, v111, v63 op_sel:[0,1,0]
	v_pk_fma_f16 v77, v107, v115, v77 op_sel:[0,1,0]
	v_pk_fma_f16 v7, v119, v117, v7 op_sel_hi:[1,0,1]
	v_pk_fma_f16 v10, v119, v117, v10 op_sel:[0,1,0]
	v_pk_fma_f16 v11, v119, v118, v11 op_sel_hi:[1,0,1]
	;; [unrolled: 2-line block ×3, first 2 shown]
	v_pk_fma_f16 v70, v121, v117, v70 op_sel_hi:[1,0,1]
	v_pk_fma_f16 v71, v121, v117, v71 op_sel:[0,1,0]
	v_pk_fma_f16 v74, v121, v118, v74 op_sel_hi:[1,0,1]
	v_pk_fma_f16 v72, v122, v117, v72 op_sel_hi:[1,0,1]
	v_pk_fma_f16 v75, v122, v117, v75 op_sel:[0,1,0]
	v_pk_fma_f16 v76, v122, v118, v76 op_sel_hi:[1,0,1]
	v_pk_fma_f16 v58, v139, v154, v58 op_sel:[0,1,0]
	v_pk_fma_f16 v59, v140, v154, v59 op_sel:[0,1,0]
	;; [unrolled: 1-line block ×4, first 2 shown]
	v_pk_fma_f16 v61, v144, v155, v61 op_sel_hi:[1,0,1]
	v_pk_fma_f16 v55, v144, v156, v55 op_sel:[0,1,0]
	v_pk_fma_f16 v56, v145, v156, v56 op_sel:[0,1,0]
	;; [unrolled: 1-line block ×3, first 2 shown]
	v_pk_fma_f16 v73, v123, v117, v73 op_sel_hi:[1,0,1]
	v_pk_fma_f16 v66, v124, v117, v66 op_sel_hi:[1,0,1]
	v_pk_fma_f16 v8, v124, v117, v8 op_sel:[0,1,0]
	v_pk_fma_f16 v9, v124, v118, v9 op_sel_hi:[1,0,1]
	v_pk_fma_f16 v67, v125, v118, v67 op_sel_hi:[1,0,1]
	;; [unrolled: 1-line block ×3, first 2 shown]
	v_pk_fma_f16 v4, v126, v117, v4 op_sel:[0,1,0]
	v_pk_fma_f16 v6, v126, v118, v6 op_sel_hi:[1,0,1]
	v_pk_fma_f16 v5, v126, v118, v5 op_sel:[0,1,0]
	v_pk_fma_f16 v78, v99, v114, v78 op_sel_hi:[1,0,1]
	v_pk_fma_f16 v62, v101, v113, v62 op_sel_hi:[1,0,1]
	v_pk_fma_f16 v63, v101, v113, v63 op_sel:[0,1,0]
	v_pk_fma_f16 v77, v123, v117, v77 op_sel:[0,1,0]
	v_pk_fma_f16 v7, v127, v151, v7 op_sel_hi:[1,0,1]
	v_pk_fma_f16 v10, v127, v151, v10 op_sel:[0,1,0]
	v_pk_fma_f16 v11, v127, v152, v11 op_sel_hi:[1,0,1]
	v_pk_fma_f16 v64, v128, v151, v64 op_sel:[0,1,0]
	v_pk_fma_f16 v69, v128, v152, v69 op_sel_hi:[1,0,1]
	v_pk_fma_f16 v70, v129, v151, v70 op_sel_hi:[1,0,1]
	v_pk_fma_f16 v71, v129, v151, v71 op_sel:[0,1,0]
	v_pk_fma_f16 v74, v129, v152, v74 op_sel_hi:[1,0,1]
	v_pk_fma_f16 v72, v130, v151, v72 op_sel_hi:[1,0,1]
	v_pk_fma_f16 v75, v130, v151, v75 op_sel:[0,1,0]
	v_pk_fma_f16 v76, v130, v152, v76 op_sel_hi:[1,0,1]
	v_pk_fma_f16 v79, v147, v156, v58 op_sel:[0,1,0]
	v_pk_fma_f16 v80, v148, v156, v59 op_sel:[0,1,0]
	;; [unrolled: 1-line block ×4, first 2 shown]
	v_pk_fma_f16 v92, v160, v157, v61 op_sel_hi:[1,0,1]
	v_pk_fma_f16 v94, v160, v158, v55 op_sel:[0,1,0]
	v_pk_fma_f16 v97, v161, v158, v56 op_sel:[0,1,0]
	;; [unrolled: 1-line block ×3, first 2 shown]
	s_waitcnt vmcnt(3)
	ds_store_b128 v43, v[167:170]
	s_waitcnt vmcnt(2)
	ds_store_b128 v44, v[171:174]
	;; [unrolled: 2-line block ×4, first 2 shown]
	s_waitcnt lgkmcnt(0)
	s_barrier
	buffer_gl0_inv
	ds_load_2addr_b64 v[54:57], v90 offset1:32
	ds_load_b128 v[58:61], v42 offset:768
	v_pk_fma_f16 v73, v131, v151, v73 op_sel_hi:[1,0,1]
	v_pk_fma_f16 v66, v132, v151, v66 op_sel_hi:[1,0,1]
	v_pk_fma_f16 v8, v132, v151, v8 op_sel:[0,1,0]
	v_pk_fma_f16 v9, v132, v152, v9 op_sel_hi:[1,0,1]
	v_pk_fma_f16 v67, v133, v152, v67 op_sel_hi:[1,0,1]
	v_pk_fma_f16 v68, v134, v151, v68 op_sel_hi:[1,0,1]
	v_pk_fma_f16 v4, v134, v151, v4 op_sel:[0,1,0]
	v_pk_fma_f16 v6, v134, v152, v6 op_sel_hi:[1,0,1]
	v_pk_fma_f16 v5, v134, v152, v5 op_sel:[0,1,0]
	v_pk_fma_f16 v78, v107, v116, v78 op_sel_hi:[1,0,1]
	v_pk_fma_f16 v62, v109, v115, v62 op_sel_hi:[1,0,1]
	v_pk_fma_f16 v63, v109, v115, v63 op_sel:[0,1,0]
	v_pk_fma_f16 v77, v131, v151, v77 op_sel:[0,1,0]
	v_pk_fma_f16 v7, v135, v153, v7 op_sel_hi:[1,0,1]
	v_pk_fma_f16 v10, v135, v153, v10 op_sel:[0,1,0]
	v_pk_fma_f16 v11, v135, v154, v11 op_sel_hi:[1,0,1]
	v_pk_fma_f16 v64, v136, v153, v64 op_sel:[0,1,0]
	v_pk_fma_f16 v69, v136, v154, v69 op_sel_hi:[1,0,1]
	v_pk_fma_f16 v70, v137, v153, v70 op_sel_hi:[1,0,1]
	v_pk_fma_f16 v71, v137, v153, v71 op_sel:[0,1,0]
	v_pk_fma_f16 v74, v137, v154, v74 op_sel_hi:[1,0,1]
	v_pk_fma_f16 v72, v138, v153, v72 op_sel_hi:[1,0,1]
	v_pk_fma_f16 v75, v138, v153, v75 op_sel:[0,1,0]
	v_pk_fma_f16 v76, v138, v154, v76 op_sel_hi:[1,0,1]
	v_pk_fma_f16 v73, v139, v153, v73 op_sel_hi:[1,0,1]
	v_pk_fma_f16 v66, v140, v153, v66 op_sel_hi:[1,0,1]
	v_pk_fma_f16 v8, v140, v153, v8 op_sel:[0,1,0]
	v_pk_fma_f16 v9, v140, v154, v9 op_sel_hi:[1,0,1]
	v_pk_fma_f16 v67, v141, v154, v67 op_sel_hi:[1,0,1]
	v_pk_fma_f16 v68, v142, v153, v68 op_sel_hi:[1,0,1]
	v_pk_fma_f16 v4, v142, v153, v4 op_sel:[0,1,0]
	v_pk_fma_f16 v6, v142, v154, v6 op_sel_hi:[1,0,1]
	v_pk_fma_f16 v5, v142, v154, v5 op_sel:[0,1,0]
	v_pk_fma_f16 v78, v123, v118, v78 op_sel_hi:[1,0,1]
	v_pk_fma_f16 v62, v125, v117, v62 op_sel_hi:[1,0,1]
	v_pk_fma_f16 v63, v125, v117, v63 op_sel:[0,1,0]
	v_pk_fma_f16 v77, v139, v153, v77 op_sel:[0,1,0]
	v_pk_fma_f16 v7, v143, v155, v7 op_sel_hi:[1,0,1]
	v_pk_fma_f16 v10, v143, v155, v10 op_sel:[0,1,0]
	v_pk_fma_f16 v11, v143, v156, v11 op_sel_hi:[1,0,1]
	v_pk_fma_f16 v64, v144, v155, v64 op_sel:[0,1,0]
	v_pk_fma_f16 v69, v144, v156, v69 op_sel_hi:[1,0,1]
	v_pk_fma_f16 v70, v145, v155, v70 op_sel_hi:[1,0,1]
	v_pk_fma_f16 v71, v145, v155, v71 op_sel:[0,1,0]
	v_pk_fma_f16 v74, v145, v156, v74 op_sel_hi:[1,0,1]
	v_pk_fma_f16 v72, v146, v155, v72 op_sel_hi:[1,0,1]
	v_pk_fma_f16 v75, v146, v155, v75 op_sel:[0,1,0]
	v_pk_fma_f16 v76, v146, v156, v76 op_sel_hi:[1,0,1]
	;; [unrolled: 24-line block ×3, first 2 shown]
	v_pk_fma_f16 v101, v163, v157, v73 op_sel_hi:[1,0,1]
	v_pk_fma_f16 v103, v164, v157, v66 op_sel_hi:[1,0,1]
	v_pk_fma_f16 v104, v164, v157, v8 op_sel:[0,1,0]
	v_pk_fma_f16 v105, v164, v158, v9 op_sel_hi:[1,0,1]
	v_pk_fma_f16 v106, v165, v158, v67 op_sel_hi:[1,0,1]
	;; [unrolled: 1-line block ×3, first 2 shown]
	v_pk_fma_f16 v108, v166, v157, v4 op_sel:[0,1,0]
	v_pk_fma_f16 v109, v166, v158, v6 op_sel_hi:[1,0,1]
	v_pk_fma_f16 v110, v166, v158, v5 op_sel:[0,1,0]
	ds_load_2addr_b64 v[66:69], v90 offset0:64 offset1:96
	ds_load_b128 v[70:73], v42 offset:784
	ds_load_b128 v[8:11], v42 offset:800
	;; [unrolled: 1-line block ×3, first 2 shown]
	v_pk_fma_f16 v78, v139, v154, v78 op_sel_hi:[1,0,1]
	v_pk_fma_f16 v62, v141, v153, v62 op_sel_hi:[1,0,1]
	v_pk_fma_f16 v63, v141, v153, v63 op_sel:[0,1,0]
	v_pk_fma_f16 v102, v163, v157, v77 op_sel:[0,1,0]
	s_waitcnt lgkmcnt(4)
	v_pk_fma_f16 v86, v54, v58, v86 op_sel_hi:[1,0,1]
	v_pk_fma_f16 v87, v54, v58, v87 op_sel:[0,1,0]
	v_pk_fma_f16 v88, v54, v59, v88 op_sel_hi:[1,0,1]
	v_pk_fma_f16 v91, v54, v59, v91 op_sel:[0,1,0]
	;; [unrolled: 2-line block ×7, first 2 shown]
	ds_load_2addr_b64 v[74:77], v90 offset0:128 offset1:160
	v_pk_fma_f16 v99, v57, v59, v99 op_sel_hi:[1,0,1]
	v_pk_fma_f16 v100, v57, v59, v100 op_sel:[0,1,0]
	ds_load_2addr_b64 v[54:57], v90 offset0:192 offset1:224
	v_pk_fma_f16 v78, v147, v156, v78 op_sel_hi:[1,0,1]
	v_pk_fma_f16 v62, v149, v155, v62 op_sel_hi:[1,0,1]
	v_pk_fma_f16 v63, v149, v155, v63 op_sel:[0,1,0]
	v_pk_fma_f16 v79, v163, v158, v79 op_sel:[0,1,0]
	;; [unrolled: 1-line block ×3, first 2 shown]
	v_pk_fma_f16 v78, v163, v158, v78 op_sel_hi:[1,0,1]
	v_pk_fma_f16 v62, v165, v157, v62 op_sel_hi:[1,0,1]
	v_pk_fma_f16 v63, v165, v157, v63 op_sel:[0,1,0]
	v_pk_fma_f16 v85, v165, v158, v85 op_sel:[0,1,0]
	s_waitcnt lgkmcnt(5)
	v_pk_fma_f16 v101, v66, v58, v101 op_sel_hi:[1,0,1]
	v_pk_fma_f16 v102, v66, v58, v102 op_sel:[0,1,0]
	v_pk_fma_f16 v78, v66, v59, v78 op_sel_hi:[1,0,1]
	v_pk_fma_f16 v79, v66, v59, v79 op_sel:[0,1,0]
	;; [unrolled: 2-line block ×8, first 2 shown]
	ds_load_2addr_b64 v[66:69], v89 offset1:32
	s_waitcnt lgkmcnt(2)
	v_pk_fma_f16 v86, v74, v60, v86 op_sel_hi:[1,0,1]
	v_pk_fma_f16 v87, v74, v60, v87 op_sel:[0,1,0]
	v_pk_fma_f16 v88, v74, v61, v88 op_sel_hi:[1,0,1]
	v_pk_fma_f16 v91, v74, v61, v91 op_sel:[0,1,0]
	;; [unrolled: 2-line block ×8, first 2 shown]
	s_waitcnt lgkmcnt(1)
	v_pk_fma_f16 v101, v54, v60, v101 op_sel_hi:[1,0,1]
	v_pk_fma_f16 v102, v54, v60, v102 op_sel:[0,1,0]
	v_pk_fma_f16 v78, v54, v61, v78 op_sel_hi:[1,0,1]
	v_pk_fma_f16 v79, v54, v61, v79 op_sel:[0,1,0]
	;; [unrolled: 2-line block ×7, first 2 shown]
	ds_load_2addr_b64 v[74:77], v89 offset0:64 offset1:96
	v_pk_fma_f16 v108, v57, v61, v108 op_sel_hi:[1,0,1]
	v_pk_fma_f16 v111, v57, v61, v59 op_sel:[0,1,0]
	ds_load_2addr_b64 v[54:57], v89 offset0:128 offset1:160
	s_waitcnt lgkmcnt(2)
	v_pk_fma_f16 v86, v66, v70, v86 op_sel_hi:[1,0,1]
	v_pk_fma_f16 v87, v66, v70, v87 op_sel:[0,1,0]
	v_pk_fma_f16 v88, v66, v71, v88 op_sel_hi:[1,0,1]
	v_pk_fma_f16 v66, v66, v71, v91 op_sel:[0,1,0]
	;; [unrolled: 2-line block ×8, first 2 shown]
	s_waitcnt lgkmcnt(1)
	v_pk_fma_f16 v100, v74, v70, v101 op_sel_hi:[1,0,1]
	v_pk_fma_f16 v101, v74, v70, v102 op_sel:[0,1,0]
	v_pk_fma_f16 v78, v74, v71, v78 op_sel_hi:[1,0,1]
	v_pk_fma_f16 v74, v74, v71, v79 op_sel:[0,1,0]
	;; [unrolled: 2-line block ×7, first 2 shown]
	ds_load_2addr_b64 v[58:61], v89 offset0:192 offset1:224
	v_pk_fma_f16 v104, v77, v71, v108 op_sel_hi:[1,0,1]
	v_pk_fma_f16 v71, v77, v71, v111 op_sel:[0,1,0]
	s_waitcnt lgkmcnt(1)
	v_pk_fma_f16 v77, v54, v72, v86 op_sel_hi:[1,0,1]
	v_pk_fma_f16 v86, v54, v72, v87 op_sel:[0,1,0]
	v_pk_fma_f16 v87, v54, v73, v88 op_sel_hi:[1,0,1]
	v_pk_fma_f16 v88, v54, v73, v66 op_sel:[0,1,0]
	v_pk_fma_f16 v105, v55, v73, v67 op_sel:[0,1,0]
	v_pk_fma_f16 v106, v56, v73, v68 op_sel:[0,1,0]
	ds_load_2addr_b64 v[66:69], v52 offset1:32
	v_pk_fma_f16 v91, v55, v72, v91 op_sel_hi:[1,0,1]
	v_pk_fma_f16 v64, v55, v72, v64 op_sel:[0,1,0]
	v_pk_fma_f16 v92, v55, v73, v92 op_sel_hi:[1,0,1]
	v_pk_fma_f16 v93, v56, v72, v93 op_sel_hi:[1,0,1]
	v_pk_fma_f16 v94, v56, v72, v94 op_sel:[0,1,0]
	v_pk_fma_f16 v95, v56, v73, v95 op_sel_hi:[1,0,1]
	;; [unrolled: 3-line block ×3, first 2 shown]
	v_pk_fma_f16 v99, v57, v73, v99 op_sel:[0,1,0]
	ds_load_2addr_b64 v[54:57], v52 offset0:64 offset1:96
	s_or_b32 s8, s3, 0x70
	s_waitcnt lgkmcnt(2)
	v_pk_fma_f16 v100, v58, v72, v100 op_sel_hi:[1,0,1]
	v_pk_fma_f16 v101, v58, v72, v101 op_sel:[0,1,0]
	v_pk_fma_f16 v78, v58, v73, v78 op_sel_hi:[1,0,1]
	v_pk_fma_f16 v74, v58, v73, v74 op_sel:[0,1,0]
	;; [unrolled: 2-line block ×8, first 2 shown]
	s_waitcnt lgkmcnt(1)
	v_pk_fma_f16 v73, v66, v8, v77 op_sel_hi:[1,0,1]
	v_pk_fma_f16 v77, v66, v8, v86 op_sel:[0,1,0]
	v_pk_fma_f16 v86, v66, v9, v87 op_sel_hi:[1,0,1]
	v_pk_fma_f16 v87, v66, v9, v88 op_sel:[0,1,0]
	;; [unrolled: 2-line block ×7, first 2 shown]
	ds_load_2addr_b64 v[58:61], v52 offset0:128 offset1:160
	v_pk_fma_f16 v98, v69, v9, v98 op_sel_hi:[1,0,1]
	v_pk_fma_f16 v99, v69, v9, v99 op_sel:[0,1,0]
	ds_load_2addr_b64 v[66:69], v52 offset0:192 offset1:224
	s_mul_hi_i32 s19, s8, s10
	s_mul_i32 s18, s8, s10
	s_waitcnt lgkmcnt(2)
	v_pk_fma_f16 v100, v54, v8, v100 op_sel_hi:[1,0,1]
	s_lshl_b64 s[18:19], s[18:19], 2
	v_pk_fma_f16 v101, v54, v8, v101 op_sel:[0,1,0]
	s_add_u32 s8, s11, s18
	v_pk_fma_f16 v78, v54, v9, v78 op_sel_hi:[1,0,1]
	v_pk_fma_f16 v54, v54, v9, v74 op_sel:[0,1,0]
	v_pk_fma_f16 v74, v55, v8, v79 op_sel_hi:[1,0,1]
	v_pk_fma_f16 v79, v55, v8, v102 op_sel:[0,1,0]
	;; [unrolled: 2-line block ×4, first 2 shown]
	s_addc_u32 s18, s17, s19
	v_add_co_u32 v8, vcc_lo, s8, v27
	v_pk_fma_f16 v183, v55, v9, v103 op_sel_hi:[1,0,1]
	v_pk_fma_f16 v184, v55, v9, v75 op_sel:[0,1,0]
	v_pk_fma_f16 v80, v56, v9, v80 op_sel_hi:[1,0,1]
	v_pk_fma_f16 v187, v56, v9, v76 op_sel:[0,1,0]
	;; [unrolled: 2-line block ×3, first 2 shown]
	v_add_co_ci_u32_e32 v9, vcc_lo, s18, v28, vcc_lo
	v_add_co_u32 v62, vcc_lo, s8, v29
	v_add_co_ci_u32_e32 v63, vcc_lo, s18, v30, vcc_lo
	v_add_co_u32 v8, vcc_lo, v8, v39
	s_delay_alu instid0(VALU_DEP_4) | instskip(NEXT) | instid1(VALU_DEP_4)
	v_add_co_ci_u32_e32 v9, vcc_lo, 0, v9, vcc_lo
	v_add_co_u32 v62, vcc_lo, v62, v39
	s_delay_alu instid0(VALU_DEP_4)
	v_add_co_ci_u32_e32 v63, vcc_lo, 0, v63, vcc_lo
	s_waitcnt lgkmcnt(1)
	v_pk_fma_f16 v192, v58, v10, v73 op_sel_hi:[1,0,1]
	v_pk_fma_f16 v193, v58, v10, v77 op_sel:[0,1,0]
	v_pk_fma_f16 v194, v58, v11, v86 op_sel_hi:[1,0,1]
	v_pk_fma_f16 v195, v58, v11, v87 op_sel:[0,1,0]
	;; [unrolled: 2-line block ×8, first 2 shown]
	s_waitcnt lgkmcnt(0)
	v_pk_fma_f16 v207, v66, v10, v100 op_sel_hi:[1,0,1]
	v_pk_fma_f16 v208, v66, v10, v101 op_sel:[0,1,0]
	v_pk_fma_f16 v78, v66, v11, v78 op_sel_hi:[1,0,1]
	v_pk_fma_f16 v66, v66, v11, v54 op_sel:[0,1,0]
	v_pk_fma_f16 v209, v67, v10, v74 op_sel_hi:[1,0,1]
	ds_load_2addr_b64 v[54:57], v53 offset1:32
	ds_load_2addr_b64 v[58:61], v53 offset0:64 offset1:96
	ds_load_2addr_b64 v[70:73], v53 offset0:128 offset1:160
	;; [unrolled: 1-line block ×3, first 2 shown]
	ds_load_2addr_b64 v[85:88], v51 offset1:32
	ds_load_2addr_b64 v[91:94], v51 offset0:64 offset1:96
	ds_load_2addr_b64 v[95:98], v51 offset0:128 offset1:160
	ds_load_2addr_b64 v[99:102], v51 offset0:192 offset1:224
	ds_load_2addr_b64 v[103:106], v50 offset1:32
	ds_load_2addr_b64 v[107:110], v50 offset0:64 offset1:96
	ds_load_b128 v[111:114], v42 offset:832
	ds_load_b128 v[115:118], v42 offset:848
	ds_load_2addr_b64 v[119:122], v50 offset0:128 offset1:160
	ds_load_2addr_b64 v[123:126], v50 offset0:192 offset1:224
	ds_load_2addr_b64 v[127:130], v49 offset1:32
	ds_load_2addr_b64 v[131:134], v49 offset0:64 offset1:96
	ds_load_2addr_b64 v[135:138], v49 offset0:128 offset1:160
	;; [unrolled: 1-line block ×3, first 2 shown]
	ds_load_2addr_b64 v[143:146], v48 offset1:32
	ds_load_2addr_b64 v[147:150], v48 offset0:64 offset1:96
	ds_load_b128 v[151:154], v42 offset:864
	ds_load_b128 v[155:158], v42 offset:880
	ds_load_2addr_b64 v[159:162], v48 offset0:128 offset1:160
	ds_load_2addr_b64 v[163:166], v48 offset0:192 offset1:224
	s_waitcnt lgkmcnt(0)
	s_barrier
	buffer_gl0_inv
	s_clause 0x3
	global_load_b128 v[167:170], v[8:9], off
	global_load_b128 v[171:174], v[8:9], off offset:512
	global_load_b128 v[175:178], v[62:63], off
	global_load_b128 v[179:182], v[62:63], off offset:512
	v_pk_fma_f16 v8, v67, v10, v79 op_sel:[0,1,0]
	v_pk_fma_f16 v9, v67, v11, v183 op_sel_hi:[1,0,1]
	v_pk_fma_f16 v62, v67, v11, v184 op_sel:[0,1,0]
	v_pk_fma_f16 v63, v68, v10, v185 op_sel_hi:[1,0,1]
	;; [unrolled: 2-line block ×53, first 2 shown]
	v_pk_fma_f16 v57, v88, v112, v57 op_sel:[0,1,0]
	v_pk_fma_f16 v8, v108, v115, v8 op_sel:[0,1,0]
	v_pk_fma_f16 v9, v108, v116, v9 op_sel_hi:[1,0,1]
	v_pk_fma_f16 v4, v110, v115, v4 op_sel:[0,1,0]
	v_pk_fma_f16 v6, v110, v116, v6 op_sel_hi:[1,0,1]
	;; [unrolled: 2-line block ×4, first 2 shown]
	v_pk_fma_f16 v73, v91, v111, v73 op_sel_hi:[1,0,1]
	v_pk_fma_f16 v58, v91, v112, v58 op_sel:[0,1,0]
	v_pk_fma_f16 v66, v92, v111, v66 op_sel_hi:[1,0,1]
	v_pk_fma_f16 v59, v92, v112, v59 op_sel:[0,1,0]
	v_pk_fma_f16 v67, v93, v112, v67 op_sel_hi:[1,0,1]
	v_pk_fma_f16 v60, v93, v112, v60 op_sel:[0,1,0]
	v_pk_fma_f16 v68, v94, v111, v68 op_sel_hi:[1,0,1]
	v_pk_fma_f16 v77, v91, v111, v186 op_sel:[0,1,0]
	v_pk_fma_f16 v54, v95, v114, v54 op_sel:[0,1,0]
	v_pk_fma_f16 v61, v96, v113, v61 op_sel_hi:[1,0,1]
	v_pk_fma_f16 v64, v96, v113, v64 op_sel:[0,1,0]
	v_pk_fma_f16 v69, v96, v114, v69 op_sel_hi:[1,0,1]
	;; [unrolled: 2-line block ×6, first 2 shown]
	v_pk_fma_f16 v57, v98, v114, v57 op_sel:[0,1,0]
	v_pk_fma_f16 v8, v124, v117, v8 op_sel:[0,1,0]
	v_pk_fma_f16 v9, v124, v118, v9 op_sel_hi:[1,0,1]
	v_pk_fma_f16 v4, v126, v117, v4 op_sel:[0,1,0]
	v_pk_fma_f16 v6, v126, v118, v6 op_sel_hi:[1,0,1]
	;; [unrolled: 2-line block ×4, first 2 shown]
	v_pk_fma_f16 v73, v99, v113, v73 op_sel_hi:[1,0,1]
	v_pk_fma_f16 v58, v99, v114, v58 op_sel:[0,1,0]
	v_pk_fma_f16 v66, v100, v113, v66 op_sel_hi:[1,0,1]
	v_pk_fma_f16 v59, v100, v114, v59 op_sel:[0,1,0]
	;; [unrolled: 2-line block ×4, first 2 shown]
	v_pk_fma_f16 v54, v103, v116, v54 op_sel:[0,1,0]
	v_pk_fma_f16 v61, v104, v115, v61 op_sel_hi:[1,0,1]
	v_pk_fma_f16 v64, v104, v115, v64 op_sel:[0,1,0]
	v_pk_fma_f16 v69, v104, v116, v69 op_sel_hi:[1,0,1]
	;; [unrolled: 2-line block ×6, first 2 shown]
	v_pk_fma_f16 v57, v106, v116, v57 op_sel:[0,1,0]
	v_pk_fma_f16 v8, v132, v151, v8 op_sel:[0,1,0]
	v_pk_fma_f16 v9, v132, v152, v9 op_sel_hi:[1,0,1]
	v_pk_fma_f16 v4, v134, v151, v4 op_sel:[0,1,0]
	v_pk_fma_f16 v6, v134, v152, v6 op_sel_hi:[1,0,1]
	;; [unrolled: 2-line block ×4, first 2 shown]
	v_pk_fma_f16 v73, v107, v115, v73 op_sel_hi:[1,0,1]
	v_pk_fma_f16 v58, v107, v116, v58 op_sel:[0,1,0]
	v_pk_fma_f16 v66, v108, v115, v66 op_sel_hi:[1,0,1]
	v_pk_fma_f16 v59, v108, v116, v59 op_sel:[0,1,0]
	;; [unrolled: 2-line block ×3, first 2 shown]
	v_pk_fma_f16 v68, v110, v115, v68 op_sel_hi:[1,0,1]
	v_pk_fma_f16 v78, v91, v112, v78 op_sel_hi:[1,0,1]
	;; [unrolled: 1-line block ×3, first 2 shown]
	v_pk_fma_f16 v63, v93, v111, v63 op_sel:[0,1,0]
	v_pk_fma_f16 v77, v107, v115, v77 op_sel:[0,1,0]
	;; [unrolled: 1-line block ×3, first 2 shown]
	v_pk_fma_f16 v61, v120, v117, v61 op_sel_hi:[1,0,1]
	v_pk_fma_f16 v64, v120, v117, v64 op_sel:[0,1,0]
	v_pk_fma_f16 v69, v120, v118, v69 op_sel_hi:[1,0,1]
	v_pk_fma_f16 v55, v120, v118, v55 op_sel:[0,1,0]
	;; [unrolled: 2-line block ×6, first 2 shown]
	v_pk_fma_f16 v8, v140, v153, v8 op_sel:[0,1,0]
	v_pk_fma_f16 v9, v140, v154, v9 op_sel_hi:[1,0,1]
	v_pk_fma_f16 v4, v142, v153, v4 op_sel:[0,1,0]
	v_pk_fma_f16 v6, v142, v154, v6 op_sel_hi:[1,0,1]
	;; [unrolled: 2-line block ×4, first 2 shown]
	v_pk_fma_f16 v73, v123, v117, v73 op_sel_hi:[1,0,1]
	v_pk_fma_f16 v58, v123, v118, v58 op_sel:[0,1,0]
	v_pk_fma_f16 v66, v124, v117, v66 op_sel_hi:[1,0,1]
	v_pk_fma_f16 v59, v124, v118, v59 op_sel:[0,1,0]
	;; [unrolled: 2-line block ×3, first 2 shown]
	v_pk_fma_f16 v68, v126, v117, v68 op_sel_hi:[1,0,1]
	v_pk_fma_f16 v78, v99, v114, v78 op_sel_hi:[1,0,1]
	;; [unrolled: 1-line block ×3, first 2 shown]
	v_pk_fma_f16 v63, v101, v113, v63 op_sel:[0,1,0]
	v_pk_fma_f16 v77, v123, v117, v77 op_sel:[0,1,0]
	;; [unrolled: 1-line block ×3, first 2 shown]
	v_pk_fma_f16 v61, v128, v151, v61 op_sel_hi:[1,0,1]
	v_pk_fma_f16 v64, v128, v151, v64 op_sel:[0,1,0]
	v_pk_fma_f16 v69, v128, v152, v69 op_sel_hi:[1,0,1]
	v_pk_fma_f16 v55, v128, v152, v55 op_sel:[0,1,0]
	;; [unrolled: 2-line block ×6, first 2 shown]
	v_pk_fma_f16 v79, v148, v155, v8 op_sel:[0,1,0]
	v_pk_fma_f16 v80, v148, v156, v9 op_sel_hi:[1,0,1]
	v_pk_fma_f16 v85, v150, v155, v4 op_sel:[0,1,0]
	v_pk_fma_f16 v86, v150, v156, v6 op_sel_hi:[1,0,1]
	;; [unrolled: 2-line block ×4, first 2 shown]
	s_waitcnt vmcnt(3)
	ds_store_b128 v43, v[167:170]
	s_waitcnt vmcnt(2)
	ds_store_b128 v44, v[171:174]
	;; [unrolled: 2-line block ×4, first 2 shown]
	s_waitcnt lgkmcnt(0)
	s_barrier
	buffer_gl0_inv
	ds_load_2addr_b64 v[4:7], v90 offset1:32
	ds_load_b128 v[8:11], v42 offset:896
	v_pk_fma_f16 v73, v131, v151, v73 op_sel_hi:[1,0,1]
	v_pk_fma_f16 v58, v131, v152, v58 op_sel:[0,1,0]
	v_pk_fma_f16 v66, v132, v151, v66 op_sel_hi:[1,0,1]
	v_pk_fma_f16 v59, v132, v152, v59 op_sel:[0,1,0]
	v_pk_fma_f16 v67, v133, v152, v67 op_sel_hi:[1,0,1]
	v_pk_fma_f16 v60, v133, v152, v60 op_sel:[0,1,0]
	v_pk_fma_f16 v68, v134, v151, v68 op_sel_hi:[1,0,1]
	v_pk_fma_f16 v78, v107, v116, v78 op_sel_hi:[1,0,1]
	v_pk_fma_f16 v62, v109, v115, v62 op_sel_hi:[1,0,1]
	v_pk_fma_f16 v63, v109, v115, v63 op_sel:[0,1,0]
	v_pk_fma_f16 v77, v131, v151, v77 op_sel:[0,1,0]
	v_pk_fma_f16 v54, v135, v154, v54 op_sel:[0,1,0]
	v_pk_fma_f16 v61, v136, v153, v61 op_sel_hi:[1,0,1]
	v_pk_fma_f16 v64, v136, v153, v64 op_sel:[0,1,0]
	v_pk_fma_f16 v69, v136, v154, v69 op_sel_hi:[1,0,1]
	v_pk_fma_f16 v55, v136, v154, v55 op_sel:[0,1,0]
	v_pk_fma_f16 v70, v137, v153, v70 op_sel_hi:[1,0,1]
	v_pk_fma_f16 v71, v137, v153, v71 op_sel:[0,1,0]
	v_pk_fma_f16 v74, v137, v154, v74 op_sel_hi:[1,0,1]
	v_pk_fma_f16 v56, v137, v154, v56 op_sel:[0,1,0]
	v_pk_fma_f16 v72, v138, v153, v72 op_sel_hi:[1,0,1]
	v_pk_fma_f16 v75, v138, v153, v75 op_sel:[0,1,0]
	v_pk_fma_f16 v76, v138, v154, v76 op_sel_hi:[1,0,1]
	v_pk_fma_f16 v57, v138, v154, v57 op_sel:[0,1,0]
	v_pk_fma_f16 v73, v139, v153, v73 op_sel_hi:[1,0,1]
	v_pk_fma_f16 v58, v139, v154, v58 op_sel:[0,1,0]
	v_pk_fma_f16 v66, v140, v153, v66 op_sel_hi:[1,0,1]
	v_pk_fma_f16 v59, v140, v154, v59 op_sel:[0,1,0]
	v_pk_fma_f16 v67, v141, v154, v67 op_sel_hi:[1,0,1]
	v_pk_fma_f16 v60, v141, v154, v60 op_sel:[0,1,0]
	v_pk_fma_f16 v68, v142, v153, v68 op_sel_hi:[1,0,1]
	v_pk_fma_f16 v78, v123, v118, v78 op_sel_hi:[1,0,1]
	v_pk_fma_f16 v62, v125, v117, v62 op_sel_hi:[1,0,1]
	v_pk_fma_f16 v63, v125, v117, v63 op_sel:[0,1,0]
	v_pk_fma_f16 v77, v139, v153, v77 op_sel:[0,1,0]
	v_pk_fma_f16 v54, v143, v156, v54 op_sel:[0,1,0]
	v_pk_fma_f16 v61, v144, v155, v61 op_sel_hi:[1,0,1]
	v_pk_fma_f16 v64, v144, v155, v64 op_sel:[0,1,0]
	v_pk_fma_f16 v69, v144, v156, v69 op_sel_hi:[1,0,1]
	v_pk_fma_f16 v55, v144, v156, v55 op_sel:[0,1,0]
	v_pk_fma_f16 v70, v145, v155, v70 op_sel_hi:[1,0,1]
	v_pk_fma_f16 v71, v145, v155, v71 op_sel:[0,1,0]
	v_pk_fma_f16 v74, v145, v156, v74 op_sel_hi:[1,0,1]
	v_pk_fma_f16 v56, v145, v156, v56 op_sel:[0,1,0]
	v_pk_fma_f16 v72, v146, v155, v72 op_sel_hi:[1,0,1]
	v_pk_fma_f16 v75, v146, v155, v75 op_sel:[0,1,0]
	v_pk_fma_f16 v76, v146, v156, v76 op_sel_hi:[1,0,1]
	v_pk_fma_f16 v57, v146, v156, v57 op_sel:[0,1,0]
	;; [unrolled: 24-line block ×3, first 2 shown]
	v_pk_fma_f16 v103, v163, v157, v73 op_sel_hi:[1,0,1]
	v_pk_fma_f16 v105, v163, v158, v58 op_sel:[0,1,0]
	v_pk_fma_f16 v106, v164, v157, v66 op_sel_hi:[1,0,1]
	v_pk_fma_f16 v107, v164, v158, v59 op_sel:[0,1,0]
	;; [unrolled: 2-line block ×3, first 2 shown]
	v_pk_fma_f16 v110, v166, v157, v68 op_sel_hi:[1,0,1]
	ds_load_2addr_b64 v[54:57], v90 offset0:64 offset1:96
	ds_load_b128 v[58:61], v42 offset:912
	ds_load_b128 v[66:69], v42 offset:928
	;; [unrolled: 1-line block ×3, first 2 shown]
	v_pk_fma_f16 v78, v139, v154, v78 op_sel_hi:[1,0,1]
	v_pk_fma_f16 v62, v141, v153, v62 op_sel_hi:[1,0,1]
	v_pk_fma_f16 v63, v141, v153, v63 op_sel:[0,1,0]
	v_pk_fma_f16 v104, v163, v157, v77 op_sel:[0,1,0]
	s_waitcnt lgkmcnt(4)
	v_pk_fma_f16 v88, v4, v8, v88 op_sel_hi:[1,0,1]
	v_pk_fma_f16 v91, v4, v8, v91 op_sel:[0,1,0]
	v_pk_fma_f16 v92, v4, v9, v92 op_sel_hi:[1,0,1]
	v_pk_fma_f16 v93, v4, v9, v93 op_sel:[0,1,0]
	;; [unrolled: 2-line block ×7, first 2 shown]
	ds_load_2addr_b64 v[74:77], v90 offset0:128 offset1:160
	v_pk_fma_f16 v101, v7, v9, v101 op_sel_hi:[1,0,1]
	v_pk_fma_f16 v102, v7, v9, v102 op_sel:[0,1,0]
	ds_load_2addr_b64 v[4:7], v90 offset0:192 offset1:224
	v_pk_fma_f16 v78, v147, v156, v78 op_sel_hi:[1,0,1]
	v_pk_fma_f16 v62, v149, v155, v62 op_sel_hi:[1,0,1]
	v_pk_fma_f16 v63, v149, v155, v63 op_sel:[0,1,0]
	v_pk_fma_f16 v79, v164, v157, v79 op_sel:[0,1,0]
	v_pk_fma_f16 v80, v164, v158, v80 op_sel_hi:[1,0,1]
	v_pk_fma_f16 v78, v163, v158, v78 op_sel_hi:[1,0,1]
	;; [unrolled: 1-line block ×3, first 2 shown]
	v_pk_fma_f16 v63, v165, v157, v63 op_sel:[0,1,0]
	v_pk_fma_f16 v85, v166, v157, v85 op_sel:[0,1,0]
	v_pk_fma_f16 v86, v166, v158, v86 op_sel_hi:[1,0,1]
	v_pk_fma_f16 v87, v166, v158, v87 op_sel:[0,1,0]
	s_waitcnt lgkmcnt(5)
	v_pk_fma_f16 v103, v54, v8, v103 op_sel_hi:[1,0,1]
	v_pk_fma_f16 v104, v54, v8, v104 op_sel:[0,1,0]
	v_pk_fma_f16 v78, v54, v9, v78 op_sel_hi:[1,0,1]
	v_pk_fma_f16 v105, v54, v9, v105 op_sel:[0,1,0]
	v_pk_fma_f16 v106, v55, v8, v106 op_sel_hi:[1,0,1]
	v_pk_fma_f16 v79, v55, v8, v79 op_sel:[0,1,0]
	v_pk_fma_f16 v80, v55, v9, v80 op_sel_hi:[1,0,1]
	v_pk_fma_f16 v107, v55, v9, v107 op_sel:[0,1,0]
	v_pk_fma_f16 v62, v56, v8, v62 op_sel_hi:[1,0,1]
	v_pk_fma_f16 v63, v56, v8, v63 op_sel:[0,1,0]
	v_pk_fma_f16 v108, v56, v9, v108 op_sel_hi:[1,0,1]
	v_pk_fma_f16 v109, v56, v9, v109 op_sel:[0,1,0]
	v_pk_fma_f16 v110, v57, v8, v110 op_sel_hi:[1,0,1]
	v_pk_fma_f16 v8, v57, v8, v85 op_sel:[0,1,0]
	v_pk_fma_f16 v85, v57, v9, v86 op_sel_hi:[1,0,1]
	v_pk_fma_f16 v9, v57, v9, v87 op_sel:[0,1,0]
	ds_load_2addr_b64 v[54:57], v89 offset1:32
	s_waitcnt lgkmcnt(2)
	v_pk_fma_f16 v86, v74, v10, v88 op_sel_hi:[1,0,1]
	v_pk_fma_f16 v87, v74, v10, v91 op_sel:[0,1,0]
	v_pk_fma_f16 v88, v74, v11, v92 op_sel_hi:[1,0,1]
	v_pk_fma_f16 v90, v74, v11, v93 op_sel:[0,1,0]
	;; [unrolled: 2-line block ×8, first 2 shown]
	s_waitcnt lgkmcnt(1)
	v_pk_fma_f16 v102, v4, v10, v103 op_sel_hi:[1,0,1]
	v_pk_fma_f16 v103, v4, v10, v104 op_sel:[0,1,0]
	v_pk_fma_f16 v78, v4, v11, v78 op_sel_hi:[1,0,1]
	v_pk_fma_f16 v104, v4, v11, v105 op_sel:[0,1,0]
	;; [unrolled: 2-line block ×7, first 2 shown]
	ds_load_2addr_b64 v[74:77], v89 offset0:64 offset1:96
	v_pk_fma_f16 v85, v7, v11, v85 op_sel_hi:[1,0,1]
	v_pk_fma_f16 v110, v7, v11, v9 op_sel:[0,1,0]
	ds_load_2addr_b64 v[4:7], v89 offset0:128 offset1:160
	s_waitcnt lgkmcnt(2)
	v_pk_fma_f16 v86, v54, v58, v86 op_sel_hi:[1,0,1]
	v_pk_fma_f16 v87, v54, v58, v87 op_sel:[0,1,0]
	v_pk_fma_f16 v88, v54, v59, v88 op_sel_hi:[1,0,1]
	v_pk_fma_f16 v54, v54, v59, v90 op_sel:[0,1,0]
	;; [unrolled: 2-line block ×8, first 2 shown]
	s_waitcnt lgkmcnt(1)
	v_pk_fma_f16 v99, v74, v58, v102 op_sel_hi:[1,0,1]
	v_pk_fma_f16 v100, v74, v58, v103 op_sel:[0,1,0]
	v_pk_fma_f16 v78, v74, v59, v78 op_sel_hi:[1,0,1]
	v_pk_fma_f16 v74, v74, v59, v104 op_sel:[0,1,0]
	;; [unrolled: 2-line block ×7, first 2 shown]
	ds_load_2addr_b64 v[8:11], v89 offset0:192 offset1:224
	v_pk_fma_f16 v85, v77, v59, v85 op_sel_hi:[1,0,1]
	v_pk_fma_f16 v59, v77, v59, v110 op_sel:[0,1,0]
	s_waitcnt lgkmcnt(1)
	v_pk_fma_f16 v77, v4, v60, v86 op_sel_hi:[1,0,1]
	v_pk_fma_f16 v86, v4, v60, v87 op_sel:[0,1,0]
	v_pk_fma_f16 v87, v4, v61, v88 op_sel_hi:[1,0,1]
	v_pk_fma_f16 v88, v4, v61, v54 op_sel:[0,1,0]
	v_pk_fma_f16 v89, v5, v60, v90 op_sel_hi:[1,0,1]
	v_pk_fma_f16 v90, v5, v61, v91 op_sel_hi:[1,0,1]
	v_pk_fma_f16 v91, v5, v61, v55 op_sel:[0,1,0]
	v_pk_fma_f16 v104, v6, v61, v56 op_sel:[0,1,0]
	ds_load_2addr_b64 v[54:57], v52 offset1:32
	v_pk_fma_f16 v64, v5, v60, v64 op_sel:[0,1,0]
	v_pk_fma_f16 v92, v6, v60, v92 op_sel_hi:[1,0,1]
	v_pk_fma_f16 v93, v6, v60, v93 op_sel:[0,1,0]
	v_pk_fma_f16 v94, v6, v61, v94 op_sel_hi:[1,0,1]
	v_pk_fma_f16 v95, v7, v60, v95 op_sel_hi:[1,0,1]
	v_pk_fma_f16 v96, v7, v60, v96 op_sel:[0,1,0]
	v_pk_fma_f16 v97, v7, v61, v97 op_sel_hi:[1,0,1]
	v_pk_fma_f16 v98, v7, v61, v98 op_sel:[0,1,0]
	ds_load_2addr_b64 v[4:7], v52 offset0:64 offset1:96
	s_waitcnt lgkmcnt(2)
	v_pk_fma_f16 v99, v8, v60, v99 op_sel_hi:[1,0,1]
	v_pk_fma_f16 v100, v8, v60, v100 op_sel:[0,1,0]
	v_pk_fma_f16 v78, v8, v61, v78 op_sel_hi:[1,0,1]
	v_pk_fma_f16 v74, v8, v61, v74 op_sel:[0,1,0]
	;; [unrolled: 2-line block ×8, first 2 shown]
	s_waitcnt lgkmcnt(1)
	v_pk_fma_f16 v61, v54, v66, v77 op_sel_hi:[1,0,1]
	v_pk_fma_f16 v77, v54, v66, v86 op_sel:[0,1,0]
	v_pk_fma_f16 v85, v54, v67, v87 op_sel_hi:[1,0,1]
	v_pk_fma_f16 v86, v54, v67, v88 op_sel:[0,1,0]
	v_pk_fma_f16 v87, v55, v66, v89 op_sel_hi:[1,0,1]
	v_pk_fma_f16 v64, v55, v66, v64 op_sel:[0,1,0]
	v_pk_fma_f16 v88, v55, v67, v90 op_sel_hi:[1,0,1]
	v_pk_fma_f16 v89, v55, v67, v91 op_sel:[0,1,0]
	v_pk_fma_f16 v90, v56, v66, v92 op_sel_hi:[1,0,1]
	v_pk_fma_f16 v91, v56, v66, v93 op_sel:[0,1,0]
	v_pk_fma_f16 v92, v56, v67, v94 op_sel_hi:[1,0,1]
	v_pk_fma_f16 v93, v56, v67, v104 op_sel:[0,1,0]
	v_pk_fma_f16 v94, v57, v66, v95 op_sel_hi:[1,0,1]
	v_pk_fma_f16 v95, v57, v66, v96 op_sel:[0,1,0]
	ds_load_2addr_b64 v[8:11], v52 offset0:128 offset1:160
	v_pk_fma_f16 v96, v57, v67, v97 op_sel_hi:[1,0,1]
	v_pk_fma_f16 v97, v57, v67, v98 op_sel:[0,1,0]
	ds_load_2addr_b64 v[54:57], v52 offset0:192 offset1:224
	s_waitcnt lgkmcnt(2)
	v_pk_fma_f16 v98, v4, v66, v99 op_sel_hi:[1,0,1]
	v_pk_fma_f16 v99, v4, v66, v100 op_sel:[0,1,0]
	v_pk_fma_f16 v78, v4, v67, v78 op_sel_hi:[1,0,1]
	v_pk_fma_f16 v74, v4, v67, v74 op_sel:[0,1,0]
	;; [unrolled: 2-line block ×8, first 2 shown]
	ds_load_2addr_b64 v[4:7], v53 offset1:32
	s_waitcnt lgkmcnt(2)
	v_pk_fma_f16 v60, v8, v68, v61 op_sel_hi:[1,0,1]
	v_pk_fma_f16 v61, v8, v68, v77 op_sel:[0,1,0]
	v_pk_fma_f16 v66, v8, v69, v85 op_sel_hi:[1,0,1]
	v_pk_fma_f16 v67, v8, v69, v86 op_sel:[0,1,0]
	;; [unrolled: 2-line block ×8, first 2 shown]
	s_waitcnt lgkmcnt(1)
	v_pk_fma_f16 v95, v54, v68, v98 op_sel_hi:[1,0,1]
	v_pk_fma_f16 v96, v54, v68, v99 op_sel:[0,1,0]
	v_pk_fma_f16 v78, v54, v69, v78 op_sel_hi:[1,0,1]
	v_pk_fma_f16 v74, v54, v69, v74 op_sel:[0,1,0]
	;; [unrolled: 2-line block ×7, first 2 shown]
	ds_load_2addr_b64 v[8:11], v53 offset0:64 offset1:96
	v_pk_fma_f16 v52, v57, v69, v52 op_sel_hi:[1,0,1]
	v_pk_fma_f16 v59, v57, v69, v59 op_sel:[0,1,0]
	ds_load_2addr_b64 v[54:57], v53 offset0:128 offset1:160
	s_waitcnt lgkmcnt(2)
	v_pk_fma_f16 v60, v4, v70, v60 op_sel_hi:[1,0,1]
	v_pk_fma_f16 v61, v4, v70, v61 op_sel:[0,1,0]
	v_pk_fma_f16 v66, v4, v71, v66 op_sel_hi:[1,0,1]
	v_pk_fma_f16 v67, v4, v71, v67 op_sel:[0,1,0]
	;; [unrolled: 2-line block ×8, first 2 shown]
	ds_load_2addr_b64 v[4:7], v53 offset0:192 offset1:224
	s_waitcnt lgkmcnt(2)
	v_pk_fma_f16 v93, v8, v70, v95 op_sel_hi:[1,0,1]
	v_pk_fma_f16 v94, v8, v70, v96 op_sel:[0,1,0]
	v_pk_fma_f16 v78, v8, v71, v78 op_sel_hi:[1,0,1]
	v_pk_fma_f16 v74, v8, v71, v74 op_sel:[0,1,0]
	;; [unrolled: 2-line block ×8, first 2 shown]
	s_waitcnt lgkmcnt(1)
	v_pk_fma_f16 v60, v54, v72, v60 op_sel_hi:[1,0,1]
	v_pk_fma_f16 v61, v54, v72, v61 op_sel:[0,1,0]
	v_pk_fma_f16 v66, v54, v73, v66 op_sel_hi:[1,0,1]
	v_pk_fma_f16 v67, v54, v73, v67 op_sel:[0,1,0]
	;; [unrolled: 2-line block ×4, first 2 shown]
	ds_load_2addr_b64 v[8:11], v51 offset1:32
	ds_load_b128 v[52:55], v42 offset:960
	v_pk_fma_f16 v85, v56, v72, v85 op_sel_hi:[1,0,1]
	v_pk_fma_f16 v86, v56, v72, v86 op_sel:[0,1,0]
	v_pk_fma_f16 v87, v56, v73, v87 op_sel_hi:[1,0,1]
	v_pk_fma_f16 v88, v56, v73, v88 op_sel:[0,1,0]
	;; [unrolled: 2-line block ×4, first 2 shown]
	s_waitcnt lgkmcnt(2)
	v_pk_fma_f16 v93, v4, v72, v93 op_sel_hi:[1,0,1]
	v_pk_fma_f16 v94, v4, v72, v94 op_sel:[0,1,0]
	v_pk_fma_f16 v95, v5, v72, v95 op_sel_hi:[1,0,1]
	v_pk_fma_f16 v79, v5, v72, v79 op_sel:[0,1,0]
	;; [unrolled: 2-line block ×4, first 2 shown]
	ds_load_2addr_b64 v[56:59], v51 offset0:64 offset1:96
	v_pk_fma_f16 v78, v4, v73, v78 op_sel_hi:[1,0,1]
	v_pk_fma_f16 v74, v4, v73, v74 op_sel:[0,1,0]
	v_pk_fma_f16 v80, v5, v73, v80 op_sel_hi:[1,0,1]
	v_pk_fma_f16 v75, v5, v73, v75 op_sel:[0,1,0]
	;; [unrolled: 2-line block ×4, first 2 shown]
	s_waitcnt lgkmcnt(1)
	v_pk_fma_f16 v73, v8, v52, v60 op_sel_hi:[1,0,1]
	v_pk_fma_f16 v100, v8, v52, v61 op_sel:[0,1,0]
	v_pk_fma_f16 v66, v8, v53, v66 op_sel_hi:[1,0,1]
	v_pk_fma_f16 v67, v8, v53, v67 op_sel:[0,1,0]
	;; [unrolled: 2-line block ×7, first 2 shown]
	ds_load_2addr_b64 v[60:63], v51 offset0:128 offset1:160
	v_pk_fma_f16 v91, v11, v53, v91 op_sel_hi:[1,0,1]
	v_pk_fma_f16 v92, v11, v53, v92 op_sel:[0,1,0]
	ds_load_2addr_b64 v[8:11], v51 offset0:192 offset1:224
	s_waitcnt lgkmcnt(2)
	v_pk_fma_f16 v93, v56, v52, v93 op_sel_hi:[1,0,1]
	v_pk_fma_f16 v94, v56, v52, v94 op_sel:[0,1,0]
	v_pk_fma_f16 v95, v57, v52, v95 op_sel_hi:[1,0,1]
	v_pk_fma_f16 v79, v57, v52, v79 op_sel:[0,1,0]
	;; [unrolled: 2-line block ×3, first 2 shown]
	v_pk_fma_f16 v96, v58, v53, v96 op_sel_hi:[1,0,1]
	v_pk_fma_f16 v97, v59, v52, v97 op_sel_hi:[1,0,1]
	v_pk_fma_f16 v52, v59, v52, v72 op_sel:[0,1,0]
	ds_load_b128 v[4:7], v42 offset:976
	v_pk_fma_f16 v78, v56, v53, v78 op_sel_hi:[1,0,1]
	v_pk_fma_f16 v74, v56, v53, v74 op_sel:[0,1,0]
	v_pk_fma_f16 v80, v57, v53, v80 op_sel_hi:[1,0,1]
	v_pk_fma_f16 v75, v57, v53, v75 op_sel:[0,1,0]
	v_pk_fma_f16 v76, v58, v53, v76 op_sel:[0,1,0]
	v_pk_fma_f16 v70, v59, v53, v70 op_sel_hi:[1,0,1]
	v_pk_fma_f16 v71, v59, v53, v71 op_sel:[0,1,0]
	s_waitcnt lgkmcnt(2)
	v_pk_fma_f16 v72, v60, v54, v73 op_sel_hi:[1,0,1]
	v_pk_fma_f16 v73, v60, v54, v100 op_sel:[0,1,0]
	v_pk_fma_f16 v66, v60, v55, v66 op_sel_hi:[1,0,1]
	v_pk_fma_f16 v60, v60, v55, v67 op_sel:[0,1,0]
	;; [unrolled: 2-line block ×7, first 2 shown]
	ds_load_2addr_b64 v[56:59], v50 offset1:32
	v_pk_fma_f16 v88, v63, v55, v91 op_sel_hi:[1,0,1]
	v_pk_fma_f16 v63, v63, v55, v92 op_sel:[0,1,0]
	s_waitcnt lgkmcnt(2)
	v_pk_fma_f16 v89, v8, v54, v93 op_sel_hi:[1,0,1]
	v_pk_fma_f16 v90, v8, v54, v94 op_sel:[0,1,0]
	v_pk_fma_f16 v91, v9, v54, v95 op_sel_hi:[1,0,1]
	v_pk_fma_f16 v79, v9, v54, v79 op_sel:[0,1,0]
	;; [unrolled: 2-line block ×3, first 2 shown]
	v_pk_fma_f16 v94, v10, v55, v96 op_sel_hi:[1,0,1]
	v_pk_fma_f16 v95, v11, v54, v97 op_sel_hi:[1,0,1]
	v_pk_fma_f16 v96, v11, v54, v52 op_sel:[0,1,0]
	ds_load_2addr_b64 v[51:54], v50 offset0:64 offset1:96
	v_pk_fma_f16 v78, v8, v55, v78 op_sel_hi:[1,0,1]
	v_pk_fma_f16 v74, v8, v55, v74 op_sel:[0,1,0]
	v_pk_fma_f16 v80, v9, v55, v80 op_sel_hi:[1,0,1]
	v_pk_fma_f16 v75, v9, v55, v75 op_sel:[0,1,0]
	v_pk_fma_f16 v76, v10, v55, v76 op_sel:[0,1,0]
	v_pk_fma_f16 v70, v11, v55, v70 op_sel_hi:[1,0,1]
	v_pk_fma_f16 v55, v11, v55, v71 op_sel:[0,1,0]
	ds_load_2addr_b64 v[8:11], v50 offset0:128 offset1:160
	s_waitcnt lgkmcnt(2)
	v_pk_fma_f16 v71, v56, v4, v72 op_sel_hi:[1,0,1]
	v_pk_fma_f16 v72, v56, v4, v73 op_sel:[0,1,0]
	v_pk_fma_f16 v66, v56, v5, v66 op_sel_hi:[1,0,1]
	v_pk_fma_f16 v56, v56, v5, v60 op_sel:[0,1,0]
	;; [unrolled: 2-line block ×8, first 2 shown]
	s_waitcnt lgkmcnt(1)
	v_pk_fma_f16 v85, v51, v4, v89 op_sel_hi:[1,0,1]
	v_pk_fma_f16 v86, v51, v4, v90 op_sel:[0,1,0]
	v_pk_fma_f16 v78, v51, v5, v78 op_sel_hi:[1,0,1]
	v_pk_fma_f16 v74, v51, v5, v74 op_sel:[0,1,0]
	;; [unrolled: 2-line block ×6, first 2 shown]
	ds_load_2addr_b64 v[50:53], v50 offset0:192 offset1:224
	v_pk_fma_f16 v91, v54, v4, v95 op_sel_hi:[1,0,1]
	v_pk_fma_f16 v4, v54, v4, v96 op_sel:[0,1,0]
	v_pk_fma_f16 v70, v54, v5, v70 op_sel_hi:[1,0,1]
	v_pk_fma_f16 v5, v54, v5, v55 op_sel:[0,1,0]
	s_waitcnt lgkmcnt(1)
	v_pk_fma_f16 v71, v8, v6, v71 op_sel_hi:[1,0,1]
	v_pk_fma_f16 v72, v8, v6, v72 op_sel:[0,1,0]
	v_pk_fma_f16 v66, v8, v7, v66 op_sel_hi:[1,0,1]
	v_pk_fma_f16 v92, v8, v7, v56 op_sel:[0,1,0]
	v_pk_fma_f16 v93, v9, v6, v60 op_sel_hi:[1,0,1]
	v_pk_fma_f16 v64, v9, v6, v64 op_sel:[0,1,0]
	v_pk_fma_f16 v67, v9, v7, v67 op_sel_hi:[1,0,1]
	v_pk_fma_f16 v94, v9, v7, v57 op_sel:[0,1,0]
	v_pk_fma_f16 v95, v10, v6, v61 op_sel_hi:[1,0,1]
	v_pk_fma_f16 v68, v10, v6, v68 op_sel:[0,1,0]
	v_pk_fma_f16 v69, v10, v7, v69 op_sel_hi:[1,0,1]
	v_pk_fma_f16 v96, v10, v7, v58 op_sel:[0,1,0]
	v_pk_fma_f16 v62, v11, v6, v62 op_sel_hi:[1,0,1]
	v_pk_fma_f16 v73, v11, v6, v73 op_sel:[0,1,0]
	v_pk_fma_f16 v77, v11, v7, v77 op_sel_hi:[1,0,1]
	ds_load_2addr_b64 v[54:57], v49 offset1:32
	ds_load_b128 v[58:61], v42 offset:992
	v_pk_fma_f16 v63, v11, v7, v63 op_sel:[0,1,0]
	ds_load_2addr_b64 v[8:11], v49 offset0:64 offset1:96
	s_waitcnt lgkmcnt(3)
	v_pk_fma_f16 v85, v50, v6, v85 op_sel_hi:[1,0,1]
	v_pk_fma_f16 v86, v50, v6, v86 op_sel:[0,1,0]
	v_pk_fma_f16 v78, v50, v7, v78 op_sel_hi:[1,0,1]
	v_pk_fma_f16 v74, v50, v7, v74 op_sel:[0,1,0]
	;; [unrolled: 2-line block ×8, first 2 shown]
	ds_load_2addr_b64 v[50:53], v49 offset0:128 offset1:160
	ds_load_b128 v[4:7], v42 offset:1008
	s_waitcnt lgkmcnt(3)
	v_pk_fma_f16 v71, v54, v58, v71 op_sel_hi:[1,0,1]
	v_pk_fma_f16 v72, v54, v58, v72 op_sel:[0,1,0]
	v_pk_fma_f16 v66, v54, v59, v66 op_sel_hi:[1,0,1]
	v_pk_fma_f16 v92, v54, v59, v92 op_sel:[0,1,0]
	;; [unrolled: 2-line block ×8, first 2 shown]
	s_waitcnt lgkmcnt(2)
	v_pk_fma_f16 v85, v8, v58, v85 op_sel_hi:[1,0,1]
	v_pk_fma_f16 v86, v8, v58, v86 op_sel:[0,1,0]
	v_pk_fma_f16 v78, v8, v59, v78 op_sel_hi:[1,0,1]
	v_pk_fma_f16 v74, v8, v59, v74 op_sel:[0,1,0]
	;; [unrolled: 2-line block ×7, first 2 shown]
	ds_load_2addr_b64 v[54:57], v49 offset0:192 offset1:224
	v_pk_fma_f16 v70, v11, v59, v70 op_sel_hi:[1,0,1]
	v_pk_fma_f16 v59, v11, v59, v98 op_sel:[0,1,0]
	ds_load_2addr_b64 v[8:11], v48 offset1:32
	s_waitcnt lgkmcnt(3)
	v_pk_fma_f16 v71, v50, v60, v71 op_sel_hi:[1,0,1]
	v_pk_fma_f16 v72, v50, v60, v72 op_sel:[0,1,0]
	v_pk_fma_f16 v66, v50, v61, v66 op_sel_hi:[1,0,1]
	v_pk_fma_f16 v92, v50, v61, v92 op_sel:[0,1,0]
	;; [unrolled: 2-line block ×8, first 2 shown]
	ds_load_2addr_b64 v[49:52], v48 offset0:64 offset1:96
	s_waitcnt lgkmcnt(2)
	v_pk_fma_f16 v63, v54, v60, v85 op_sel_hi:[1,0,1]
	v_pk_fma_f16 v97, v54, v60, v86 op_sel:[0,1,0]
	v_pk_fma_f16 v78, v54, v61, v78 op_sel_hi:[1,0,1]
	v_pk_fma_f16 v54, v54, v61, v74 op_sel:[0,1,0]
	;; [unrolled: 2-line block ×8, first 2 shown]
	s_waitcnt lgkmcnt(1)
	v_pk_fma_f16 v59, v8, v4, v71 op_sel_hi:[1,0,1]
	v_pk_fma_f16 v61, v8, v4, v72 op_sel:[0,1,0]
	v_pk_fma_f16 v66, v8, v5, v66 op_sel_hi:[1,0,1]
	v_pk_fma_f16 v70, v8, v5, v92 op_sel:[0,1,0]
	v_pk_fma_f16 v71, v9, v4, v93 op_sel_hi:[1,0,1]
	v_pk_fma_f16 v72, v9, v4, v64 op_sel:[0,1,0]
	v_pk_fma_f16 v67, v9, v5, v67 op_sel_hi:[1,0,1]
	v_pk_fma_f16 v91, v9, v5, v94 op_sel:[0,1,0]
	v_pk_fma_f16 v92, v10, v4, v95 op_sel_hi:[1,0,1]
	v_pk_fma_f16 v68, v10, v4, v68 op_sel:[0,1,0]
	v_pk_fma_f16 v93, v10, v5, v69 op_sel_hi:[1,0,1]
	v_pk_fma_f16 v94, v10, v5, v96 op_sel:[0,1,0]
	v_pk_fma_f16 v62, v11, v4, v62 op_sel_hi:[1,0,1]
	v_pk_fma_f16 v95, v11, v4, v73 op_sel:[0,1,0]
	ds_load_2addr_b64 v[85:88], v48 offset0:128 offset1:160
	v_pk_fma_f16 v96, v11, v5, v77 op_sel_hi:[1,0,1]
	v_pk_fma_f16 v53, v11, v5, v53 op_sel:[0,1,0]
	ds_load_2addr_b64 v[8:11], v48 offset0:192 offset1:224
	s_waitcnt lgkmcnt(0)
	s_barrier
	buffer_gl0_inv
	s_load_b32 s8, s[4:5], 0x4
	v_pk_fma_f16 v98, v49, v4, v63 op_sel_hi:[1,0,1]
	v_pk_fma_f16 v97, v49, v4, v97 op_sel:[0,1,0]
	v_pk_fma_f16 v78, v49, v5, v78 op_sel_hi:[1,0,1]
	v_pk_fma_f16 v49, v49, v5, v54 op_sel:[0,1,0]
	;; [unrolled: 2-line block ×9, first 2 shown]
	v_pk_fma_f16 v56, v85, v7, v66 op_sel_hi:[1,0,1]
	s_waitcnt lgkmcnt(0)
	s_lshl_b32 s8, s8, 7
	v_pk_fma_f16 v54, v85, v7, v70 op_sel:[0,1,0]
	v_pk_fma_f16 v79, v86, v6, v71 op_sel_hi:[1,0,1]
	v_pk_fma_f16 v72, v86, v6, v72 op_sel:[0,1,0]
	v_pk_fma_f16 v63, v86, v7, v67 op_sel_hi:[1,0,1]
	v_pk_fma_f16 v55, v86, v7, v91 op_sel:[0,1,0]
	v_pk_fma_f16 v77, v87, v6, v92 op_sel_hi:[1,0,1]
	v_pk_fma_f16 v69, v87, v6, v68 op_sel:[0,1,0]
	v_pk_fma_f16 v60, v87, v7, v93 op_sel_hi:[1,0,1]
	v_pk_fma_f16 v51, v87, v7, v94 op_sel:[0,1,0]
	v_pk_fma_f16 v80, v88, v6, v62 op_sel_hi:[1,0,1]
	v_pk_fma_f16 v71, v88, v6, v95 op_sel:[0,1,0]
	v_pk_fma_f16 v62, v88, v7, v96 op_sel_hi:[1,0,1]
	v_pk_fma_f16 v53, v88, v7, v53 op_sel:[0,1,0]
	v_pk_fma_f16 v76, v8, v6, v98 op_sel_hi:[1,0,1]
	v_pk_fma_f16 v68, v8, v6, v97 op_sel:[0,1,0]
	v_pk_fma_f16 v59, v8, v7, v78 op_sel_hi:[1,0,1]
	v_pk_fma_f16 v50, v8, v7, v49 op_sel:[0,1,0]
	v_pk_fma_f16 v78, v9, v6, v74 op_sel_hi:[1,0,1]
	v_pk_fma_f16 v70, v9, v6, v99 op_sel:[0,1,0]
	v_pk_fma_f16 v61, v9, v7, v100 op_sel_hi:[1,0,1]
	v_pk_fma_f16 v52, v9, v7, v101 op_sel:[0,1,0]
	v_pk_fma_f16 v74, v10, v6, v75 op_sel_hi:[1,0,1]
	v_pk_fma_f16 v66, v10, v6, v89 op_sel:[0,1,0]
	v_pk_fma_f16 v57, v10, v7, v90 op_sel_hi:[1,0,1]
	v_pk_fma_f16 v49, v10, v7, v102 op_sel:[0,1,0]
	v_pk_fma_f16 v75, v11, v6, v103 op_sel_hi:[1,0,1]
	v_pk_fma_f16 v67, v11, v6, v4 op_sel:[0,1,0]
	v_pk_fma_f16 v58, v11, v7, v58 op_sel_hi:[1,0,1]
	v_pk_fma_f16 v48, v11, v7, v5 op_sel:[0,1,0]
	s_add_i32 s3, s8, s3
	s_delay_alu instid0(SALU_CYCLE_1)
	s_cmp_ge_i32 s3, s2
	s_cbranch_scc1 .LBB0_15
; %bb.14:                               ;   in Loop: Header=BB0_9 Depth=1
	v_dual_mov_b32 v91, v0 :: v_dual_mov_b32 v94, v1
	v_dual_mov_b32 v93, v2 :: v_dual_mov_b32 v92, v3
	;; [unrolled: 1-line block ×4, first 2 shown]
	s_branch .LBB0_9
.LBB0_15:
	v_dual_mov_b32 v8, 32 :: v_dual_mov_b32 v9, v34
.LBB0_16:
	s_delay_alu instid0(VALU_DEP_1)
	v_cmp_lt_i32_e32 vcc_lo, v12, v8
	s_cmp_lg_u64 s[24:25], 0
	s_cselect_b32 s2, -1, 0
	s_cmp_eq_u32 s14, 0
	v_cndmask_b32_e32 v4, v9, v12, vcc_lo
	v_cmp_lt_i32_e32 vcc_lo, v13, v8
	s_cselect_b32 s3, -1, 0
	s_delay_alu instid0(SALU_CYCLE_1) | instskip(NEXT) | instid1(VALU_DEP_2)
	s_and_b32 s2, s3, s2
	v_lshlrev_b32_e32 v4, 2, v4
	v_cndmask_b32_e32 v10, v9, v13, vcc_lo
	v_cmp_lt_i32_e32 vcc_lo, v14, v8
	ds_bpermute_b32 v7, v4, v82
	v_cndmask_b32_e32 v14, v9, v14, vcc_lo
	v_cmp_lt_i32_e32 vcc_lo, v15, v8
	s_waitcnt lgkmcnt(0)
	s_delay_alu instid0(VALU_DEP_2)
	v_dual_add_f32 v7, v82, v7 :: v_dual_lshlrev_b32 v14, 2, v14
	ds_bpermute_b32 v5, v4, v84
	ds_bpermute_b32 v6, v4, v83
	;; [unrolled: 1-line block ×3, first 2 shown]
	s_waitcnt lgkmcnt(2)
	v_dual_add_f32 v5, v84, v5 :: v_dual_lshlrev_b32 v10, 2, v10
	s_waitcnt lgkmcnt(1)
	v_add_f32_e32 v6, v83, v6
	ds_bpermute_b32 v11, v10, v5
	s_waitcnt lgkmcnt(0)
	v_add_f32_e32 v5, v5, v11
	ds_bpermute_b32 v13, v10, v7
	v_add_f32_e32 v4, v81, v4
	ds_bpermute_b32 v12, v10, v6
	s_waitcnt lgkmcnt(1)
	v_add_f32_e32 v7, v7, v13
	ds_bpermute_b32 v10, v10, v4
	s_waitcnt lgkmcnt(0)
	v_add_f32_e32 v4, v4, v10
	ds_bpermute_b32 v10, v14, v5
	v_add_f32_e32 v6, v6, v12
	ds_bpermute_b32 v12, v14, v7
	ds_bpermute_b32 v13, v14, v4
	s_waitcnt lgkmcnt(2)
	v_add_f32_e32 v5, v5, v10
	ds_bpermute_b32 v11, v14, v6
	s_waitcnt lgkmcnt(2)
	v_dual_cndmask_b32 v14, v9, v15 :: v_dual_add_f32 v7, v7, v12
	s_waitcnt lgkmcnt(1)
	v_add_f32_e32 v4, v4, v13
	v_cmp_lt_i32_e32 vcc_lo, v65, v8
	s_delay_alu instid0(VALU_DEP_3)
	v_lshlrev_b32_e32 v14, 2, v14
	v_cndmask_b32_e32 v8, v9, v65, vcc_lo
	s_and_b32 vcc_lo, exec_lo, s2
	ds_bpermute_b32 v10, v14, v5
	ds_bpermute_b32 v12, v14, v7
	;; [unrolled: 1-line block ×3, first 2 shown]
	v_lshlrev_b32_e32 v8, 2, v8
	s_waitcnt lgkmcnt(2)
	v_dual_add_f32 v6, v6, v11 :: v_dual_add_f32 v5, v5, v10
	ds_bpermute_b32 v11, v14, v6
	s_waitcnt lgkmcnt(2)
	v_add_f32_e32 v7, v7, v12
	s_waitcnt lgkmcnt(1)
	v_add_f32_e32 v9, v4, v13
	ds_bpermute_b32 v4, v8, v5
	s_waitcnt lgkmcnt(1)
	v_add_f32_e32 v6, v6, v11
	ds_bpermute_b32 v11, v8, v7
	;; [unrolled: 3-line block ×3, first 2 shown]
	ds_bpermute_b32 v8, v8, v9
	s_waitcnt lgkmcnt(1)
	v_dual_add_f32 v5, v6, v10 :: v_dual_add_f32 v6, v7, v11
	s_waitcnt lgkmcnt(0)
	v_add_f32_e32 v7, v9, v8
	s_cbranch_vccz .LBB0_19
; %bb.17:
	v_dual_max_f32 v13, v1, v1 :: v_dual_add_nc_u32 v8, s12, v32
	s_delay_alu instid0(VALU_DEP_1) | instskip(NEXT) | instid1(VALU_DEP_1)
	v_ashrrev_i32_e32 v9, 31, v8
	v_lshlrev_b64 v[8:9], 2, v[8:9]
	s_delay_alu instid0(VALU_DEP_1) | instskip(NEXT) | instid1(VALU_DEP_2)
	v_add_co_u32 v8, vcc_lo, s24, v8
	v_add_co_ci_u32_e32 v9, vcc_lo, s25, v9, vcc_lo
	global_load_b128 v[8:11], v[8:9], off
	v_max_f32_e32 v12, v0, v0
	s_waitcnt vmcnt(0)
	v_dual_max_f32 v14, v2, v2 :: v_dual_max_f32 v15, v8, v8
	v_dual_max_f32 v19, v9, v9 :: v_dual_max_f32 v20, v10, v10
	v_max_f32_e32 v21, v11, v11
	s_delay_alu instid0(VALU_DEP_2) | instskip(NEXT) | instid1(VALU_DEP_1)
	v_dual_max_f32 v13, v13, v19 :: v_dual_max_f32 v14, v14, v20
	v_dual_max_f32 v18, v3, v3 :: v_dual_sub_f32 v19, v1, v13
	s_delay_alu instid0(VALU_DEP_1) | instskip(NEXT) | instid1(VALU_DEP_3)
	v_dual_max_f32 v12, v12, v15 :: v_dual_max_f32 v15, v18, v21
	v_sub_f32_e32 v10, v10, v14
	v_dual_sub_f32 v20, v2, v14 :: v_dual_sub_f32 v9, v9, v13
	s_delay_alu instid0(VALU_DEP_3) | instskip(NEXT) | instid1(VALU_DEP_4)
	v_sub_f32_e32 v18, v0, v12
	v_dual_sub_f32 v8, v8, v12 :: v_dual_sub_f32 v21, v3, v15
	v_dual_mov_b32 v0, v12 :: v_dual_mov_b32 v3, v15
	v_dual_mov_b32 v1, v13 :: v_dual_mov_b32 v2, v14
	s_delay_alu instid0(VALU_DEP_3) | instskip(SKIP_3) | instid1(VALU_DEP_4)
	v_dual_mul_f32 v13, 0x3fb8aa3b, v8 :: v_dual_mul_f32 v12, 0x3fb8aa3b, v18
	v_dual_mul_f32 v14, 0x3fb8aa3b, v19 :: v_dual_mul_f32 v23, 0x3fb8aa3b, v10
	v_sub_f32_e32 v11, v11, v15
	v_mul_f32_e32 v15, 0x3fb8aa3b, v9
	v_fma_f32 v26, 0x3fb8aa3b, v18, -v12
	v_rndne_f32_e32 v27, v12
	v_fma_f32 v28, 0x3fb8aa3b, v8, -v13
	v_rndne_f32_e32 v29, v13
	v_rndne_f32_e32 v39, v23
	v_fma_f32 v38, 0x3fb8aa3b, v10, -v23
	v_fmac_f32_e32 v26, 0x32a5705f, v18
	s_delay_alu instid0(VALU_DEP_4) | instskip(NEXT) | instid1(VALU_DEP_4)
	v_dual_fmac_f32 v28, 0x32a5705f, v8 :: v_dual_sub_f32 v13, v13, v29
	v_sub_f32_e32 v23, v23, v39
	v_sub_f32_e32 v12, v12, v27
	v_cvt_i32_f32_e32 v27, v27
	v_cvt_i32_f32_e32 v29, v29
	v_add_f32_e32 v13, v13, v28
	v_cmp_ngt_f32_e32 vcc_lo, 0xc2ce8ed0, v18
	v_add_f32_e32 v12, v12, v26
	v_dual_mul_f32 v22, 0x3fb8aa3b, v20 :: v_dual_mul_f32 v25, 0x3fb8aa3b, v11
	s_delay_alu instid0(VALU_DEP_4) | instskip(SKIP_1) | instid1(VALU_DEP_3)
	v_exp_f32_e32 v13, v13
	v_fma_f32 v30, 0x3fb8aa3b, v19, -v14
	v_exp_f32_e32 v12, v12
	v_rndne_f32_e32 v33, v14
	v_fma_f32 v34, 0x3fb8aa3b, v9, -v15
	v_rndne_f32_e32 v35, v15
	v_mul_f32_e32 v24, 0x3fb8aa3b, v21
	v_rndne_f32_e32 v43, v25
	v_sub_f32_e32 v14, v14, v33
	v_fma_f32 v42, 0x3fb8aa3b, v11, -v25
	v_ldexp_f32 v13, v13, v29
	v_sub_f32_e32 v15, v15, v35
	v_sub_f32_e32 v25, v25, v43
	v_ldexp_f32 v12, v12, v27
	v_cvt_i32_f32_e32 v33, v33
	v_fma_f32 v36, 0x3fb8aa3b, v20, -v22
	v_rndne_f32_e32 v37, v22
	v_cvt_i32_f32_e32 v35, v35
	v_cndmask_b32_e32 v12, 0, v12, vcc_lo
	v_cmp_ngt_f32_e32 vcc_lo, 0xc2ce8ed0, v8
	v_fmac_f32_e32 v38, 0x32a5705f, v10
	v_fmac_f32_e32 v42, 0x32a5705f, v11
	;; [unrolled: 1-line block ×3, first 2 shown]
	v_fma_f32 v40, 0x3fb8aa3b, v21, -v24
	v_cndmask_b32_e32 v13, 0, v13, vcc_lo
	v_dual_fmac_f32 v34, 0x32a5705f, v9 :: v_dual_add_f32 v23, v23, v38
	v_fmac_f32_e32 v30, 0x32a5705f, v19
	v_cmp_ngt_f32_e32 vcc_lo, 0xc2ce8ed0, v19
	v_add_f32_e32 v25, v25, v42
	s_delay_alu instid0(VALU_DEP_4)
	v_add_f32_e32 v15, v15, v34
	v_exp_f32_e32 v23, v23
	v_add_f32_e32 v14, v14, v30
	v_rndne_f32_e32 v41, v24
	v_cvt_i32_f32_e32 v39, v39
	v_exp_f32_e32 v15, v15
	v_exp_f32_e32 v25, v25
	;; [unrolled: 1-line block ×3, first 2 shown]
	v_cvt_i32_f32_e32 v26, v41
	v_cvt_i32_f32_e32 v28, v43
	v_ldexp_f32 v23, v23, v39
	s_delay_alu instid0(TRANS32_DEP_3) | instskip(SKIP_3) | instid1(VALU_DEP_1)
	v_ldexp_f32 v15, v15, v35
	s_waitcnt_depctr 0xfff
	v_ldexp_f32 v25, v25, v28
	v_ldexp_f32 v14, v14, v33
	v_cndmask_b32_e32 v14, 0, v14, vcc_lo
	v_cmp_ngt_f32_e32 vcc_lo, 0xc2ce8ed0, v9
	v_sub_f32_e32 v22, v22, v37
	v_cvt_i32_f32_e32 v37, v37
	v_dual_sub_f32 v24, v24, v41 :: v_dual_cndmask_b32 v15, 0, v15
	s_delay_alu instid0(VALU_DEP_3) | instskip(SKIP_1) | instid1(VALU_DEP_2)
	v_add_f32_e32 v22, v22, v36
	v_cmp_ngt_f32_e32 vcc_lo, 0xc2ce8ed0, v20
	v_exp_f32_e32 v22, v22
	s_waitcnt_depctr 0xfff
	v_ldexp_f32 v22, v22, v37
	s_delay_alu instid0(VALU_DEP_1) | instskip(SKIP_2) | instid1(VALU_DEP_1)
	v_cndmask_b32_e32 v22, 0, v22, vcc_lo
	v_cmp_ngt_f32_e32 vcc_lo, 0xc2ce8ed0, v10
	v_dual_fmac_f32 v40, 0x32a5705f, v21 :: v_dual_cndmask_b32 v23, 0, v23
	v_add_f32_e32 v24, v24, v40
	v_cmp_ngt_f32_e32 vcc_lo, 0xc2ce8ed0, v21
	s_delay_alu instid0(VALU_DEP_2) | instskip(SKIP_2) | instid1(VALU_DEP_1)
	v_exp_f32_e32 v24, v24
	s_waitcnt_depctr 0xfff
	v_ldexp_f32 v24, v24, v26
	v_cndmask_b32_e32 v24, 0, v24, vcc_lo
	v_cmp_ngt_f32_e32 vcc_lo, 0xc2ce8ed0, v11
	v_cndmask_b32_e32 v25, 0, v25, vcc_lo
	v_cmp_nlt_f32_e32 vcc_lo, 0x42b17218, v18
	v_cndmask_b32_e32 v12, 0x7f800000, v12, vcc_lo
	v_cmp_nlt_f32_e32 vcc_lo, 0x42b17218, v8
	v_cndmask_b32_e32 v8, 0x7f800000, v13, vcc_lo
	v_cmp_nlt_f32_e32 vcc_lo, 0x42b17218, v19
	s_delay_alu instid0(VALU_DEP_2) | instskip(SKIP_4) | instid1(VALU_DEP_3)
	v_dual_fmac_f32 v8, v4, v12 :: v_dual_cndmask_b32 v13, 0x7f800000, v14
	v_cmp_nlt_f32_e32 vcc_lo, 0x42b17218, v9
	v_cvt_f16_f32_e32 v4, v12
	v_cndmask_b32_e32 v9, 0x7f800000, v15, vcc_lo
	v_cmp_nlt_f32_e32 vcc_lo, 0x42b17218, v20
	v_pk_mul_f16 v73, v4, v73 op_sel_hi:[0,1]
	v_pk_mul_f16 v79, v4, v79 op_sel_hi:[0,1]
	;; [unrolled: 1-line block ×3, first 2 shown]
	v_dual_fmac_f32 v9, v5, v13 :: v_dual_cndmask_b32 v14, 0x7f800000, v22
	v_cmp_nlt_f32_e32 vcc_lo, 0x42b17218, v10
	v_cvt_f16_f32_e32 v5, v13
	v_pk_mul_f16 v80, v4, v80 op_sel_hi:[0,1]
	v_pk_mul_f16 v76, v4, v76 op_sel_hi:[0,1]
	;; [unrolled: 1-line block ×3, first 2 shown]
	v_cndmask_b32_e32 v10, 0x7f800000, v23, vcc_lo
	v_cmp_nlt_f32_e32 vcc_lo, 0x42b17218, v21
	v_pk_mul_f16 v74, v4, v74 op_sel_hi:[0,1]
	v_pk_mul_f16 v75, v4, v75 op_sel_hi:[0,1]
	;; [unrolled: 1-line block ×3, first 2 shown]
	v_dual_fmac_f32 v10, v6, v14 :: v_dual_cndmask_b32 v15, 0x7f800000, v24
	v_cmp_nlt_f32_e32 vcc_lo, 0x42b17218, v11
	v_cvt_f16_f32_e32 v6, v14
	v_pk_mul_f16 v72, v5, v72 op_sel_hi:[0,1]
	v_pk_mul_f16 v69, v5, v69 op_sel_hi:[0,1]
	;; [unrolled: 1-line block ×3, first 2 shown]
	v_cndmask_b32_e32 v11, 0x7f800000, v25, vcc_lo
	v_pk_mul_f16 v68, v5, v68 op_sel_hi:[0,1]
	v_pk_mul_f16 v70, v5, v70 op_sel_hi:[0,1]
	;; [unrolled: 1-line block ×4, first 2 shown]
	v_fmac_f32_e32 v11, v7, v15
	v_cvt_f16_f32_e32 v7, v15
	v_pk_mul_f16 v56, v6, v56 op_sel_hi:[0,1]
	v_pk_mul_f16 v63, v6, v63 op_sel_hi:[0,1]
	;; [unrolled: 1-line block ×16, first 2 shown]
	v_dual_mov_b32 v4, v8 :: v_dual_mov_b32 v5, v9
	v_dual_mov_b32 v6, v10 :: v_dual_mov_b32 v7, v11
	s_mov_b32 s2, exec_lo
	v_cmpx_gt_i32_e64 s6, v16
	s_cbranch_execnz .LBB0_20
.LBB0_18:
	s_nop 0
	s_sendmsg sendmsg(MSG_DEALLOC_VGPRS)
	s_endpgm
.LBB0_19:
	s_delay_alu instid0(VALU_DEP_1)
	v_dual_mov_b32 v11, v7 :: v_dual_mov_b32 v10, v6
	v_dual_mov_b32 v9, v5 :: v_dual_mov_b32 v8, v4
	s_mov_b32 s2, exec_lo
	v_cmpx_gt_i32_e64 s6, v16
	s_cbranch_execz .LBB0_18
.LBB0_20:
	s_load_b32 s1, s[0:1], 0xd4
	v_mov_b32_e32 v14, 1.0
	s_waitcnt lgkmcnt(0)
	s_cmp_lg_u32 s1, 1
	s_cselect_b32 s3, -1, 0
	s_cmp_eq_u32 s1, 1
	s_cselect_b32 s2, -1, 0
	s_and_b32 vcc_lo, exec_lo, s3
	s_cbranch_vccnz .LBB0_22
; %bb.21:
	v_div_scale_f32 v12, null, v4, v4, 1.0
	s_delay_alu instid0(VALU_DEP_1) | instskip(SKIP_2) | instid1(VALU_DEP_1)
	v_rcp_f32_e32 v13, v12
	s_waitcnt_depctr 0xfff
	v_fma_f32 v14, -v12, v13, 1.0
	v_fmac_f32_e32 v13, v14, v13
	v_div_scale_f32 v14, vcc_lo, 1.0, v4, 1.0
	s_delay_alu instid0(VALU_DEP_1) | instskip(NEXT) | instid1(VALU_DEP_1)
	v_mul_f32_e32 v15, v14, v13
	v_fma_f32 v18, -v12, v15, v14
	s_delay_alu instid0(VALU_DEP_1) | instskip(NEXT) | instid1(VALU_DEP_1)
	v_fmac_f32_e32 v15, v18, v13
	v_fma_f32 v12, -v12, v15, v14
	s_delay_alu instid0(VALU_DEP_1) | instskip(NEXT) | instid1(VALU_DEP_1)
	v_div_fmas_f32 v12, v12, v13, v15
	v_div_fixup_f32 v14, v12, v4, 1.0
.LBB0_22:
	v_mad_u64_u32 v[12:13], null, s33, s6, v[16:17]
	v_cmp_eq_u32_e32 vcc_lo, 0, v17
	v_lshrrev_b32_e32 v4, 16, v79
	v_cvt_f32_f16_e32 v15, v79
	v_cvt_f32_f16_e32 v18, v73
	v_mov_b32_e32 v28, 0
	v_lshrrev_b32_e32 v19, 16, v80
	v_mul_lo_u32 v12, v12, s7
	v_cvt_f32_f16_e32 v23, v77
	v_cvt_f32_f16_e32 v4, v4
	v_lshrrev_b32_e32 v16, 16, v73
	v_lshrrev_b32_e32 v25, 16, v78
	v_cvt_f32_f16_e32 v29, v19
	v_mul_f32_e32 v19, v14, v23
	v_cvt_f32_f16_e32 v20, v80
	v_add3_u32 v17, s12, v32, v12
	v_lshrrev_b32_e32 v22, 16, v77
	v_cvt_f32_f16_e32 v38, v25
	v_lshrrev_b32_e32 v37, 16, v76
	v_cvt_f32_f16_e32 v36, v78
	v_mad_u64_u32 v[12:13], null, s1, v17, s[14:15]
	v_mul_f32_e32 v17, v14, v15
	v_dual_mul_f32 v15, v14, v18 :: v_dual_mov_b32 v24, v28
	v_cvt_f32_f16_e32 v13, v16
	v_dual_mul_f32 v21, v14, v20 :: v_dual_mov_b32 v30, v28
	v_lshl_add_u32 v27, v12, 9, v31
	v_mul_f32_e32 v18, v14, v4
	s_delay_alu instid0(VALU_DEP_4)
	v_mul_f32_e32 v16, v14, v13
	v_cvt_f32_f16_e32 v13, v76
	v_cvt_f32_f16_e32 v20, v22
	v_add_nc_u32_e32 v23, 0x80, v27
	v_lshlrev_b64 v[25:26], 2, v[27:28]
	v_dual_mul_f32 v22, v14, v29 :: v_dual_add_nc_u32 v29, 0x100, v27
	v_add_nc_u32_e32 v27, 0x180, v27
	s_delay_alu instid0(VALU_DEP_4) | instskip(SKIP_2) | instid1(VALU_DEP_1)
	v_lshlrev_b64 v[23:24], 2, v[23:24]
	v_cvt_f32_f16_e32 v4, v37
	v_add_co_u32 v32, s0, s28, v25
	v_add_co_ci_u32_e64 v33, s0, s29, v26, s0
	s_delay_alu instid0(VALU_DEP_4)
	v_add_co_u32 v34, s0, s28, v23
	v_mul_f32_e32 v23, v14, v13
	v_lshrrev_b32_e32 v13, 16, v74
	v_lshlrev_b64 v[29:30], 2, v[29:30]
	v_add_co_ci_u32_e64 v35, s0, s29, v24, s0
	v_mul_f32_e32 v24, v14, v4
	v_lshrrev_b32_e32 v4, 16, v75
	v_mul_f32_e32 v26, v14, v38
	v_lshlrev_b64 v[38:39], 2, v[27:28]
	v_cvt_f32_f16_e32 v13, v13
	v_mul_f32_e32 v25, v14, v36
	v_add_co_u32 v36, s0, s28, v29
	v_cvt_f32_f16_e32 v4, v4
	v_cvt_f32_f16_e32 v29, v75
	;; [unrolled: 1-line block ×3, first 2 shown]
	v_add_co_ci_u32_e64 v37, s0, s29, v30, s0
	v_mul_f32_e32 v28, v14, v13
	v_add_co_u32 v13, s0, s28, v38
	v_mul_f32_e32 v20, v14, v20
	v_mul_f32_e32 v30, v14, v4
	;; [unrolled: 1-line block ×4, first 2 shown]
	v_add_co_ci_u32_e64 v14, s0, s29, v39, s0
	s_and_b32 s0, vcc_lo, s3
	s_clause 0x3
	global_store_b128 v[32:33], v[15:18], off
	global_store_b128 v[34:35], v[19:22], off
	;; [unrolled: 1-line block ×4, first 2 shown]
	s_and_saveexec_b32 s3, s0
	s_cbranch_execz .LBB0_24
; %bb.23:
	v_ashrrev_i32_e32 v13, 31, v12
	v_mov_b32_e32 v15, v0
	v_mov_b32_e32 v16, v8
	s_delay_alu instid0(VALU_DEP_3) | instskip(NEXT) | instid1(VALU_DEP_1)
	v_lshlrev_b64 v[13:14], 3, v[12:13]
	v_add_co_u32 v13, vcc_lo, s30, v13
	s_delay_alu instid0(VALU_DEP_2)
	v_add_co_ci_u32_e32 v14, vcc_lo, s31, v14, vcc_lo
	global_store_b64 v[13:14], v[15:16], off
.LBB0_24:
	s_or_b32 exec_lo, exec_lo, s3
	v_cndmask_b32_e64 v13, 0, 1, s2
	v_mov_b32_e32 v0, 1.0
	s_and_not1_b32 vcc_lo, exec_lo, s2
	s_cbranch_vccnz .LBB0_26
; %bb.25:
	v_div_scale_f32 v0, null, v5, v5, 1.0
	s_delay_alu instid0(VALU_DEP_1) | instskip(SKIP_2) | instid1(VALU_DEP_1)
	v_rcp_f32_e32 v4, v0
	s_waitcnt_depctr 0xfff
	v_fma_f32 v8, -v0, v4, 1.0
	v_fmac_f32_e32 v4, v8, v4
	v_div_scale_f32 v8, vcc_lo, 1.0, v5, 1.0
	s_delay_alu instid0(VALU_DEP_1) | instskip(NEXT) | instid1(VALU_DEP_1)
	v_mul_f32_e32 v14, v8, v4
	v_fma_f32 v15, -v0, v14, v8
	s_delay_alu instid0(VALU_DEP_1) | instskip(NEXT) | instid1(VALU_DEP_1)
	v_fmac_f32_e32 v14, v15, v4
	v_fma_f32 v0, -v0, v14, v8
	s_delay_alu instid0(VALU_DEP_1) | instskip(NEXT) | instid1(VALU_DEP_1)
	v_div_fmas_f32 v0, v0, v4, v14
	v_div_fixup_f32 v0, v0, v5, 1.0
.LBB0_26:
	v_dual_mov_b32 v27, 0 :: v_dual_add_nc_u32 v4, s1, v12
	v_lshrrev_b32_e32 v5, 16, v72
	v_cvt_f32_f16_e32 v8, v72
	v_lshrrev_b32_e32 v20, 16, v71
	s_delay_alu instid0(VALU_DEP_4)
	v_lshl_add_u32 v26, v4, 9, v31
	v_lshrrev_b32_e32 v12, 16, v64
	v_cvt_f32_f16_e32 v5, v5
	v_mul_f32_e32 v16, v0, v8
	v_cvt_f32_f16_e32 v8, v20
	v_lshlrev_b64 v[18:19], 2, v[26:27]
	v_cvt_f32_f16_e32 v14, v64
	v_mul_f32_e32 v17, v0, v5
	v_lshrrev_b32_e32 v5, 16, v69
	v_cvt_f32_f16_e32 v12, v12
	v_mul_f32_e32 v21, v0, v8
	v_add_co_u32 v32, vcc_lo, s28, v18
	v_add_co_ci_u32_e32 v33, vcc_lo, s29, v19, vcc_lo
	v_dual_mov_b32 v19, v27 :: v_dual_add_nc_u32 v18, 0x80, v26
	v_cvt_f32_f16_e32 v5, v5
	v_lshrrev_b32_e32 v8, 16, v68
	v_mul_f32_e32 v14, v0, v14
	v_mul_f32_e32 v15, v0, v12
	v_lshlrev_b64 v[22:23], 2, v[18:19]
	v_mul_f32_e32 v19, v0, v5
	v_lshrrev_b32_e32 v5, 16, v70
	v_cvt_f32_f16_e32 v12, v71
	v_cvt_f32_f16_e32 v8, v8
	;; [unrolled: 1-line block ×3, first 2 shown]
	v_add_co_u32 v34, vcc_lo, s28, v22
	v_add_nc_u32_e32 v22, 0x100, v26
	v_add_co_ci_u32_e32 v35, vcc_lo, s29, v23, vcc_lo
	v_mov_b32_e32 v23, v27
	v_cvt_f32_f16_e32 v5, v5
	v_add_nc_u32_e32 v26, 0x180, v26
	v_mul_f32_e32 v20, v0, v12
	v_cvt_f32_f16_e32 v12, v70
	v_lshlrev_b64 v[28:29], 2, v[22:23]
	v_cvt_f32_f16_e32 v30, v68
	v_mul_f32_e32 v25, v0, v5
	v_mul_f32_e32 v23, v0, v8
	v_lshrrev_b32_e32 v5, 16, v67
	v_lshrrev_b32_e32 v8, 16, v66
	v_lshlrev_b64 v[38:39], 2, v[26:27]
	v_mul_f32_e32 v18, v0, v24
	v_mul_f32_e32 v24, v0, v12
	;; [unrolled: 1-line block ×3, first 2 shown]
	v_add_co_u32 v36, vcc_lo, s28, v28
	v_cvt_f32_f16_e32 v5, v5
	v_cvt_f32_f16_e32 v12, v67
	;; [unrolled: 1-line block ×4, first 2 shown]
	v_add_co_ci_u32_e32 v37, vcc_lo, s29, v29, vcc_lo
	v_add_co_u32 v38, vcc_lo, s28, v38
	v_mul_f32_e32 v29, v0, v5
	v_mul_f32_e32 v28, v0, v12
	;; [unrolled: 1-line block ×4, first 2 shown]
	v_add_co_ci_u32_e32 v39, vcc_lo, s29, v39, vcc_lo
	s_clause 0x3
	global_store_b128 v[32:33], v[14:17], off
	global_store_b128 v[34:35], v[18:21], off
	;; [unrolled: 1-line block ×4, first 2 shown]
	s_and_saveexec_b32 s2, s0
	s_cbranch_execz .LBB0_28
; %bb.27:
	v_ashrrev_i32_e32 v5, 31, v4
	v_mov_b32_e32 v8, v1
	s_delay_alu instid0(VALU_DEP_2) | instskip(NEXT) | instid1(VALU_DEP_1)
	v_lshlrev_b64 v[14:15], 3, v[4:5]
	v_add_co_u32 v14, vcc_lo, s30, v14
	s_delay_alu instid0(VALU_DEP_2)
	v_add_co_ci_u32_e32 v15, vcc_lo, s31, v15, vcc_lo
	global_store_b64 v[14:15], v[8:9], off
.LBB0_28:
	s_or_b32 exec_lo, exec_lo, s2
	v_cmp_ne_u32_e32 vcc_lo, 1, v13
	v_mov_b32_e32 v1, 1.0
	s_cbranch_vccnz .LBB0_30
; %bb.29:
	v_div_scale_f32 v0, null, v6, v6, 1.0
	s_delay_alu instid0(VALU_DEP_1) | instskip(SKIP_2) | instid1(VALU_DEP_1)
	v_rcp_f32_e32 v1, v0
	s_waitcnt_depctr 0xfff
	v_fma_f32 v5, -v0, v1, 1.0
	v_fmac_f32_e32 v1, v5, v1
	v_div_scale_f32 v5, vcc_lo, 1.0, v6, 1.0
	s_delay_alu instid0(VALU_DEP_1) | instskip(NEXT) | instid1(VALU_DEP_1)
	v_mul_f32_e32 v8, v5, v1
	v_fma_f32 v9, -v0, v8, v5
	s_delay_alu instid0(VALU_DEP_1) | instskip(NEXT) | instid1(VALU_DEP_1)
	v_fmac_f32_e32 v8, v9, v1
	v_fma_f32 v0, -v0, v8, v5
	s_delay_alu instid0(VALU_DEP_1) | instskip(NEXT) | instid1(VALU_DEP_1)
	v_div_fmas_f32 v0, v0, v1, v8
	v_div_fixup_f32 v1, v0, v6, 1.0
.LBB0_30:
	v_lshrrev_b32_e32 v6, 16, v63
	v_dual_mov_b32 v5, 0 :: v_dual_add_nc_u32 v0, s1, v4
	v_cvt_f32_f16_e32 v12, v63
	v_lshrrev_b32_e32 v18, 16, v62
	s_delay_alu instid0(VALU_DEP_4) | instskip(NEXT) | instid1(VALU_DEP_4)
	v_cvt_f32_f16_e32 v6, v6
	v_lshl_add_u32 v4, v0, 9, v31
	v_lshrrev_b32_e32 v8, 16, v56
	v_mul_f32_e32 v16, v1, v12
	v_cvt_f32_f16_e32 v12, v18
	s_delay_alu instid0(VALU_DEP_4)
	v_dual_mul_f32 v17, v1, v6 :: v_dual_add_nc_u32 v18, 0x80, v4
	v_lshrrev_b32_e32 v6, 16, v60
	v_mov_b32_e32 v19, v5
	v_cvt_f32_f16_e32 v15, v8
	v_lshlrev_b64 v[8:9], 2, v[4:5]
	v_mul_f32_e32 v21, v1, v12
	v_cvt_f32_f16_e32 v6, v6
	v_lshlrev_b64 v[22:23], 2, v[18:19]
	v_lshrrev_b32_e32 v12, 16, v59
	v_mul_f32_e32 v15, v1, v15
	v_add_co_u32 v8, vcc_lo, s28, v8
	v_mul_f32_e32 v19, v1, v6
	v_lshrrev_b32_e32 v6, 16, v61
	v_add_co_ci_u32_e32 v9, vcc_lo, s29, v9, vcc_lo
	v_add_co_u32 v32, vcc_lo, s28, v22
	v_add_nc_u32_e32 v22, 0x100, v4
	v_add_co_ci_u32_e32 v33, vcc_lo, s29, v23, vcc_lo
	v_mov_b32_e32 v23, v5
	v_cvt_f32_f16_e32 v6, v6
	v_cvt_f32_f16_e32 v12, v12
	v_add_nc_u32_e32 v4, 0x180, v4
	v_cvt_f32_f16_e32 v24, v60
	v_lshlrev_b64 v[26:27], 2, v[22:23]
	v_mul_f32_e32 v25, v1, v6
	v_mul_f32_e32 v23, v1, v12
	v_lshrrev_b32_e32 v6, 16, v58
	v_lshrrev_b32_e32 v12, 16, v57
	v_cvt_f32_f16_e32 v14, v56
	v_lshlrev_b64 v[4:5], 2, v[4:5]
	v_cvt_f32_f16_e32 v20, v62
	v_mul_f32_e32 v18, v1, v24
	v_cvt_f32_f16_e32 v24, v61
	v_cvt_f32_f16_e32 v28, v59
	v_add_co_u32 v34, vcc_lo, s28, v26
	v_cvt_f32_f16_e32 v6, v6
	v_cvt_f32_f16_e32 v26, v58
	;; [unrolled: 1-line block ×4, first 2 shown]
	v_mul_f32_e32 v14, v1, v14
	v_add_co_ci_u32_e32 v35, vcc_lo, s29, v27, vcc_lo
	v_mul_f32_e32 v20, v1, v20
	v_add_co_u32 v4, vcc_lo, s28, v4
	v_mul_f32_e32 v24, v1, v24
	v_mul_f32_e32 v22, v1, v28
	;; [unrolled: 1-line block ×6, first 2 shown]
	v_add_co_ci_u32_e32 v5, vcc_lo, s29, v5, vcc_lo
	s_clause 0x3
	global_store_b128 v[8:9], v[14:17], off
	global_store_b128 v[32:33], v[18:21], off
	;; [unrolled: 1-line block ×4, first 2 shown]
	s_and_saveexec_b32 s2, s0
	s_cbranch_execz .LBB0_32
; %bb.31:
	v_ashrrev_i32_e32 v1, 31, v0
	v_mov_b32_e32 v9, v2
	s_delay_alu instid0(VALU_DEP_2) | instskip(NEXT) | instid1(VALU_DEP_1)
	v_lshlrev_b64 v[4:5], 3, v[0:1]
	v_add_co_u32 v4, vcc_lo, s30, v4
	s_delay_alu instid0(VALU_DEP_2)
	v_add_co_ci_u32_e32 v5, vcc_lo, s31, v5, vcc_lo
	global_store_b64 v[4:5], v[9:10], off
.LBB0_32:
	s_or_b32 exec_lo, exec_lo, s2
	v_cmp_ne_u32_e32 vcc_lo, 1, v13
	v_mov_b32_e32 v1, 1.0
	s_cbranch_vccnz .LBB0_34
; %bb.33:
	v_div_scale_f32 v1, null, v7, v7, 1.0
	s_delay_alu instid0(VALU_DEP_1) | instskip(SKIP_2) | instid1(VALU_DEP_1)
	v_rcp_f32_e32 v2, v1
	s_waitcnt_depctr 0xfff
	v_fma_f32 v4, -v1, v2, 1.0
	v_fmac_f32_e32 v2, v4, v2
	v_div_scale_f32 v4, vcc_lo, 1.0, v7, 1.0
	s_delay_alu instid0(VALU_DEP_1) | instskip(NEXT) | instid1(VALU_DEP_1)
	v_mul_f32_e32 v5, v4, v2
	v_fma_f32 v6, -v1, v5, v4
	s_delay_alu instid0(VALU_DEP_1) | instskip(NEXT) | instid1(VALU_DEP_1)
	v_fmac_f32_e32 v5, v6, v2
	v_fma_f32 v1, -v1, v5, v4
	s_delay_alu instid0(VALU_DEP_1) | instskip(NEXT) | instid1(VALU_DEP_1)
	v_div_fmas_f32 v1, v1, v2, v5
	v_div_fixup_f32 v1, v1, v7, 1.0
.LBB0_34:
	v_dual_mov_b32 v9, 0 :: v_dual_add_nc_u32 v0, s1, v0
	v_lshrrev_b32_e32 v2, 16, v55
	v_cvt_f32_f16_e32 v4, v55
	v_cvt_f32_f16_e32 v7, v54
	s_delay_alu instid0(VALU_DEP_4)
	v_lshl_add_u32 v8, v0, 9, v31
	v_lshrrev_b32_e32 v10, 16, v53
	v_cvt_f32_f16_e32 v2, v2
	v_mul_f32_e32 v6, v1, v4
	v_mul_f32_e32 v4, v1, v7
	v_lshlrev_b64 v[12:13], 2, v[8:9]
	v_lshrrev_b32_e32 v5, 16, v54
	v_mul_f32_e32 v7, v1, v2
	v_lshrrev_b32_e32 v2, 16, v51
	v_cvt_f32_f16_e32 v10, v10
	v_cvt_f32_f16_e32 v18, v51
	v_add_co_u32 v24, vcc_lo, s28, v12
	v_add_nc_u32_e32 v12, 0x80, v8
	v_add_co_ci_u32_e32 v25, vcc_lo, s29, v13, vcc_lo
	v_mov_b32_e32 v13, v9
	v_cvt_f32_f16_e32 v2, v2
	v_cvt_f32_f16_e32 v5, v5
	v_mul_f32_e32 v15, v1, v10
	v_lshrrev_b32_e32 v10, 16, v50
	v_lshlrev_b64 v[16:17], 2, v[12:13]
	v_mul_f32_e32 v13, v1, v2
	v_lshrrev_b32_e32 v2, 16, v52
	v_mul_f32_e32 v5, v1, v5
	v_cvt_f32_f16_e32 v10, v10
	v_cvt_f32_f16_e32 v14, v53
	v_add_co_u32 v26, vcc_lo, s28, v16
	v_add_nc_u32_e32 v16, 0x100, v8
	v_add_co_ci_u32_e32 v27, vcc_lo, s29, v17, vcc_lo
	v_mov_b32_e32 v17, v9
	v_cvt_f32_f16_e32 v2, v2
	v_add_nc_u32_e32 v8, 0x180, v8
	v_mul_f32_e32 v12, v1, v18
	v_cvt_f32_f16_e32 v18, v52
	v_lshlrev_b64 v[20:21], 2, v[16:17]
	v_mul_f32_e32 v19, v1, v2
	v_mul_f32_e32 v17, v1, v10
	v_lshrrev_b32_e32 v2, 16, v48
	v_lshrrev_b32_e32 v10, 16, v49
	v_lshlrev_b64 v[8:9], 2, v[8:9]
	v_cvt_f32_f16_e32 v22, v50
	v_add_co_u32 v28, vcc_lo, s28, v20
	v_cvt_f32_f16_e32 v2, v2
	v_cvt_f32_f16_e32 v20, v48
	;; [unrolled: 1-line block ×4, first 2 shown]
	v_add_co_ci_u32_e32 v29, vcc_lo, s29, v21, vcc_lo
	v_mul_f32_e32 v14, v1, v14
	v_mul_f32_e32 v18, v1, v18
	v_mul_f32_e32 v16, v1, v22
	v_mul_f32_e32 v23, v1, v2
	v_mul_f32_e32 v22, v1, v20
	v_mul_f32_e32 v21, v1, v10
	v_mul_f32_e32 v20, v1, v30
	v_add_co_u32 v1, vcc_lo, s28, v8
	v_add_co_ci_u32_e32 v2, vcc_lo, s29, v9, vcc_lo
	s_clause 0x3
	global_store_b128 v[24:25], v[4:7], off
	global_store_b128 v[26:27], v[12:15], off
	;; [unrolled: 1-line block ×4, first 2 shown]
	s_and_b32 exec_lo, exec_lo, s0
	s_cbranch_execz .LBB0_18
; %bb.35:
	v_ashrrev_i32_e32 v1, 31, v0
	v_mov_b32_e32 v10, v3
	s_delay_alu instid0(VALU_DEP_2) | instskip(NEXT) | instid1(VALU_DEP_1)
	v_lshlrev_b64 v[0:1], 3, v[0:1]
	v_add_co_u32 v0, vcc_lo, s30, v0
	s_delay_alu instid0(VALU_DEP_2)
	v_add_co_ci_u32_e32 v1, vcc_lo, s31, v1, vcc_lo
	global_store_b64 v[0:1], v[10:11], off
	s_nop 0
	s_sendmsg sendmsg(MSG_DEALLOC_VGPRS)
	s_endpgm
	.section	.rodata,"a",@progbits
	.p2align	6, 0x0
	.amdhsa_kernel _ZL15flash_attn_tileILi512ELi512ELi4ELi8ELb0EEvPKcS1_S1_S1_S1_PKiPfP15HIP_vector_typeIfLj2EEffffjfiS5_IjLj3EEiiiiiiiiiiiliiliiiiil
		.amdhsa_group_segment_fixed_size 59392
		.amdhsa_private_segment_fixed_size 0
		.amdhsa_kernarg_size 464
		.amdhsa_user_sgpr_count 13
		.amdhsa_user_sgpr_dispatch_ptr 0
		.amdhsa_user_sgpr_queue_ptr 0
		.amdhsa_user_sgpr_kernarg_segment_ptr 1
		.amdhsa_user_sgpr_dispatch_id 0
		.amdhsa_user_sgpr_private_segment_size 0
		.amdhsa_wavefront_size32 1
		.amdhsa_uses_dynamic_stack 0
		.amdhsa_enable_private_segment 0
		.amdhsa_system_sgpr_workgroup_id_x 1
		.amdhsa_system_sgpr_workgroup_id_y 1
		.amdhsa_system_sgpr_workgroup_id_z 1
		.amdhsa_system_sgpr_workgroup_info 0
		.amdhsa_system_vgpr_workitem_id 1
		.amdhsa_next_free_vgpr 210
		.amdhsa_next_free_sgpr 40
		.amdhsa_reserve_vcc 1
		.amdhsa_float_round_mode_32 0
		.amdhsa_float_round_mode_16_64 0
		.amdhsa_float_denorm_mode_32 3
		.amdhsa_float_denorm_mode_16_64 3
		.amdhsa_dx10_clamp 1
		.amdhsa_ieee_mode 1
		.amdhsa_fp16_overflow 0
		.amdhsa_workgroup_processor_mode 1
		.amdhsa_memory_ordered 1
		.amdhsa_forward_progress 0
		.amdhsa_shared_vgpr_count 0
		.amdhsa_exception_fp_ieee_invalid_op 0
		.amdhsa_exception_fp_denorm_src 0
		.amdhsa_exception_fp_ieee_div_zero 0
		.amdhsa_exception_fp_ieee_overflow 0
		.amdhsa_exception_fp_ieee_underflow 0
		.amdhsa_exception_fp_ieee_inexact 0
		.amdhsa_exception_int_div_zero 0
	.end_amdhsa_kernel
	.section	.text._ZL15flash_attn_tileILi512ELi512ELi4ELi8ELb0EEvPKcS1_S1_S1_S1_PKiPfP15HIP_vector_typeIfLj2EEffffjfiS5_IjLj3EEiiiiiiiiiiiliiliiiiil,"axG",@progbits,_ZL15flash_attn_tileILi512ELi512ELi4ELi8ELb0EEvPKcS1_S1_S1_S1_PKiPfP15HIP_vector_typeIfLj2EEffffjfiS5_IjLj3EEiiiiiiiiiiiliiliiiiil,comdat
.Lfunc_end0:
	.size	_ZL15flash_attn_tileILi512ELi512ELi4ELi8ELb0EEvPKcS1_S1_S1_S1_PKiPfP15HIP_vector_typeIfLj2EEffffjfiS5_IjLj3EEiiiiiiiiiiiliiliiiiil, .Lfunc_end0-_ZL15flash_attn_tileILi512ELi512ELi4ELi8ELb0EEvPKcS1_S1_S1_S1_PKiPfP15HIP_vector_typeIfLj2EEffffjfiS5_IjLj3EEiiiiiiiiiiiliiliiiiil
                                        ; -- End function
	.section	.AMDGPU.csdata,"",@progbits
; Kernel info:
; codeLenInByte = 91928
; NumSgprs: 42
; NumVgprs: 210
; ScratchSize: 0
; MemoryBound: 0
; FloatMode: 240
; IeeeMode: 1
; LDSByteSize: 59392 bytes/workgroup (compile time only)
; SGPRBlocks: 5
; VGPRBlocks: 26
; NumSGPRsForWavesPerEU: 42
; NumVGPRsForWavesPerEU: 210
; Occupancy: 4
; WaveLimiterHint : 1
; COMPUTE_PGM_RSRC2:SCRATCH_EN: 0
; COMPUTE_PGM_RSRC2:USER_SGPR: 13
; COMPUTE_PGM_RSRC2:TRAP_HANDLER: 0
; COMPUTE_PGM_RSRC2:TGID_X_EN: 1
; COMPUTE_PGM_RSRC2:TGID_Y_EN: 1
; COMPUTE_PGM_RSRC2:TGID_Z_EN: 1
; COMPUTE_PGM_RSRC2:TIDIG_COMP_CNT: 1
	.section	.text._ZL25flash_attn_mask_to_KV_maxILi4EEvPK7__half2Piiii,"axG",@progbits,_ZL25flash_attn_mask_to_KV_maxILi4EEvPK7__half2Piiii,comdat
	.globl	_ZL25flash_attn_mask_to_KV_maxILi4EEvPK7__half2Piiii ; -- Begin function _ZL25flash_attn_mask_to_KV_maxILi4EEvPK7__half2Piiii
	.p2align	8
	.type	_ZL25flash_attn_mask_to_KV_maxILi4EEvPK7__half2Piiii,@function
_ZL25flash_attn_mask_to_KV_maxILi4EEvPK7__half2Piiii: ; @_ZL25flash_attn_mask_to_KV_maxILi4EEvPK7__half2Piiii
; %bb.0:
	s_load_b128 s[4:7], s[0:1], 0x0
	s_mov_b32 s2, exec_lo
	v_cmpx_gt_u32_e32 32, v0
	s_cbranch_execz .LBB1_2
; %bb.1:
	v_dual_mov_b32 v2, 1 :: v_dual_lshlrev_b32 v1, 2, v0
	ds_store_b32 v1, v2
.LBB1_2:
	s_or_b32 exec_lo, exec_lo, s2
	s_clause 0x1
	s_load_b128 s[8:11], s[0:1], 0x10
	s_load_b32 s1, s[0:1], 0x20
	v_dual_mov_b32 v2, 0 :: v_dual_and_b32 v1, 31, v0
	v_lshrrev_b32_e32 v5, 3, v0
	s_waitcnt lgkmcnt(0)
	s_barrier
	s_delay_alu instid0(VALU_DEP_2) | instskip(SKIP_4) | instid1(SALU_CYCLE_1)
	v_lshlrev_b32_e32 v6, 2, v1
	buffer_gl0_inv
	s_mul_i32 s0, s14, s9
	s_mul_i32 s2, s15, s10
	s_lshl_b32 s0, s0, 2
	s_add_i32 s2, s2, s0
	v_cmp_eq_u32_e64 s0, 0, v1
	s_ashr_i32 s3, s2, 31
	s_delay_alu instid0(SALU_CYCLE_1) | instskip(NEXT) | instid1(SALU_CYCLE_1)
	s_lshl_b64 s[10:11], s[2:3], 2
	s_add_u32 s3, s4, s10
	s_addc_u32 s4, s5, s11
	s_lshl_b32 s5, s8, 8
	s_branch .LBB1_4
.LBB1_3:                                ;   in Loop: Header=BB1_4 Depth=1
	s_or_b32 exec_lo, exec_lo, s10
	s_waitcnt lgkmcnt(0)
	s_barrier
	buffer_gl0_inv
	ds_load_b32 v1, v6
	s_waitcnt lgkmcnt(0)
	s_barrier
	buffer_gl0_inv
	;;#ASMSTART
	;;#ASMEND
	v_cmp_ne_u32_e32 vcc_lo, 0, v1
	s_cmp_lg_u32 vcc_lo, exec_lo
	s_cselect_b32 s8, -1, 0
	s_delay_alu instid0(SALU_CYCLE_1)
	s_and_b32 vcc_lo, exec_lo, s8
	s_cbranch_vccnz .LBB1_20
.LBB1_4:                                ; =>This Inner Loop Header: Depth=1
	s_mov_b32 s2, s5
	s_addk_i32 s5, 0xff00
	s_delay_alu instid0(SALU_CYCLE_1)
	s_cmp_lt_i32 s5, 0
	s_cbranch_scc1 .LBB1_19
; %bb.5:                                ;   in Loop: Header=BB1_4 Depth=1
	s_lshr_b32 s8, s5, 1
	s_mov_b32 s10, 0
	v_add_nc_u32_e32 v1, s8, v0
	s_delay_alu instid0(VALU_DEP_1) | instskip(NEXT) | instid1(VALU_DEP_1)
	v_lshlrev_b64 v[3:4], 2, v[1:2]
	v_add_co_u32 v3, vcc_lo, s3, v3
	s_delay_alu instid0(VALU_DEP_2) | instskip(SKIP_4) | instid1(VALU_DEP_2)
	v_add_co_ci_u32_e32 v4, vcc_lo, s4, v4, vcc_lo
	global_load_b32 v3, v[3:4], off
	s_waitcnt vmcnt(0)
	v_lshrrev_b32_e32 v4, 16, v3
	v_cmp_class_f16_e64 s8, v3, 0x204
	v_and_b32_e32 v4, 0x7fff, v4
	s_delay_alu instid0(VALU_DEP_1) | instskip(NEXT) | instid1(VALU_DEP_3)
	v_cmp_eq_f16_e32 vcc_lo, 0x7c00, v4
	s_and_b32 s11, s8, vcc_lo
	s_delay_alu instid0(SALU_CYCLE_1)
	s_and_saveexec_b32 s8, s11
	s_cbranch_execz .LBB1_17
; %bb.6:                                ;   in Loop: Header=BB1_4 Depth=1
	v_add_nc_u32_e32 v3, s9, v1
	s_mov_b32 s11, 0
	s_delay_alu instid0(VALU_DEP_1) | instskip(NEXT) | instid1(VALU_DEP_1)
	v_ashrrev_i32_e32 v4, 31, v3
	v_lshlrev_b64 v[7:8], 2, v[3:4]
	s_delay_alu instid0(VALU_DEP_1) | instskip(NEXT) | instid1(VALU_DEP_2)
	v_add_co_u32 v7, vcc_lo, s3, v7
	v_add_co_ci_u32_e32 v8, vcc_lo, s4, v8, vcc_lo
	global_load_b32 v1, v[7:8], off
	s_waitcnt vmcnt(0)
	v_cmp_class_f16_e64 s12, v1, 0x204
	s_delay_alu instid0(VALU_DEP_1)
	s_and_saveexec_b32 s10, s12
	s_cbranch_execz .LBB1_16
; %bb.7:                                ;   in Loop: Header=BB1_4 Depth=1
	v_lshrrev_b32_e32 v1, 16, v1
	s_mov_b32 s12, 0
	s_delay_alu instid0(VALU_DEP_1) | instskip(NEXT) | instid1(VALU_DEP_1)
	v_cmp_class_f16_e64 s13, v1, 0x204
	s_and_saveexec_b32 s11, s13
	s_cbranch_execz .LBB1_15
; %bb.8:                                ;   in Loop: Header=BB1_4 Depth=1
	v_add_nc_u32_e32 v3, s9, v3
	s_mov_b32 s13, 0
	s_delay_alu instid0(VALU_DEP_1) | instskip(NEXT) | instid1(VALU_DEP_1)
	v_ashrrev_i32_e32 v4, 31, v3
	v_lshlrev_b64 v[7:8], 2, v[3:4]
	s_delay_alu instid0(VALU_DEP_1) | instskip(NEXT) | instid1(VALU_DEP_2)
	v_add_co_u32 v7, vcc_lo, s3, v7
	v_add_co_ci_u32_e32 v8, vcc_lo, s4, v8, vcc_lo
	global_load_b32 v1, v[7:8], off
	s_waitcnt vmcnt(0)
	v_cmp_class_f16_e64 s16, v1, 0x204
	s_delay_alu instid0(VALU_DEP_1)
	s_and_saveexec_b32 s12, s16
	s_cbranch_execz .LBB1_14
; %bb.9:                                ;   in Loop: Header=BB1_4 Depth=1
	v_lshrrev_b32_e32 v1, 16, v1
	s_mov_b32 s16, 0
	s_delay_alu instid0(VALU_DEP_1) | instskip(NEXT) | instid1(VALU_DEP_1)
	v_cmp_class_f16_e64 s17, v1, 0x204
	s_and_saveexec_b32 s13, s17
	s_cbranch_execz .LBB1_13
; %bb.10:                               ;   in Loop: Header=BB1_4 Depth=1
	v_add_nc_u32_e32 v3, s9, v3
	s_delay_alu instid0(VALU_DEP_1) | instskip(NEXT) | instid1(VALU_DEP_1)
	v_ashrrev_i32_e32 v4, 31, v3
	v_lshlrev_b64 v[3:4], 2, v[3:4]
	s_delay_alu instid0(VALU_DEP_1) | instskip(NEXT) | instid1(VALU_DEP_2)
	v_add_co_u32 v3, vcc_lo, s3, v3
	v_add_co_ci_u32_e32 v4, vcc_lo, s4, v4, vcc_lo
	global_load_b32 v1, v[3:4], off
	s_waitcnt vmcnt(0)
	v_cmp_class_f16_e64 s18, v1, 0x204
	s_delay_alu instid0(VALU_DEP_1)
	s_and_saveexec_b32 s17, s18
; %bb.11:                               ;   in Loop: Header=BB1_4 Depth=1
	v_lshrrev_b32_e32 v1, 16, v1
	s_delay_alu instid0(VALU_DEP_1) | instskip(NEXT) | instid1(VALU_DEP_1)
	v_cmp_class_f16_e64 s16, v1, 0x204
	s_and_b32 s16, s16, exec_lo
; %bb.12:                               ;   in Loop: Header=BB1_4 Depth=1
	s_or_b32 exec_lo, exec_lo, s17
	s_delay_alu instid0(SALU_CYCLE_1)
	s_and_b32 s16, s16, exec_lo
.LBB1_13:                               ;   in Loop: Header=BB1_4 Depth=1
	s_or_b32 exec_lo, exec_lo, s13
	s_delay_alu instid0(SALU_CYCLE_1)
	s_and_b32 s13, s16, exec_lo
.LBB1_14:                               ;   in Loop: Header=BB1_4 Depth=1
	s_or_b32 exec_lo, exec_lo, s12
	s_delay_alu instid0(SALU_CYCLE_1)
	s_and_b32 s12, s13, exec_lo
.LBB1_15:                               ;   in Loop: Header=BB1_4 Depth=1
	s_or_b32 exec_lo, exec_lo, s11
	s_delay_alu instid0(SALU_CYCLE_1)
	s_and_b32 s11, s12, exec_lo
.LBB1_16:                               ;   in Loop: Header=BB1_4 Depth=1
	s_or_b32 exec_lo, exec_lo, s10
	s_delay_alu instid0(SALU_CYCLE_1)
	s_and_b32 s10, s11, exec_lo
.LBB1_17:                               ;   in Loop: Header=BB1_4 Depth=1
	s_or_b32 exec_lo, exec_lo, s8
	v_cndmask_b32_e64 v1, 0, 1, s10
	;;#ASMSTART
	;;#ASMEND
	s_delay_alu instid0(VALU_DEP_1)
	v_cmp_ne_u32_e32 vcc_lo, 0, v1
	s_mov_b32 s8, exec_lo
	s_and_saveexec_b32 s10, s0
	s_cbranch_execz .LBB1_3
; %bb.18:                               ;   in Loop: Header=BB1_4 Depth=1
	s_cmp_eq_u32 vcc_lo, s8
	s_cselect_b32 s8, -1, 0
	s_delay_alu instid0(SALU_CYCLE_1)
	v_cndmask_b32_e64 v1, 0, 1, s8
	ds_store_b32 v5, v1
	s_branch .LBB1_3
.LBB1_19:                               ;   in Loop: Header=BB1_4 Depth=1
                                        ; implicit-def: $sgpr5
	s_cbranch_execz .LBB1_4
.LBB1_20:
	s_mov_b32 s0, exec_lo
	v_cmpx_eq_u32_e32 0, v0
	s_cbranch_execz .LBB1_22
; %bb.21:
	s_mul_i32 s0, s1, s15
	v_dual_mov_b32 v0, 0 :: v_dual_mov_b32 v1, s2
	s_add_i32 s0, s0, s14
	s_delay_alu instid0(SALU_CYCLE_1) | instskip(NEXT) | instid1(SALU_CYCLE_1)
	s_ashr_i32 s1, s0, 31
	s_lshl_b64 s[0:1], s[0:1], 2
	s_delay_alu instid0(SALU_CYCLE_1)
	s_add_u32 s0, s6, s0
	s_addc_u32 s1, s7, s1
	global_store_b32 v0, v1, s[0:1]
.LBB1_22:
	s_nop 0
	s_sendmsg sendmsg(MSG_DEALLOC_VGPRS)
	s_endpgm
	.section	.rodata,"a",@progbits
	.p2align	6, 0x0
	.amdhsa_kernel _ZL25flash_attn_mask_to_KV_maxILi4EEvPK7__half2Piiii
		.amdhsa_group_segment_fixed_size 128
		.amdhsa_private_segment_fixed_size 0
		.amdhsa_kernarg_size 288
		.amdhsa_user_sgpr_count 14
		.amdhsa_user_sgpr_dispatch_ptr 0
		.amdhsa_user_sgpr_queue_ptr 0
		.amdhsa_user_sgpr_kernarg_segment_ptr 1
		.amdhsa_user_sgpr_dispatch_id 0
		.amdhsa_user_sgpr_private_segment_size 0
		.amdhsa_wavefront_size32 1
		.amdhsa_uses_dynamic_stack 0
		.amdhsa_enable_private_segment 0
		.amdhsa_system_sgpr_workgroup_id_x 1
		.amdhsa_system_sgpr_workgroup_id_y 1
		.amdhsa_system_sgpr_workgroup_id_z 0
		.amdhsa_system_sgpr_workgroup_info 0
		.amdhsa_system_vgpr_workitem_id 0
		.amdhsa_next_free_vgpr 9
		.amdhsa_next_free_sgpr 19
		.amdhsa_reserve_vcc 1
		.amdhsa_float_round_mode_32 0
		.amdhsa_float_round_mode_16_64 0
		.amdhsa_float_denorm_mode_32 3
		.amdhsa_float_denorm_mode_16_64 3
		.amdhsa_dx10_clamp 1
		.amdhsa_ieee_mode 1
		.amdhsa_fp16_overflow 0
		.amdhsa_workgroup_processor_mode 1
		.amdhsa_memory_ordered 1
		.amdhsa_forward_progress 0
		.amdhsa_shared_vgpr_count 0
		.amdhsa_exception_fp_ieee_invalid_op 0
		.amdhsa_exception_fp_denorm_src 0
		.amdhsa_exception_fp_ieee_div_zero 0
		.amdhsa_exception_fp_ieee_overflow 0
		.amdhsa_exception_fp_ieee_underflow 0
		.amdhsa_exception_fp_ieee_inexact 0
		.amdhsa_exception_int_div_zero 0
	.end_amdhsa_kernel
	.section	.text._ZL25flash_attn_mask_to_KV_maxILi4EEvPK7__half2Piiii,"axG",@progbits,_ZL25flash_attn_mask_to_KV_maxILi4EEvPK7__half2Piiii,comdat
.Lfunc_end1:
	.size	_ZL25flash_attn_mask_to_KV_maxILi4EEvPK7__half2Piiii, .Lfunc_end1-_ZL25flash_attn_mask_to_KV_maxILi4EEvPK7__half2Piiii
                                        ; -- End function
	.section	.AMDGPU.csdata,"",@progbits
; Kernel info:
; codeLenInByte = 848
; NumSgprs: 21
; NumVgprs: 9
; ScratchSize: 0
; MemoryBound: 0
; FloatMode: 240
; IeeeMode: 1
; LDSByteSize: 128 bytes/workgroup (compile time only)
; SGPRBlocks: 2
; VGPRBlocks: 1
; NumSGPRsForWavesPerEU: 21
; NumVGPRsForWavesPerEU: 9
; Occupancy: 16
; WaveLimiterHint : 0
; COMPUTE_PGM_RSRC2:SCRATCH_EN: 0
; COMPUTE_PGM_RSRC2:USER_SGPR: 14
; COMPUTE_PGM_RSRC2:TRAP_HANDLER: 0
; COMPUTE_PGM_RSRC2:TGID_X_EN: 1
; COMPUTE_PGM_RSRC2:TGID_Y_EN: 1
; COMPUTE_PGM_RSRC2:TGID_Z_EN: 0
; COMPUTE_PGM_RSRC2:TIDIG_COMP_CNT: 0
	.section	.text._ZL33flash_attn_stream_k_fixup_uniformILi512ELi4ELi8EEvPfPK15HIP_vector_typeIfLj2EEiiiiiiS1_IjLj3EES5_S5_,"axG",@progbits,_ZL33flash_attn_stream_k_fixup_uniformILi512ELi4ELi8EEvPfPK15HIP_vector_typeIfLj2EEiiiiiiS1_IjLj3EES5_S5_,comdat
	.globl	_ZL33flash_attn_stream_k_fixup_uniformILi512ELi4ELi8EEvPfPK15HIP_vector_typeIfLj2EEiiiiiiS1_IjLj3EES5_S5_ ; -- Begin function _ZL33flash_attn_stream_k_fixup_uniformILi512ELi4ELi8EEvPfPK15HIP_vector_typeIfLj2EEiiiiiiS1_IjLj3EES5_S5_
	.p2align	8
	.type	_ZL33flash_attn_stream_k_fixup_uniformILi512ELi4ELi8EEvPfPK15HIP_vector_typeIfLj2EEiiiiiiS1_IjLj3EES5_S5_,@function
_ZL33flash_attn_stream_k_fixup_uniformILi512ELi4ELi8EEvPfPK15HIP_vector_typeIfLj2EEiiiiiiS1_IjLj3EES5_S5_: ; @_ZL33flash_attn_stream_k_fixup_uniformILi512ELi4ELi8EEvPfPK15HIP_vector_typeIfLj2EEiiiiiiS1_IjLj3EES5_S5_
; %bb.0:
	s_clause 0x1
	s_load_b256 s[4:11], s[0:1], 0x1c
	s_load_b128 s[16:19], s[0:1], 0x3c
	s_waitcnt lgkmcnt(0)
	s_mul_hi_u32 s2, s7, s13
	s_delay_alu instid0(SALU_CYCLE_1) | instskip(NEXT) | instid1(SALU_CYCLE_1)
	s_add_i32 s2, s13, s2
	s_lshr_b32 s2, s2, s8
	s_delay_alu instid0(SALU_CYCLE_1) | instskip(SKIP_2) | instid1(SALU_CYCLE_1)
	s_mul_i32 s3, s2, s9
	s_load_b64 s[8:9], s[0:1], 0x10
	s_sub_i32 s7, s13, s3
	s_mul_hi_u32 s3, s7, s10
	s_delay_alu instid0(SALU_CYCLE_1) | instskip(NEXT) | instid1(SALU_CYCLE_1)
	s_add_i32 s3, s7, s3
	s_lshr_b32 s3, s3, s11
	s_delay_alu instid0(SALU_CYCLE_1) | instskip(NEXT) | instid1(SALU_CYCLE_1)
	s_mul_i32 s10, s3, s16
	s_sub_i32 s7, s7, s10
	s_delay_alu instid0(SALU_CYCLE_1) | instskip(NEXT) | instid1(SALU_CYCLE_1)
	s_mul_hi_u32 s10, s7, s17
	s_add_i32 s10, s7, s10
	s_delay_alu instid0(SALU_CYCLE_1) | instskip(NEXT) | instid1(SALU_CYCLE_1)
	s_lshr_b32 s10, s10, s18
	s_mul_i32 s11, s10, s19
	s_lshl_b32 s10, s10, 3
	s_sub_i32 s7, s7, s11
	s_delay_alu instid0(SALU_CYCLE_1) | instskip(NEXT) | instid1(SALU_CYCLE_1)
	s_lshl_b32 s11, s7, 2
	s_add_i32 s11, s11, s14
	s_waitcnt lgkmcnt(0)
	s_cmp_lt_i32 s11, s8
	s_cselect_b32 s11, -1, 0
	s_add_i32 s12, s10, s15
	s_delay_alu instid0(SALU_CYCLE_1) | instskip(SKIP_1) | instid1(SALU_CYCLE_1)
	s_cmp_lt_i32 s12, s5
	s_cselect_b32 s12, -1, 0
	s_and_b32 s11, s11, s12
	s_delay_alu instid0(SALU_CYCLE_1)
	s_and_not1_b32 vcc_lo, exec_lo, s11
	s_cbranch_vccnz .LBB2_6
; %bb.1:
	s_mul_i32 s2, s2, s8
	s_mul_i32 s5, s3, s5
	s_add_i32 s2, s2, s14
	s_mul_i32 s7, s9, s7
	s_mul_i32 s2, s2, s9
	s_lshl_b32 s7, s7, 11
	s_add_i32 s8, s2, s15
	s_load_b128 s[0:3], s[0:1], 0x0
	s_add_i32 s5, s8, s5
	s_lshl_b32 s9, s14, 3
	s_add_i32 s5, s5, s10
	s_delay_alu instid0(SALU_CYCLE_1) | instskip(NEXT) | instid1(SALU_CYCLE_1)
	s_lshl_b32 s5, s5, 9
	s_add_i32 s7, s7, s5
	s_mul_i32 s5, s13, s6
	v_or_b32_e32 v1, s7, v0
	s_add_i32 s10, s5, s6
	s_delay_alu instid0(VALU_DEP_1) | instskip(NEXT) | instid1(VALU_DEP_1)
	v_ashrrev_i32_e32 v2, 31, v1
	v_lshlrev_b64 v[1:2], 2, v[1:2]
	s_waitcnt lgkmcnt(0)
	s_delay_alu instid0(VALU_DEP_1) | instskip(NEXT) | instid1(VALU_DEP_2)
	v_add_co_u32 v1, vcc_lo, s0, v1
	v_add_co_ci_u32_e32 v2, vcc_lo, s1, v2, vcc_lo
	s_add_i32 s0, s9, s15
	s_lshl_b32 s1, s10, 5
	s_delay_alu instid0(SALU_CYCLE_1) | instskip(SKIP_2) | instid1(SALU_CYCLE_1)
	s_add_i32 s0, s0, s1
	global_load_b32 v5, v[1:2], off
	s_sub_i32 s0, s0, 32
	s_ashr_i32 s1, s0, 31
	s_delay_alu instid0(SALU_CYCLE_1) | instskip(NEXT) | instid1(SALU_CYCLE_1)
	s_lshl_b64 s[0:1], s[0:1], 3
	s_add_u32 s0, s2, s0
	s_addc_u32 s1, s3, s1
	s_add_i32 s7, s10, -2
	s_load_b32 s11, s[0:1], 0x4
	s_cmp_lt_i32 s7, s5
	s_cbranch_scc1 .LBB2_4
; %bb.2:
	s_lshl_b32 s16, s4, 7
	s_load_b32 s12, s[0:1], 0x0
	s_ashr_i32 s17, s16, 31
	s_delay_alu instid0(SALU_CYCLE_1) | instskip(NEXT) | instid1(SALU_CYCLE_1)
	s_lshl_b64 s[0:1], s[16:17], 2
	s_add_u32 s7, s2, s0
	s_addc_u32 s8, s3, s1
	s_add_i32 s13, s13, 1
	s_lshl_b32 s0, s14, 12
	s_lshl_b32 s1, s15, 9
	s_mul_i32 s6, s6, s13
	s_add_i32 s0, s1, s0
	s_lshl_b32 s1, s6, 14
	s_delay_alu instid0(SALU_CYCLE_1)
	s_add_i32 s0, s0, s1
	s_lshl_b32 s1, s6, 5
	v_or_b32_e32 v0, s0, v0
	s_lshl_b32 s0, s4, 5
	s_add_i32 s1, s15, s1
	s_waitcnt lgkmcnt(0)
	v_mov_b32_e32 v6, s11
	s_add_i32 s0, s1, s0
	v_dual_mov_b32 v0, s12 :: v_dual_add_nc_u32 v3, 0xffff8000, v0
	s_add_i32 s0, s0, s9
	s_add_i32 s4, s10, -1
	s_sub_i32 s0, s0, 64
.LBB2_3:                                ; =>This Inner Loop Header: Depth=1
	s_delay_alu instid0(VALU_DEP_1) | instskip(SKIP_1) | instid1(SALU_CYCLE_1)
	v_ashrrev_i32_e32 v4, 31, v3
	s_ashr_i32 s1, s0, 31
	s_lshl_b64 s[10:11], s[0:1], 3
	s_delay_alu instid0(SALU_CYCLE_1) | instskip(NEXT) | instid1(VALU_DEP_1)
	s_add_u32 s10, s2, s10
	v_lshlrev_b64 v[7:8], 2, v[3:4]
	s_addc_u32 s11, s3, s11
	s_add_i32 s4, s4, -1
	s_sub_i32 s0, s0, 32
	s_cmp_le_i32 s4, s5
	s_load_b64 s[10:11], s[10:11], 0x0
	v_add_co_u32 v7, vcc_lo, s7, v7
	v_add_co_ci_u32_e32 v8, vcc_lo, s8, v8, vcc_lo
	global_load_b32 v4, v[7:8], off
	v_max_f32_e32 v7, v0, v0
	s_waitcnt lgkmcnt(0)
	v_max_f32_e64 v8, s10, s10
	s_delay_alu instid0(VALU_DEP_1) | instskip(NEXT) | instid1(VALU_DEP_1)
	v_max_f32_e32 v7, v7, v8
	v_sub_f32_e32 v8, s10, v7
	s_delay_alu instid0(VALU_DEP_1) | instskip(NEXT) | instid1(VALU_DEP_1)
	v_dual_sub_f32 v0, v0, v7 :: v_dual_mul_f32 v9, 0x3fb8aa3b, v8
	v_fma_f32 v10, 0x3fb8aa3b, v8, -v9
	v_rndne_f32_e32 v11, v9
	s_delay_alu instid0(VALU_DEP_3) | instskip(NEXT) | instid1(VALU_DEP_2)
	v_mul_f32_e32 v12, 0x3fb8aa3b, v0
	v_dual_fmac_f32 v10, 0x32a5705f, v8 :: v_dual_sub_f32 v9, v9, v11
	v_cvt_i32_f32_e32 v11, v11
	s_delay_alu instid0(VALU_DEP_3) | instskip(SKIP_1) | instid1(VALU_DEP_4)
	v_fma_f32 v13, 0x3fb8aa3b, v0, -v12
	v_rndne_f32_e32 v14, v12
	v_add_f32_e32 v9, v9, v10
	v_cmp_ngt_f32_e32 vcc_lo, 0xc2ce8ed0, v8
	s_delay_alu instid0(VALU_DEP_3) | instskip(NEXT) | instid1(VALU_DEP_3)
	v_sub_f32_e32 v10, v12, v14
	v_exp_f32_e32 v9, v9
	s_waitcnt_depctr 0xfff
	v_ldexp_f32 v9, v9, v11
	v_cvt_i32_f32_e32 v11, v14
	s_delay_alu instid0(VALU_DEP_2) | instskip(SKIP_1) | instid1(VALU_DEP_2)
	v_cndmask_b32_e32 v9, 0, v9, vcc_lo
	v_cmp_nlt_f32_e32 vcc_lo, 0x42b17218, v8
	v_cndmask_b32_e32 v9, 0x7f800000, v9, vcc_lo
	v_cmp_ngt_f32_e32 vcc_lo, 0xc2ce8ed0, v0
	v_fmac_f32_e32 v13, 0x32a5705f, v0
	s_delay_alu instid0(VALU_DEP_1) | instskip(NEXT) | instid1(VALU_DEP_1)
	v_add_f32_e32 v10, v10, v13
	v_exp_f32_e32 v10, v10
	s_waitcnt_depctr 0xfff
	v_ldexp_f32 v10, v10, v11
	s_delay_alu instid0(VALU_DEP_1)
	v_dual_mov_b32 v11, v6 :: v_dual_cndmask_b32 v10, 0, v10
	v_cmp_le_f32_e32 vcc_lo, 0xc1a00000, v8
	s_waitcnt vmcnt(1)
	v_dual_cndmask_b32 v8, 0, v9 :: v_dual_mov_b32 v9, v5
	v_cmp_nlt_f32_e32 vcc_lo, 0x42b17218, v0
	v_cndmask_b32_e32 v5, 0x7f800000, v10, vcc_lo
	s_delay_alu instid0(VALU_DEP_3) | instskip(SKIP_2) | instid1(VALU_DEP_3)
	v_mul_f32_e32 v10, s11, v8
	v_cmp_le_f32_e32 vcc_lo, 0xc1a00000, v0
	v_mov_b32_e32 v0, v7
	v_mov_b32_e32 v6, v10
	s_waitcnt vmcnt(0)
	v_dual_cndmask_b32 v12, 0, v5 :: v_dual_mul_f32 v5, v4, v8
	s_delay_alu instid0(VALU_DEP_1) | instskip(NEXT) | instid1(VALU_DEP_2)
	v_dual_fmac_f32 v6, v11, v12 :: v_dual_add_nc_u32 v3, 0xffffc000, v3
	v_fmac_f32_e32 v5, v9, v12
	s_cbranch_scc0 .LBB2_3
	s_branch .LBB2_5
.LBB2_4:
	s_waitcnt lgkmcnt(0)
	v_mov_b32_e32 v6, s11
.LBB2_5:
	s_waitcnt vmcnt(0)
	s_delay_alu instid0(VALU_DEP_1) | instskip(NEXT) | instid1(VALU_DEP_1)
	v_div_scale_f32 v0, null, v6, v6, v5
	v_rcp_f32_e32 v3, v0
	s_waitcnt_depctr 0xfff
	v_fma_f32 v4, -v0, v3, 1.0
	s_delay_alu instid0(VALU_DEP_1) | instskip(SKIP_1) | instid1(VALU_DEP_1)
	v_fmac_f32_e32 v3, v4, v3
	v_div_scale_f32 v4, vcc_lo, v5, v6, v5
	v_mul_f32_e32 v7, v4, v3
	s_delay_alu instid0(VALU_DEP_1) | instskip(NEXT) | instid1(VALU_DEP_1)
	v_fma_f32 v8, -v0, v7, v4
	v_fmac_f32_e32 v7, v8, v3
	s_delay_alu instid0(VALU_DEP_1) | instskip(NEXT) | instid1(VALU_DEP_1)
	v_fma_f32 v0, -v0, v7, v4
	v_div_fmas_f32 v0, v0, v3, v7
	s_delay_alu instid0(VALU_DEP_1)
	v_div_fixup_f32 v0, v0, v6, v5
	global_store_b32 v[1:2], v0, off
.LBB2_6:
	s_nop 0
	s_sendmsg sendmsg(MSG_DEALLOC_VGPRS)
	s_endpgm
	.section	.rodata,"a",@progbits
	.p2align	6, 0x0
	.amdhsa_kernel _ZL33flash_attn_stream_k_fixup_uniformILi512ELi4ELi8EEvPfPK15HIP_vector_typeIfLj2EEiiiiiiS1_IjLj3EES5_S5_
		.amdhsa_group_segment_fixed_size 0
		.amdhsa_private_segment_fixed_size 0
		.amdhsa_kernarg_size 76
		.amdhsa_user_sgpr_count 13
		.amdhsa_user_sgpr_dispatch_ptr 0
		.amdhsa_user_sgpr_queue_ptr 0
		.amdhsa_user_sgpr_kernarg_segment_ptr 1
		.amdhsa_user_sgpr_dispatch_id 0
		.amdhsa_user_sgpr_private_segment_size 0
		.amdhsa_wavefront_size32 1
		.amdhsa_uses_dynamic_stack 0
		.amdhsa_enable_private_segment 0
		.amdhsa_system_sgpr_workgroup_id_x 1
		.amdhsa_system_sgpr_workgroup_id_y 1
		.amdhsa_system_sgpr_workgroup_id_z 1
		.amdhsa_system_sgpr_workgroup_info 0
		.amdhsa_system_vgpr_workitem_id 0
		.amdhsa_next_free_vgpr 15
		.amdhsa_next_free_sgpr 20
		.amdhsa_reserve_vcc 1
		.amdhsa_float_round_mode_32 0
		.amdhsa_float_round_mode_16_64 0
		.amdhsa_float_denorm_mode_32 3
		.amdhsa_float_denorm_mode_16_64 3
		.amdhsa_dx10_clamp 1
		.amdhsa_ieee_mode 1
		.amdhsa_fp16_overflow 0
		.amdhsa_workgroup_processor_mode 1
		.amdhsa_memory_ordered 1
		.amdhsa_forward_progress 0
		.amdhsa_shared_vgpr_count 0
		.amdhsa_exception_fp_ieee_invalid_op 0
		.amdhsa_exception_fp_denorm_src 0
		.amdhsa_exception_fp_ieee_div_zero 0
		.amdhsa_exception_fp_ieee_overflow 0
		.amdhsa_exception_fp_ieee_underflow 0
		.amdhsa_exception_fp_ieee_inexact 0
		.amdhsa_exception_int_div_zero 0
	.end_amdhsa_kernel
	.section	.text._ZL33flash_attn_stream_k_fixup_uniformILi512ELi4ELi8EEvPfPK15HIP_vector_typeIfLj2EEiiiiiiS1_IjLj3EES5_S5_,"axG",@progbits,_ZL33flash_attn_stream_k_fixup_uniformILi512ELi4ELi8EEvPfPK15HIP_vector_typeIfLj2EEiiiiiiS1_IjLj3EES5_S5_,comdat
.Lfunc_end2:
	.size	_ZL33flash_attn_stream_k_fixup_uniformILi512ELi4ELi8EEvPfPK15HIP_vector_typeIfLj2EEiiiiiiS1_IjLj3EES5_S5_, .Lfunc_end2-_ZL33flash_attn_stream_k_fixup_uniformILi512ELi4ELi8EEvPfPK15HIP_vector_typeIfLj2EEiiiiiiS1_IjLj3EES5_S5_
                                        ; -- End function
	.section	.AMDGPU.csdata,"",@progbits
; Kernel info:
; codeLenInByte = 996
; NumSgprs: 22
; NumVgprs: 15
; ScratchSize: 0
; MemoryBound: 0
; FloatMode: 240
; IeeeMode: 1
; LDSByteSize: 0 bytes/workgroup (compile time only)
; SGPRBlocks: 2
; VGPRBlocks: 1
; NumSGPRsForWavesPerEU: 22
; NumVGPRsForWavesPerEU: 15
; Occupancy: 16
; WaveLimiterHint : 0
; COMPUTE_PGM_RSRC2:SCRATCH_EN: 0
; COMPUTE_PGM_RSRC2:USER_SGPR: 13
; COMPUTE_PGM_RSRC2:TRAP_HANDLER: 0
; COMPUTE_PGM_RSRC2:TGID_X_EN: 1
; COMPUTE_PGM_RSRC2:TGID_Y_EN: 1
; COMPUTE_PGM_RSRC2:TGID_Z_EN: 1
; COMPUTE_PGM_RSRC2:TIDIG_COMP_CNT: 0
	.section	.text._ZL33flash_attn_stream_k_fixup_generalILi512ELi4ELi8EEvPfPK15HIP_vector_typeIfLj2EEiiiiS1_IjLj3EES5_S5_S5_,"axG",@progbits,_ZL33flash_attn_stream_k_fixup_generalILi512ELi4ELi8EEvPfPK15HIP_vector_typeIfLj2EEiiiiS1_IjLj3EES5_S5_S5_,comdat
	.globl	_ZL33flash_attn_stream_k_fixup_generalILi512ELi4ELi8EEvPfPK15HIP_vector_typeIfLj2EEiiiiS1_IjLj3EES5_S5_S5_ ; -- Begin function _ZL33flash_attn_stream_k_fixup_generalILi512ELi4ELi8EEvPfPK15HIP_vector_typeIfLj2EEiiiiS1_IjLj3EES5_S5_S5_
	.p2align	8
	.type	_ZL33flash_attn_stream_k_fixup_generalILi512ELi4ELi8EEvPfPK15HIP_vector_typeIfLj2EEiiiiS1_IjLj3EES5_S5_S5_,@function
_ZL33flash_attn_stream_k_fixup_generalILi512ELi4ELi8EEvPfPK15HIP_vector_typeIfLj2EEiiiiS1_IjLj3EES5_S5_S5_: ; @_ZL33flash_attn_stream_k_fixup_generalILi512ELi4ELi8EEvPfPK15HIP_vector_typeIfLj2EEiiiiS1_IjLj3EES5_S5_S5_
; %bb.0:
	s_clause 0x1
	s_load_b128 s[4:7], s[0:1], 0x10
	s_load_b32 s20, s[0:1], 0x50
	s_mov_b32 s2, 0
	s_waitcnt lgkmcnt(0)
	s_mul_hi_i32 s3, s7, s13
	s_mul_i32 s12, s7, s13
	s_cmp_lg_u64 s[2:3], 0
	s_cbranch_scc0 .LBB3_21
; %bb.1:
	v_cvt_f32_ubyte0_e32 v1, 0
	v_cvt_f32_u32_e32 v2, s20
	s_sub_u32 s10, 0, s20
	s_subb_u32 s11, 0, 0
	s_delay_alu instid0(VALU_DEP_1) | instskip(NEXT) | instid1(VALU_DEP_1)
	v_fmamk_f32 v1, v1, 0x4f800000, v2
	v_rcp_f32_e32 v1, v1
	s_waitcnt_depctr 0xfff
	v_mul_f32_e32 v1, 0x5f7ffffc, v1
	s_delay_alu instid0(VALU_DEP_1) | instskip(NEXT) | instid1(VALU_DEP_1)
	v_mul_f32_e32 v2, 0x2f800000, v1
	v_trunc_f32_e32 v2, v2
	s_delay_alu instid0(VALU_DEP_1) | instskip(SKIP_1) | instid1(VALU_DEP_2)
	v_fmamk_f32 v1, v2, 0xcf800000, v1
	v_cvt_u32_f32_e32 v2, v2
	v_cvt_u32_f32_e32 v1, v1
	s_delay_alu instid0(VALU_DEP_2) | instskip(NEXT) | instid1(VALU_DEP_2)
	v_readfirstlane_b32 s8, v2
	v_readfirstlane_b32 s9, v1
	s_delay_alu instid0(VALU_DEP_2) | instskip(NEXT) | instid1(VALU_DEP_1)
	s_mul_i32 s16, s10, s8
	s_mul_hi_u32 s18, s10, s9
	s_mul_i32 s17, s11, s9
	s_add_i32 s16, s18, s16
	s_mul_i32 s19, s10, s9
	s_add_i32 s16, s16, s17
	s_mul_hi_u32 s18, s9, s19
	s_mul_hi_u32 s21, s8, s19
	s_mul_i32 s17, s8, s19
	s_mul_hi_u32 s19, s9, s16
	s_mul_i32 s9, s9, s16
	s_mul_hi_u32 s22, s8, s16
	s_add_u32 s9, s18, s9
	s_addc_u32 s18, 0, s19
	s_add_u32 s9, s9, s17
	s_mul_i32 s16, s8, s16
	s_addc_u32 s9, s18, s21
	s_addc_u32 s17, s22, 0
	s_add_u32 s9, s9, s16
	s_addc_u32 s16, 0, s17
	v_add_co_u32 v1, s9, v1, s9
	s_delay_alu instid0(VALU_DEP_1) | instskip(SKIP_1) | instid1(VALU_DEP_1)
	s_cmp_lg_u32 s9, 0
	s_addc_u32 s8, s8, s16
	v_readfirstlane_b32 s9, v1
	s_mul_i32 s16, s10, s8
	s_delay_alu instid0(VALU_DEP_1)
	s_mul_hi_u32 s17, s10, s9
	s_mul_i32 s11, s11, s9
	s_add_i32 s16, s17, s16
	s_mul_i32 s10, s10, s9
	s_add_i32 s16, s16, s11
	s_mul_hi_u32 s17, s8, s10
	s_mul_i32 s18, s8, s10
	s_mul_hi_u32 s10, s9, s10
	s_mul_hi_u32 s19, s9, s16
	s_mul_i32 s9, s9, s16
	s_mul_hi_u32 s11, s8, s16
	s_add_u32 s9, s10, s9
	s_addc_u32 s10, 0, s19
	s_add_u32 s9, s9, s18
	s_mul_i32 s16, s8, s16
	s_addc_u32 s9, s10, s17
	s_addc_u32 s10, s11, 0
	s_add_u32 s9, s9, s16
	s_addc_u32 s10, 0, s10
	v_add_co_u32 v1, s9, v1, s9
	s_delay_alu instid0(VALU_DEP_1) | instskip(SKIP_2) | instid1(SALU_CYCLE_1)
	s_cmp_lg_u32 s9, 0
	s_addc_u32 s16, s8, s10
	s_ashr_i32 s8, s3, 31
	s_add_u32 s10, s12, s8
	s_addc_u32 s11, s3, s8
	v_readfirstlane_b32 s3, v1
	s_mov_b32 s9, s8
	s_delay_alu instid0(SALU_CYCLE_1) | instskip(NEXT) | instid1(SALU_CYCLE_1)
	s_xor_b64 s[10:11], s[10:11], s[8:9]
	s_mul_i32 s18, s10, s16
	s_delay_alu instid0(VALU_DEP_1)
	s_mul_hi_u32 s19, s10, s3
	s_mul_hi_u32 s17, s10, s16
	;; [unrolled: 1-line block ×3, first 2 shown]
	s_mul_i32 s3, s11, s3
	s_add_u32 s18, s19, s18
	s_addc_u32 s17, 0, s17
	s_mul_hi_u32 s21, s11, s16
	s_add_u32 s3, s18, s3
	s_mul_i32 s16, s11, s16
	s_addc_u32 s3, s17, s22
	s_addc_u32 s17, s21, 0
	s_add_u32 s3, s3, s16
	s_addc_u32 s16, 0, s17
	s_mul_i32 s18, s20, s3
	s_add_u32 s17, s3, 1
	v_sub_co_u32 v1, s10, s10, s18
	s_mul_hi_u32 s18, s20, s3
	s_addc_u32 s19, s16, 0
	s_mul_i32 s21, s20, s16
	s_delay_alu instid0(VALU_DEP_1)
	v_sub_co_u32 v2, s22, v1, s20
	s_add_u32 s23, s3, 2
	s_addc_u32 s24, s16, 0
	s_add_i32 s18, s18, s21
	s_cmp_lg_u32 s10, 0
	v_readfirstlane_b32 s10, v2
	s_subb_u32 s11, s11, s18
	s_cmp_lg_u32 s22, 0
	s_subb_u32 s18, s11, 0
	s_delay_alu instid0(VALU_DEP_1) | instskip(SKIP_4) | instid1(SALU_CYCLE_1)
	s_cmp_ge_u32 s10, s20
	s_cselect_b32 s10, -1, 0
	s_cmp_eq_u32 s18, 0
	v_readfirstlane_b32 s18, v1
	s_cselect_b32 s10, s10, -1
	s_cmp_lg_u32 s10, 0
	s_cselect_b32 s10, s23, s17
	s_cselect_b32 s17, s24, s19
	s_cmp_ge_u32 s18, s20
	s_cselect_b32 s18, -1, 0
	s_cmp_eq_u32 s11, 0
	s_cselect_b32 s11, s18, -1
	s_delay_alu instid0(SALU_CYCLE_1) | instskip(SKIP_2) | instid1(SALU_CYCLE_1)
	s_cmp_lg_u32 s11, 0
	s_cselect_b32 s11, s17, s16
	s_cselect_b32 s10, s10, s3
	s_xor_b64 s[10:11], s[10:11], s[8:9]
	s_delay_alu instid0(SALU_CYCLE_1)
	s_sub_u32 s16, s10, s8
	s_load_b128 s[8:11], s[0:1], 0x44
	s_and_not1_b32 vcc_lo, exec_lo, s2
	s_cbranch_vccnz .LBB3_3
.LBB3_2:
	v_cvt_f32_u32_e32 v1, s20
	s_sub_i32 s3, 0, s20
	s_delay_alu instid0(VALU_DEP_1) | instskip(SKIP_2) | instid1(VALU_DEP_1)
	v_rcp_iflag_f32_e32 v1, v1
	s_waitcnt_depctr 0xfff
	v_mul_f32_e32 v1, 0x4f7ffffe, v1
	v_cvt_u32_f32_e32 v1, v1
	s_delay_alu instid0(VALU_DEP_1) | instskip(NEXT) | instid1(VALU_DEP_1)
	v_readfirstlane_b32 s2, v1
	s_mul_i32 s3, s3, s2
	s_delay_alu instid0(SALU_CYCLE_1) | instskip(NEXT) | instid1(SALU_CYCLE_1)
	s_mul_hi_u32 s3, s2, s3
	s_add_i32 s2, s2, s3
	s_delay_alu instid0(SALU_CYCLE_1) | instskip(NEXT) | instid1(SALU_CYCLE_1)
	s_mul_hi_u32 s2, s12, s2
	s_mul_i32 s3, s2, s20
	s_waitcnt lgkmcnt(0)
	s_add_i32 s11, s2, 1
	s_sub_i32 s3, s12, s3
	s_delay_alu instid0(SALU_CYCLE_1)
	s_sub_i32 s12, s3, s20
	s_cmp_ge_u32 s3, s20
	s_cselect_b32 s2, s11, s2
	s_cselect_b32 s3, s12, s3
	s_add_i32 s11, s2, 1
	s_cmp_ge_u32 s3, s20
	s_cselect_b32 s16, s11, s2
.LBB3_3:
	s_waitcnt lgkmcnt(0)
	s_add_i32 s11, s13, 1
	s_mov_b32 s2, 0
	s_mul_hi_i32 s3, s7, s11
	s_mul_i32 s11, s7, s11
	s_cmp_lg_u64 s[2:3], 0
	s_cbranch_scc0 .LBB3_22
; %bb.4:
	v_cvt_f32_ubyte0_e32 v1, 0
	v_cvt_f32_u32_e32 v2, s20
	s_sub_u32 s18, 0, s20
	s_subb_u32 s19, 0, 0
	s_delay_alu instid0(VALU_DEP_1) | instskip(NEXT) | instid1(VALU_DEP_1)
	v_fmamk_f32 v1, v1, 0x4f800000, v2
	v_rcp_f32_e32 v1, v1
	s_waitcnt_depctr 0xfff
	v_mul_f32_e32 v1, 0x5f7ffffc, v1
	s_delay_alu instid0(VALU_DEP_1) | instskip(NEXT) | instid1(VALU_DEP_1)
	v_mul_f32_e32 v2, 0x2f800000, v1
	v_trunc_f32_e32 v2, v2
	s_delay_alu instid0(VALU_DEP_1) | instskip(SKIP_1) | instid1(VALU_DEP_2)
	v_fmamk_f32 v1, v2, 0xcf800000, v1
	v_cvt_u32_f32_e32 v2, v2
	v_cvt_u32_f32_e32 v1, v1
	s_delay_alu instid0(VALU_DEP_2) | instskip(NEXT) | instid1(VALU_DEP_2)
	v_readfirstlane_b32 s12, v2
	v_readfirstlane_b32 s17, v1
	s_delay_alu instid0(VALU_DEP_2) | instskip(NEXT) | instid1(VALU_DEP_1)
	s_mul_i32 s21, s18, s12
	s_mul_hi_u32 s23, s18, s17
	s_mul_i32 s22, s19, s17
	s_add_i32 s21, s23, s21
	s_mul_i32 s24, s18, s17
	s_add_i32 s21, s21, s22
	s_mul_hi_u32 s23, s17, s24
	s_mul_hi_u32 s25, s12, s24
	s_mul_i32 s22, s12, s24
	s_mul_hi_u32 s24, s17, s21
	s_mul_i32 s17, s17, s21
	s_mul_hi_u32 s26, s12, s21
	s_add_u32 s17, s23, s17
	s_addc_u32 s23, 0, s24
	s_add_u32 s17, s17, s22
	s_mul_i32 s21, s12, s21
	s_addc_u32 s17, s23, s25
	s_addc_u32 s22, s26, 0
	s_add_u32 s17, s17, s21
	s_addc_u32 s21, 0, s22
	v_add_co_u32 v1, s17, v1, s17
	s_delay_alu instid0(VALU_DEP_1) | instskip(SKIP_1) | instid1(VALU_DEP_1)
	s_cmp_lg_u32 s17, 0
	s_addc_u32 s12, s12, s21
	v_readfirstlane_b32 s17, v1
	s_mul_i32 s21, s18, s12
	s_delay_alu instid0(VALU_DEP_1)
	s_mul_hi_u32 s22, s18, s17
	s_mul_i32 s19, s19, s17
	s_add_i32 s21, s22, s21
	s_mul_i32 s18, s18, s17
	s_add_i32 s21, s21, s19
	s_mul_hi_u32 s22, s12, s18
	s_mul_i32 s23, s12, s18
	s_mul_hi_u32 s18, s17, s18
	s_mul_hi_u32 s24, s17, s21
	s_mul_i32 s17, s17, s21
	s_mul_hi_u32 s19, s12, s21
	s_add_u32 s17, s18, s17
	s_addc_u32 s18, 0, s24
	s_add_u32 s17, s17, s23
	s_mul_i32 s21, s12, s21
	s_addc_u32 s17, s18, s22
	s_addc_u32 s18, s19, 0
	s_add_u32 s17, s17, s21
	s_addc_u32 s18, 0, s18
	v_add_co_u32 v1, s17, v1, s17
	s_delay_alu instid0(VALU_DEP_1) | instskip(SKIP_2) | instid1(SALU_CYCLE_1)
	s_cmp_lg_u32 s17, 0
	s_addc_u32 s12, s12, s18
	s_ashr_i32 s18, s3, 31
	s_add_u32 s22, s11, s18
	s_addc_u32 s23, s3, s18
	v_readfirstlane_b32 s3, v1
	s_mov_b32 s19, s18
	s_delay_alu instid0(SALU_CYCLE_1) | instskip(NEXT) | instid1(SALU_CYCLE_1)
	s_xor_b64 s[22:23], s[22:23], s[18:19]
	s_mul_i32 s21, s22, s12
	s_delay_alu instid0(VALU_DEP_1)
	s_mul_hi_u32 s24, s22, s3
	s_mul_hi_u32 s17, s22, s12
	s_mul_hi_u32 s26, s23, s3
	s_mul_i32 s3, s23, s3
	s_add_u32 s21, s24, s21
	s_addc_u32 s17, 0, s17
	s_mul_hi_u32 s25, s23, s12
	s_add_u32 s3, s21, s3
	s_mul_i32 s12, s23, s12
	s_addc_u32 s3, s17, s26
	s_addc_u32 s17, s25, 0
	s_add_u32 s3, s3, s12
	s_addc_u32 s12, 0, s17
	s_mul_i32 s21, s20, s3
	s_add_u32 s17, s3, 1
	v_sub_co_u32 v1, s21, s22, s21
	s_mul_hi_u32 s22, s20, s3
	s_addc_u32 s24, s12, 0
	s_mul_i32 s25, s20, s12
	s_delay_alu instid0(VALU_DEP_1)
	v_sub_co_u32 v2, s26, v1, s20
	s_add_u32 s27, s3, 2
	s_addc_u32 s28, s12, 0
	s_add_i32 s22, s22, s25
	s_cmp_lg_u32 s21, 0
	v_readfirstlane_b32 s21, v2
	s_subb_u32 s22, s23, s22
	s_cmp_lg_u32 s26, 0
	s_subb_u32 s23, s22, 0
	s_delay_alu instid0(VALU_DEP_1) | instskip(SKIP_4) | instid1(SALU_CYCLE_1)
	s_cmp_ge_u32 s21, s20
	s_cselect_b32 s21, -1, 0
	s_cmp_eq_u32 s23, 0
	v_readfirstlane_b32 s23, v1
	s_cselect_b32 s21, s21, -1
	s_cmp_lg_u32 s21, 0
	s_cselect_b32 s17, s27, s17
	s_cselect_b32 s21, s28, s24
	s_cmp_ge_u32 s23, s20
	s_cselect_b32 s23, -1, 0
	s_cmp_eq_u32 s22, 0
	s_cselect_b32 s22, s23, -1
	s_delay_alu instid0(SALU_CYCLE_1) | instskip(SKIP_2) | instid1(SALU_CYCLE_1)
	s_cmp_lg_u32 s22, 0
	s_cselect_b32 s23, s21, s12
	s_cselect_b32 s22, s17, s3
	s_xor_b64 s[22:23], s[22:23], s[18:19]
	s_delay_alu instid0(SALU_CYCLE_1)
	s_sub_u32 s18, s22, s18
	s_and_not1_b32 vcc_lo, exec_lo, s2
	s_cbranch_vccnz .LBB3_6
.LBB3_5:
	v_cvt_f32_u32_e32 v1, s20
	s_sub_i32 s3, 0, s20
	s_delay_alu instid0(VALU_DEP_1) | instskip(SKIP_2) | instid1(VALU_DEP_1)
	v_rcp_iflag_f32_e32 v1, v1
	s_waitcnt_depctr 0xfff
	v_mul_f32_e32 v1, 0x4f7ffffe, v1
	v_cvt_u32_f32_e32 v1, v1
	s_delay_alu instid0(VALU_DEP_1) | instskip(NEXT) | instid1(VALU_DEP_1)
	v_readfirstlane_b32 s2, v1
	s_mul_i32 s3, s3, s2
	s_delay_alu instid0(SALU_CYCLE_1) | instskip(NEXT) | instid1(SALU_CYCLE_1)
	s_mul_hi_u32 s3, s2, s3
	s_add_i32 s2, s2, s3
	s_delay_alu instid0(SALU_CYCLE_1) | instskip(NEXT) | instid1(SALU_CYCLE_1)
	s_mul_hi_u32 s2, s11, s2
	s_mul_i32 s3, s2, s20
	s_delay_alu instid0(SALU_CYCLE_1)
	s_sub_i32 s3, s11, s3
	s_add_i32 s11, s2, 1
	s_sub_i32 s12, s3, s20
	s_cmp_ge_u32 s3, s20
	s_cselect_b32 s2, s11, s2
	s_cselect_b32 s3, s12, s3
	s_add_i32 s11, s2, 1
	s_cmp_ge_u32 s3, s20
	s_cselect_b32 s18, s11, s2
.LBB3_6:
	s_delay_alu instid0(SALU_CYCLE_1) | instskip(SKIP_3) | instid1(SALU_CYCLE_1)
	s_cmp_eq_u32 s16, s18
	s_mul_hi_u32 s2, s16, s8
	s_cselect_b32 s3, -1, 0
	s_add_i32 s2, s2, s16
	s_lshr_b32 s11, s2, s9
	s_delay_alu instid0(SALU_CYCLE_1) | instskip(NEXT) | instid1(SALU_CYCLE_1)
	s_mul_i32 s2, s11, s10
	s_cmp_eq_u32 s2, s16
	s_mul_hi_u32 s2, s18, s8
	s_cselect_b32 s12, -1, 0
	s_add_i32 s2, s2, s18
	s_delay_alu instid0(SALU_CYCLE_1) | instskip(NEXT) | instid1(SALU_CYCLE_1)
	s_lshr_b32 s2, s2, s9
	s_cmp_eq_u32 s11, s2
	s_mul_i32 s2, s2, s10
	s_cselect_b32 s17, -1, 0
	s_cmp_lg_u32 s2, s18
	s_cselect_b32 s2, -1, 0
	s_or_b32 s3, s3, s12
	s_and_b32 s2, s17, s2
	s_delay_alu instid0(SALU_CYCLE_1) | instskip(NEXT) | instid1(SALU_CYCLE_1)
	s_or_b32 s2, s3, s2
	s_and_b32 vcc_lo, exec_lo, s2
	s_cbranch_vccnz .LBB3_24
; %bb.7:
	s_load_b256 s[24:31], s[0:1], 0x20
	s_waitcnt lgkmcnt(0)
	s_mul_hi_u32 s2, s16, s24
	s_delay_alu instid0(SALU_CYCLE_1) | instskip(NEXT) | instid1(SALU_CYCLE_1)
	s_add_i32 s2, s2, s16
	s_lshr_b32 s17, s2, s25
	s_load_b32 s2, s[0:1], 0x40
	s_mul_i32 s3, s17, s26
	s_delay_alu instid0(SALU_CYCLE_1) | instskip(NEXT) | instid1(SALU_CYCLE_1)
	s_sub_i32 s3, s16, s3
	s_mul_hi_u32 s12, s3, s27
	s_delay_alu instid0(SALU_CYCLE_1) | instskip(NEXT) | instid1(SALU_CYCLE_1)
	s_add_i32 s12, s3, s12
	s_lshr_b32 s21, s12, s28
	s_delay_alu instid0(SALU_CYCLE_1) | instskip(NEXT) | instid1(SALU_CYCLE_1)
	s_mul_i32 s12, s21, s29
	s_sub_i32 s3, s3, s12
	s_delay_alu instid0(SALU_CYCLE_1) | instskip(NEXT) | instid1(SALU_CYCLE_1)
	s_mul_hi_u32 s12, s3, s30
	s_add_i32 s12, s3, s12
	s_delay_alu instid0(SALU_CYCLE_1)
	s_lshr_b32 s12, s12, s31
	s_waitcnt lgkmcnt(0)
	s_mul_i32 s2, s12, s2
	s_lshl_b32 s23, s12, 3
	s_sub_i32 s2, s3, s2
	s_mov_b32 s12, 0
	s_mul_hi_u32 s3, s2, s8
	s_delay_alu instid0(SALU_CYCLE_1) | instskip(NEXT) | instid1(SALU_CYCLE_1)
	s_add_i32 s2, s2, s3
	s_lshr_b32 s22, s2, s9
	s_delay_alu instid0(SALU_CYCLE_1) | instskip(NEXT) | instid1(SALU_CYCLE_1)
	s_lshl_b32 s2, s22, 2
	s_add_i32 s2, s2, s14
	s_delay_alu instid0(SALU_CYCLE_1) | instskip(SKIP_2) | instid1(SALU_CYCLE_1)
	s_cmp_lt_i32 s2, s4
	s_cselect_b32 s2, -1, 0
	s_add_i32 s3, s23, s15
	s_cmp_lt_i32 s3, s6
	s_cselect_b32 s3, -1, 0
	s_delay_alu instid0(SALU_CYCLE_1) | instskip(NEXT) | instid1(SALU_CYCLE_1)
	s_and_b32 s2, s2, s3
	s_and_not1_b32 vcc_lo, exec_lo, s2
	s_cbranch_vccnz .LBB3_24
; %bb.8:
	s_load_b128 s[0:3], s[0:1], 0x0
	s_lshl_b32 s18, s20, 7
	s_mov_b32 s19, s12
	s_lshl_b32 s24, s14, 3
	s_lshl_b64 s[18:19], s[18:19], 2
	s_mul_i32 s4, s17, s4
	s_add_i32 s17, s24, s15
	s_mul_i32 s21, s21, s6
	v_cvt_f32_ubyte0_e32 v4, 0
	v_cvt_f32_u32_e32 v5, s20
	s_waitcnt lgkmcnt(0)
	s_add_u32 s18, s2, s18
	s_addc_u32 s19, s3, s19
	s_add_i32 s4, s4, s14
	s_delay_alu instid0(SALU_CYCLE_1) | instskip(SKIP_4) | instid1(SALU_CYCLE_1)
	s_mul_i32 s4, s4, s5
	s_mul_i32 s5, s5, s22
	s_add_i32 s4, s4, s15
	s_lshl_b32 s5, s5, 11
	s_add_i32 s4, s4, s21
	s_add_i32 s4, s4, s23
	s_delay_alu instid0(SALU_CYCLE_1) | instskip(NEXT) | instid1(SALU_CYCLE_1)
	s_lshl_b32 s4, s4, 9
	s_add_i32 s5, s5, s4
	s_delay_alu instid0(SALU_CYCLE_1) | instskip(SKIP_1) | instid1(VALU_DEP_2)
	v_or_b32_e32 v1, s5, v0
	v_lshl_or_b32 v0, s17, 9, v0
	v_ashrrev_i32_e32 v2, 31, v1
	s_delay_alu instid0(VALU_DEP_1) | instskip(NEXT) | instid1(VALU_DEP_1)
	v_lshlrev_b64 v[1:2], 2, v[1:2]
	v_add_co_u32 v1, vcc_lo, s0, v1
	s_delay_alu instid0(VALU_DEP_2) | instskip(SKIP_1) | instid1(SALU_CYCLE_1)
	v_add_co_ci_u32_e32 v2, vcc_lo, s1, v2, vcc_lo
	s_lshl_b32 s0, s13, 5
	s_add_i32 s0, s17, s0
	global_load_b32 v3, v[1:2], off
	s_ashr_i32 s1, s0, 31
	s_delay_alu instid0(SALU_CYCLE_1) | instskip(NEXT) | instid1(SALU_CYCLE_1)
	s_lshl_b64 s[0:1], s[0:1], 3
	s_add_u32 s0, s2, s0
	s_addc_u32 s1, s3, s1
	s_add_i32 s14, s13, -1
	s_load_b64 s[0:1], s[0:1], 0x0
	v_fmac_f32_e32 v5, 0x4f800000, v4
	s_sub_i32 s6, 0, s20
	s_waitcnt lgkmcnt(0)
	v_mov_b32_e32 v8, s0
	s_delay_alu instid0(VALU_DEP_2) | instskip(SKIP_2) | instid1(VALU_DEP_2)
	v_rcp_f32_e32 v4, v5
	v_cvt_f32_u32_e32 v5, s20
	v_mov_b32_e32 v7, s1
	v_rcp_iflag_f32_e32 v5, v5
	s_waitcnt_depctr 0xfff
	v_mul_f32_e32 v4, 0x5f7ffffc, v4
	s_delay_alu instid0(VALU_DEP_1) | instskip(SKIP_1) | instid1(VALU_DEP_2)
	v_mul_f32_e32 v6, 0x2f800000, v4
	v_mul_f32_e32 v9, 0x4f7ffffe, v5
	v_trunc_f32_e32 v6, v6
	s_delay_alu instid0(VALU_DEP_1) | instskip(SKIP_1) | instid1(VALU_DEP_4)
	v_fmac_f32_e32 v4, 0xcf800000, v6
	v_cvt_u32_f32_e32 v5, v6
	v_cvt_u32_f32_e32 v6, v9
	s_delay_alu instid0(VALU_DEP_3)
	v_cvt_u32_f32_e32 v4, v4
.LBB3_9:                                ; =>This Inner Loop Header: Depth=1
	s_mul_hi_i32 s13, s14, s7
	s_mul_i32 s4, s14, s7
	s_cmp_lg_u64 s[12:13], 0
	s_mov_b32 s5, -1
                                        ; implicit-def: $sgpr0_sgpr1
	s_cbranch_scc0 .LBB3_11
; %bb.10:                               ;   in Loop: Header=BB3_9 Depth=1
	v_readfirstlane_b32 s0, v4
	v_readfirstlane_b32 s1, v5
	s_sub_u32 s5, 0, s20
	s_subb_u32 s15, 0, 0
	s_delay_alu instid0(VALU_DEP_2) | instskip(NEXT) | instid1(VALU_DEP_1)
	s_mul_hi_u32 s21, s5, s0
	s_mul_i32 s22, s5, s1
	s_mul_i32 s23, s15, s0
	s_add_i32 s21, s21, s22
	s_mul_i32 s22, s5, s0
	s_add_i32 s21, s21, s23
	s_mul_hi_u32 s23, s0, s22
	s_mul_i32 s24, s0, s21
	s_mul_hi_u32 s0, s0, s21
	s_add_u32 s23, s23, s24
	s_mul_i32 s25, s1, s22
	s_addc_u32 s0, 0, s0
	s_mul_hi_u32 s22, s1, s22
	s_mul_hi_u32 s24, s1, s21
	s_add_u32 s23, s23, s25
	s_addc_u32 s0, s0, s22
	s_mul_i32 s21, s1, s21
	s_addc_u32 s22, s24, 0
	s_add_u32 s0, s0, s21
	s_addc_u32 s21, 0, s22
	v_add_co_u32 v9, s0, v4, s0
	s_delay_alu instid0(VALU_DEP_1) | instskip(SKIP_1) | instid1(VALU_DEP_1)
	s_cmp_lg_u32 s0, 0
	s_addc_u32 s1, s1, s21
	v_readfirstlane_b32 s0, v9
	s_mul_i32 s21, s5, s1
	s_delay_alu instid0(VALU_DEP_1)
	s_mul_hi_u32 s22, s5, s0
	s_mul_i32 s15, s15, s0
	s_add_i32 s21, s22, s21
	s_mul_i32 s5, s5, s0
	s_add_i32 s21, s21, s15
	s_mul_hi_u32 s15, s1, s5
	s_mul_i32 s23, s1, s5
	s_mul_i32 s24, s0, s21
	s_mul_hi_u32 s5, s0, s5
	s_mul_hi_u32 s0, s0, s21
	s_add_u32 s5, s5, s24
	s_addc_u32 s0, 0, s0
	s_mul_hi_u32 s22, s1, s21
	s_add_u32 s5, s5, s23
	s_addc_u32 s0, s0, s15
	s_mul_i32 s5, s1, s21
	s_addc_u32 s15, s22, 0
	s_add_u32 s0, s0, s5
	s_addc_u32 s5, 0, s15
	v_add_co_u32 v9, s0, v9, s0
	s_delay_alu instid0(VALU_DEP_1) | instskip(SKIP_2) | instid1(SALU_CYCLE_1)
	s_cmp_lg_u32 s0, 0
	s_addc_u32 s5, s1, s5
	s_ashr_i32 s0, s13, 31
	s_add_u32 s22, s4, s0
	s_addc_u32 s23, s13, s0
	v_readfirstlane_b32 s13, v9
	s_mov_b32 s1, s0
	s_delay_alu instid0(SALU_CYCLE_1) | instskip(NEXT) | instid1(SALU_CYCLE_1)
	s_xor_b64 s[22:23], s[22:23], s[0:1]
	s_mul_i32 s15, s22, s5
	s_delay_alu instid0(VALU_DEP_1)
	s_mul_hi_u32 s21, s22, s13
	s_mul_hi_u32 s24, s22, s5
	s_add_u32 s15, s21, s15
	s_mul_i32 s25, s23, s13
	s_addc_u32 s21, 0, s24
	s_mul_hi_u32 s13, s23, s13
	s_mul_hi_u32 s24, s23, s5
	s_add_u32 s15, s15, s25
	s_addc_u32 s13, s21, s13
	s_mul_i32 s5, s23, s5
	s_addc_u32 s15, s24, 0
	s_add_u32 s5, s13, s5
	s_addc_u32 s13, 0, s15
	s_mul_i32 s21, s20, s5
	s_add_u32 s15, s5, 1
	v_sub_co_u32 v9, s21, s22, s21
	s_addc_u32 s22, s13, 0
	s_mul_i32 s25, s20, s13
	s_mul_hi_u32 s27, s20, s5
	s_delay_alu instid0(VALU_DEP_1)
	v_sub_co_u32 v10, s26, v9, s20
	s_add_u32 s24, s5, 2
	s_addc_u32 s28, s13, 0
	s_add_i32 s27, s27, s25
	s_cmp_lg_u32 s21, 0
	v_readfirstlane_b32 s21, v10
	s_subb_u32 s23, s23, s27
	s_cmp_lg_u32 s26, 0
	s_subb_u32 s25, s23, 0
	s_delay_alu instid0(VALU_DEP_1) | instskip(SKIP_4) | instid1(SALU_CYCLE_1)
	s_cmp_ge_u32 s21, s20
	s_cselect_b32 s21, -1, 0
	s_cmp_eq_u32 s25, 0
	v_readfirstlane_b32 s25, v9
	s_cselect_b32 s21, s21, -1
	s_cmp_lg_u32 s21, 0
	s_cselect_b32 s15, s24, s15
	s_cselect_b32 s21, s28, s22
	s_cmp_ge_u32 s25, s20
	s_cselect_b32 s22, -1, 0
	s_cmp_eq_u32 s23, 0
	s_cselect_b32 s22, s22, -1
	s_delay_alu instid0(SALU_CYCLE_1) | instskip(SKIP_4) | instid1(SALU_CYCLE_1)
	s_cmp_lg_u32 s22, 0
	s_cselect_b32 s23, s21, s13
	s_cselect_b32 s22, s15, s5
	s_mov_b32 s5, 0
	s_xor_b64 s[22:23], s[22:23], s[0:1]
	s_sub_u32 s0, s22, s0
.LBB3_11:                               ;   in Loop: Header=BB3_9 Depth=1
	s_and_not1_b32 vcc_lo, exec_lo, s5
	s_cbranch_vccnz .LBB3_13
; %bb.12:                               ;   in Loop: Header=BB3_9 Depth=1
	v_readfirstlane_b32 s0, v6
	s_delay_alu instid0(VALU_DEP_1) | instskip(NEXT) | instid1(SALU_CYCLE_1)
	s_mul_i32 s1, s6, s0
	s_mul_hi_u32 s1, s0, s1
	s_delay_alu instid0(SALU_CYCLE_1) | instskip(NEXT) | instid1(SALU_CYCLE_1)
	s_add_i32 s0, s0, s1
	s_mul_hi_u32 s0, s4, s0
	s_delay_alu instid0(SALU_CYCLE_1) | instskip(NEXT) | instid1(SALU_CYCLE_1)
	s_mul_i32 s1, s0, s20
	s_sub_i32 s1, s4, s1
	s_add_i32 s4, s0, 1
	s_sub_i32 s5, s1, s20
	s_cmp_ge_u32 s1, s20
	s_cselect_b32 s0, s4, s0
	s_cselect_b32 s1, s5, s1
	s_add_i32 s4, s0, 1
	s_cmp_ge_u32 s1, s20
	s_cselect_b32 s0, s4, s0
.LBB3_13:                               ;   in Loop: Header=BB3_9 Depth=1
	s_delay_alu instid0(SALU_CYCLE_1)
	s_cmp_lg_u32 s16, s0
	s_cbranch_scc0 .LBB3_17
; %bb.14:                               ;   in Loop: Header=BB3_9 Depth=1
	s_add_i32 s1, s14, s20
	s_mov_b32 s5, s12
	s_lshl_b32 s1, s1, 5
	s_mov_b32 s15, s16
	s_add_i32 s4, s1, s17
	s_mul_hi_u32 s1, s0, s8
	s_lshl_b64 s[4:5], s[4:5], 3
	s_delay_alu instid0(SALU_CYCLE_1) | instskip(SKIP_2) | instid1(SALU_CYCLE_1)
	s_add_u32 s4, s2, s4
	s_addc_u32 s5, s3, s5
	s_add_i32 s1, s1, s0
	s_lshr_b32 s1, s1, s9
	s_delay_alu instid0(SALU_CYCLE_1) | instskip(NEXT) | instid1(SALU_CYCLE_1)
	s_mul_i32 s13, s1, s10
	s_cmp_eq_u32 s13, s0
	s_cselect_b32 s13, -1, 0
	s_cmp_lt_u32 s1, s11
	s_cselect_b32 s1, -1, 0
	s_delay_alu instid0(SALU_CYCLE_1)
	s_or_b32 s1, s1, s13
	s_mov_b32 s13, -1
	s_and_b32 vcc_lo, exec_lo, s1
	s_mov_b32 s1, s14
	s_cbranch_vccnz .LBB3_16
; %bb.15:                               ;   in Loop: Header=BB3_9 Depth=1
	s_add_i32 s1, s14, -1
	s_mov_b32 s13, 0
	s_mov_b32 s15, s0
.LBB3_16:                               ;   in Loop: Header=BB3_9 Depth=1
	v_lshl_add_u32 v9, s14, 14, v0
	s_load_b64 s[4:5], s[4:5], 0x0
	s_delay_alu instid0(VALU_DEP_1) | instskip(NEXT) | instid1(VALU_DEP_1)
	v_ashrrev_i32_e32 v10, 31, v9
	v_lshlrev_b64 v[9:10], 2, v[9:10]
	s_delay_alu instid0(VALU_DEP_1) | instskip(NEXT) | instid1(VALU_DEP_2)
	v_add_co_u32 v9, vcc_lo, s18, v9
	v_add_co_ci_u32_e32 v10, vcc_lo, s19, v10, vcc_lo
	s_waitcnt lgkmcnt(0)
	v_max_f32_e64 v11, s4, s4
	global_load_b32 v10, v[9:10], off
	v_max_f32_e32 v9, v8, v8
	s_delay_alu instid0(VALU_DEP_1) | instskip(NEXT) | instid1(VALU_DEP_1)
	v_max_f32_e32 v9, v9, v11
	v_sub_f32_e32 v12, v8, v9
	s_delay_alu instid0(VALU_DEP_1) | instskip(NEXT) | instid1(VALU_DEP_1)
	v_dual_mul_f32 v14, 0x3fb8aa3b, v12 :: v_dual_sub_f32 v11, s4, v9
	v_rndne_f32_e32 v18, v14
	s_delay_alu instid0(VALU_DEP_2) | instskip(SKIP_2) | instid1(VALU_DEP_4)
	v_mul_f32_e32 v13, 0x3fb8aa3b, v11
	v_fma_f32 v17, 0x3fb8aa3b, v12, -v14
	v_cmp_ngt_f32_e32 vcc_lo, 0xc2ce8ed0, v11
	v_sub_f32_e32 v14, v14, v18
	s_delay_alu instid0(VALU_DEP_4) | instskip(SKIP_2) | instid1(VALU_DEP_3)
	v_fma_f32 v15, 0x3fb8aa3b, v11, -v13
	v_rndne_f32_e32 v16, v13
	v_fmac_f32_e32 v17, 0x32a5705f, v12
	v_fmac_f32_e32 v15, 0x32a5705f, v11
	s_delay_alu instid0(VALU_DEP_2) | instskip(NEXT) | instid1(VALU_DEP_1)
	v_dual_sub_f32 v13, v13, v16 :: v_dual_add_f32 v14, v14, v17
	v_add_f32_e32 v13, v13, v15
	s_delay_alu instid0(VALU_DEP_2) | instskip(SKIP_2) | instid1(VALU_DEP_3)
	v_exp_f32_e32 v14, v14
	v_cvt_i32_f32_e32 v15, v16
	v_cvt_i32_f32_e32 v16, v18
	v_exp_f32_e32 v13, v13
	s_waitcnt_depctr 0xfff
	v_ldexp_f32 v14, v14, v16
	v_ldexp_f32 v13, v13, v15
	s_delay_alu instid0(VALU_DEP_1) | instskip(SKIP_1) | instid1(VALU_DEP_4)
	v_cndmask_b32_e32 v13, 0, v13, vcc_lo
	v_cmp_ngt_f32_e32 vcc_lo, 0xc2ce8ed0, v12
	v_cndmask_b32_e32 v14, 0, v14, vcc_lo
	v_cmp_nlt_f32_e32 vcc_lo, 0x42b17218, v11
	s_delay_alu instid0(VALU_DEP_4) | instskip(SKIP_1) | instid1(VALU_DEP_4)
	v_cndmask_b32_e32 v13, 0x7f800000, v13, vcc_lo
	v_cmp_nlt_f32_e32 vcc_lo, 0x42b17218, v12
	v_cndmask_b32_e32 v14, 0x7f800000, v14, vcc_lo
	v_cmp_le_f32_e32 vcc_lo, 0xc1a00000, v11
	s_delay_alu instid0(VALU_DEP_4) | instskip(SKIP_1) | instid1(VALU_DEP_4)
	v_cndmask_b32_e32 v11, 0, v13, vcc_lo
	v_cmp_le_f32_e32 vcc_lo, 0xc1a00000, v12
	v_cndmask_b32_e32 v12, 0, v14, vcc_lo
	s_waitcnt vmcnt(0)
	s_delay_alu instid0(VALU_DEP_3) | instskip(NEXT) | instid1(VALU_DEP_1)
	v_mul_f32_e32 v10, v10, v11
	v_dual_mul_f32 v11, s5, v11 :: v_dual_fmac_f32 v10, v3, v12
	s_delay_alu instid0(VALU_DEP_1)
	v_fmac_f32_e32 v11, v7, v12
	s_cbranch_execz .LBB3_18
	s_branch .LBB3_19
.LBB3_17:                               ;   in Loop: Header=BB3_9 Depth=1
                                        ; implicit-def: $sgpr13
                                        ; implicit-def: $vgpr10
                                        ; implicit-def: $vgpr9
                                        ; implicit-def: $vgpr11
                                        ; implicit-def: $sgpr1
                                        ; implicit-def: $sgpr15
.LBB3_18:                               ;   in Loop: Header=BB3_9 Depth=1
	v_mov_b32_e32 v11, v7
	s_waitcnt vmcnt(0)
	v_dual_mov_b32 v9, v8 :: v_dual_mov_b32 v10, v3
	s_add_i32 s1, s14, -1
	s_mov_b32 s13, 0
	s_mov_b32 s15, s16
.LBB3_19:                               ;   in Loop: Header=BB3_9 Depth=1
	s_and_not1_b32 vcc_lo, exec_lo, s13
	s_cbranch_vccz .LBB3_23
; %bb.20:                               ;   in Loop: Header=BB3_9 Depth=1
	v_dual_mov_b32 v7, v11 :: v_dual_mov_b32 v8, v9
	s_waitcnt vmcnt(0)
	v_mov_b32_e32 v3, v10
	s_mov_b32 s16, s15
	s_mov_b32 s14, s1
	s_branch .LBB3_9
.LBB3_21:
                                        ; implicit-def: $sgpr16_sgpr17
	s_load_b128 s[8:11], s[0:1], 0x44
	s_branch .LBB3_2
.LBB3_22:
                                        ; implicit-def: $sgpr18_sgpr19
	s_branch .LBB3_5
.LBB3_23:
	v_div_scale_f32 v0, null, v11, v11, v10
	s_waitcnt vmcnt(0)
	s_delay_alu instid0(VALU_DEP_1) | instskip(SKIP_2) | instid1(VALU_DEP_1)
	v_rcp_f32_e32 v3, v0
	s_waitcnt_depctr 0xfff
	v_fma_f32 v4, -v0, v3, 1.0
	v_fmac_f32_e32 v3, v4, v3
	v_div_scale_f32 v4, vcc_lo, v10, v11, v10
	s_delay_alu instid0(VALU_DEP_1) | instskip(NEXT) | instid1(VALU_DEP_1)
	v_mul_f32_e32 v5, v4, v3
	v_fma_f32 v6, -v0, v5, v4
	s_delay_alu instid0(VALU_DEP_1) | instskip(NEXT) | instid1(VALU_DEP_1)
	v_fmac_f32_e32 v5, v6, v3
	v_fma_f32 v0, -v0, v5, v4
	s_delay_alu instid0(VALU_DEP_1) | instskip(NEXT) | instid1(VALU_DEP_1)
	v_div_fmas_f32 v0, v0, v3, v5
	v_div_fixup_f32 v0, v0, v11, v10
	global_store_b32 v[1:2], v0, off
.LBB3_24:
	s_nop 0
	s_sendmsg sendmsg(MSG_DEALLOC_VGPRS)
	s_endpgm
	.section	.rodata,"a",@progbits
	.p2align	6, 0x0
	.amdhsa_kernel _ZL33flash_attn_stream_k_fixup_generalILi512ELi4ELi8EEvPfPK15HIP_vector_typeIfLj2EEiiiiS1_IjLj3EES5_S5_S5_
		.amdhsa_group_segment_fixed_size 0
		.amdhsa_private_segment_fixed_size 0
		.amdhsa_kernarg_size 336
		.amdhsa_user_sgpr_count 13
		.amdhsa_user_sgpr_dispatch_ptr 0
		.amdhsa_user_sgpr_queue_ptr 0
		.amdhsa_user_sgpr_kernarg_segment_ptr 1
		.amdhsa_user_sgpr_dispatch_id 0
		.amdhsa_user_sgpr_private_segment_size 0
		.amdhsa_wavefront_size32 1
		.amdhsa_uses_dynamic_stack 0
		.amdhsa_enable_private_segment 0
		.amdhsa_system_sgpr_workgroup_id_x 1
		.amdhsa_system_sgpr_workgroup_id_y 1
		.amdhsa_system_sgpr_workgroup_id_z 1
		.amdhsa_system_sgpr_workgroup_info 0
		.amdhsa_system_vgpr_workitem_id 0
		.amdhsa_next_free_vgpr 19
		.amdhsa_next_free_sgpr 32
		.amdhsa_reserve_vcc 1
		.amdhsa_float_round_mode_32 0
		.amdhsa_float_round_mode_16_64 0
		.amdhsa_float_denorm_mode_32 3
		.amdhsa_float_denorm_mode_16_64 3
		.amdhsa_dx10_clamp 1
		.amdhsa_ieee_mode 1
		.amdhsa_fp16_overflow 0
		.amdhsa_workgroup_processor_mode 1
		.amdhsa_memory_ordered 1
		.amdhsa_forward_progress 0
		.amdhsa_shared_vgpr_count 0
		.amdhsa_exception_fp_ieee_invalid_op 0
		.amdhsa_exception_fp_denorm_src 0
		.amdhsa_exception_fp_ieee_div_zero 0
		.amdhsa_exception_fp_ieee_overflow 0
		.amdhsa_exception_fp_ieee_underflow 0
		.amdhsa_exception_fp_ieee_inexact 0
		.amdhsa_exception_int_div_zero 0
	.end_amdhsa_kernel
	.section	.text._ZL33flash_attn_stream_k_fixup_generalILi512ELi4ELi8EEvPfPK15HIP_vector_typeIfLj2EEiiiiS1_IjLj3EES5_S5_S5_,"axG",@progbits,_ZL33flash_attn_stream_k_fixup_generalILi512ELi4ELi8EEvPfPK15HIP_vector_typeIfLj2EEiiiiS1_IjLj3EES5_S5_S5_,comdat
.Lfunc_end3:
	.size	_ZL33flash_attn_stream_k_fixup_generalILi512ELi4ELi8EEvPfPK15HIP_vector_typeIfLj2EEiiiiS1_IjLj3EES5_S5_S5_, .Lfunc_end3-_ZL33flash_attn_stream_k_fixup_generalILi512ELi4ELi8EEvPfPK15HIP_vector_typeIfLj2EEiiiiS1_IjLj3EES5_S5_S5_
                                        ; -- End function
	.section	.AMDGPU.csdata,"",@progbits
; Kernel info:
; codeLenInByte = 3224
; NumSgprs: 34
; NumVgprs: 19
; ScratchSize: 0
; MemoryBound: 0
; FloatMode: 240
; IeeeMode: 1
; LDSByteSize: 0 bytes/workgroup (compile time only)
; SGPRBlocks: 4
; VGPRBlocks: 2
; NumSGPRsForWavesPerEU: 34
; NumVGPRsForWavesPerEU: 19
; Occupancy: 16
; WaveLimiterHint : 0
; COMPUTE_PGM_RSRC2:SCRATCH_EN: 0
; COMPUTE_PGM_RSRC2:USER_SGPR: 13
; COMPUTE_PGM_RSRC2:TRAP_HANDLER: 0
; COMPUTE_PGM_RSRC2:TGID_X_EN: 1
; COMPUTE_PGM_RSRC2:TGID_Y_EN: 1
; COMPUTE_PGM_RSRC2:TGID_Z_EN: 1
; COMPUTE_PGM_RSRC2:TIDIG_COMP_CNT: 0
	.section	.text._ZL26flash_attn_combine_resultsILi512EEvPKfPK15HIP_vector_typeIfLj2EEPfi,"axG",@progbits,_ZL26flash_attn_combine_resultsILi512EEvPKfPK15HIP_vector_typeIfLj2EEPfi,comdat
	.globl	_ZL26flash_attn_combine_resultsILi512EEvPKfPK15HIP_vector_typeIfLj2EEPfi ; -- Begin function _ZL26flash_attn_combine_resultsILi512EEvPKfPK15HIP_vector_typeIfLj2EEPfi
	.p2align	8
	.type	_ZL26flash_attn_combine_resultsILi512EEvPKfPK15HIP_vector_typeIfLj2EEPfi,@function
_ZL26flash_attn_combine_resultsILi512EEvPKfPK15HIP_vector_typeIfLj2EEPfi: ; @_ZL26flash_attn_combine_resultsILi512EEvPKfPK15HIP_vector_typeIfLj2EEPfi
; %bb.0:
	s_clause 0x3
	s_load_b64 s[2:3], s[0:1], 0x20
	s_load_b32 s11, s[0:1], 0x18
	s_load_b128 s[4:7], s[0:1], 0x0
	s_load_b64 s[8:9], s[0:1], 0x10
	v_lshlrev_b32_e32 v5, 2, v0
	s_mov_b32 s12, exec_lo
	s_waitcnt lgkmcnt(0)
	s_mul_i32 s0, s2, s15
	s_lshl_b32 s1, s11, 1
	s_add_i32 s0, s0, s13
	s_delay_alu instid0(SALU_CYCLE_1) | instskip(NEXT) | instid1(SALU_CYCLE_1)
	s_mul_i32 s10, s0, s3
	s_add_i32 s10, s10, s14
	s_delay_alu instid0(SALU_CYCLE_1)
	s_mul_i32 s2, s10, s11
	v_cmpx_gt_i32_e64 s1, v0
	s_cbranch_execz .LBB4_3
; %bb.1:
	s_ashr_i32 s3, s2, 31
	v_dual_mov_b32 v4, v0 :: v_dual_add_nc_u32 v3, 0, v5
	s_lshl_b64 s[14:15], s[2:3], 3
	s_delay_alu instid0(SALU_CYCLE_1) | instskip(SKIP_2) | instid1(VALU_DEP_1)
	s_add_u32 s0, s6, s14
	s_addc_u32 s3, s7, s15
	v_add_co_u32 v1, s0, s0, v5
	v_add_co_ci_u32_e64 v2, null, s3, 0, s0
	s_mov_b32 s3, 0
	.p2align	6
.LBB4_2:                                ; =>This Inner Loop Header: Depth=1
	global_load_b32 v6, v[1:2], off
	v_add_nc_u32_e32 v4, 0x200, v4
	v_add_co_u32 v1, vcc_lo, 0x800, v1
	v_add_co_ci_u32_e32 v2, vcc_lo, 0, v2, vcc_lo
	s_delay_alu instid0(VALU_DEP_3) | instskip(NEXT) | instid1(VALU_DEP_1)
	v_cmp_le_i32_e64 s0, s1, v4
	s_or_b32 s3, s0, s3
	s_waitcnt vmcnt(0)
	ds_store_b32 v3, v6
	v_add_nc_u32_e32 v3, 0x800, v3
	s_and_not1_b32 exec_lo, exec_lo, s3
	s_cbranch_execnz .LBB4_2
.LBB4_3:
	s_or_b32 exec_lo, exec_lo, s12
	v_mov_b32_e32 v1, 0
	s_waitcnt lgkmcnt(0)
	s_barrier
	buffer_gl0_inv
	s_cmp_lt_i32 s11, 2
	ds_load_b32 v6, v1
	s_cbranch_scc1 .LBB4_11
; %bb.4:
	s_add_i32 s1, s11, -2
	s_add_i32 s0, s11, -1
	s_cmp_lt_u32 s1, 7
	s_cbranch_scc1 .LBB4_8
; %bb.5:
	s_mov_b32 s3, 0
	s_add_i32 s1, 0, 8
	s_and_b32 s6, s0, -8
	.p2align	6
.LBB4_6:                                ; =>This Inner Loop Header: Depth=1
	v_mov_b32_e32 v9, s1
	s_mov_b32 s7, s3
	s_add_i32 s3, s3, 8
	s_add_i32 s1, s1, 64
	s_cmp_eq_u32 s6, s3
	ds_load_2addr_b32 v[1:2], v9 offset1:2
	ds_load_2addr_b32 v[3:4], v9 offset0:4 offset1:6
	ds_load_2addr_b32 v[7:8], v9 offset0:8 offset1:10
	;; [unrolled: 1-line block ×3, first 2 shown]
	s_waitcnt lgkmcnt(3)
	v_max3_f32 v1, v6, v1, v2
	s_waitcnt lgkmcnt(2)
	s_delay_alu instid0(VALU_DEP_1) | instskip(SKIP_1) | instid1(VALU_DEP_1)
	v_max3_f32 v1, v1, v3, v4
	s_waitcnt lgkmcnt(1)
	v_max3_f32 v1, v1, v7, v8
	s_waitcnt lgkmcnt(0)
	s_delay_alu instid0(VALU_DEP_1)
	v_max3_f32 v6, v1, v9, v10
	s_cbranch_scc0 .LBB4_6
; %bb.7:
	s_add_i32 s1, s7, 9
	s_and_b32 s0, s0, 7
	s_delay_alu instid0(SALU_CYCLE_1)
	s_cmp_eq_u32 s0, 0
	s_cbranch_scc0 .LBB4_9
	s_branch .LBB4_11
.LBB4_8:
	s_mov_b32 s1, 1
	s_and_b32 s0, s0, 7
	s_delay_alu instid0(SALU_CYCLE_1)
	s_cmp_eq_u32 s0, 0
	s_cbranch_scc1 .LBB4_11
.LBB4_9:
	s_lshl_b32 s1, s1, 3
	s_delay_alu instid0(SALU_CYCLE_1)
	s_add_i32 s1, s1, 0
.LBB4_10:                               ; =>This Inner Loop Header: Depth=1
	s_waitcnt lgkmcnt(0)
	s_delay_alu instid0(VALU_DEP_1)
	v_dual_mov_b32 v1, s1 :: v_dual_max_f32 v2, v6, v6
	s_add_i32 s0, s0, -1
	s_add_i32 s1, s1, 8
	s_cmp_lg_u32 s0, 0
	ds_load_b32 v1, v1
	s_waitcnt lgkmcnt(0)
	v_max_f32_e32 v1, v1, v1
	s_delay_alu instid0(VALU_DEP_1)
	v_max_f32_e32 v6, v2, v1
	s_cbranch_scc1 .LBB4_10
.LBB4_11:
	s_cmp_lt_i32 s11, 1
	s_cbranch_scc1 .LBB4_16
; %bb.12:
	s_lshl_b32 s0, s2, 9
	v_mov_b32_e32 v7, 0
	s_ashr_i32 s1, s0, 31
	s_mov_b32 s13, 0
	s_lshl_b64 s[0:1], s[0:1], 2
	s_delay_alu instid0(SALU_CYCLE_1)
	s_add_u32 s6, s4, s0
	s_addc_u32 s7, s5, s1
	s_cmp_lt_u32 s11, 8
	s_cbranch_scc1 .LBB4_17
; %bb.13:
	v_or_b32_e32 v1, 0xe00, v0
	v_dual_mov_b32 v4, 0 :: v_dual_mov_b32 v7, 0
	v_mov_b32_e32 v8, 0
	s_and_b32 s12, s11, 0x7ffffff8
	s_mov_b32 s14, 0
.LBB4_14:                               ; =>This Inner Loop Header: Depth=1
	s_delay_alu instid0(VALU_DEP_2) | instskip(SKIP_3) | instid1(VALU_DEP_2)
	v_dual_mov_b32 v2, v4 :: v_dual_add_nc_u32 v3, 0xfffff200, v1
	v_mov_b32_e32 v21, s13
	s_add_i32 s14, s14, 8
	s_add_i32 s13, s13, 64
	v_lshlrev_b64 v[9:10], 2, v[3:4]
	v_add_nc_u32_e32 v3, 0xfffff400, v1
	v_lshlrev_b64 v[11:12], 2, v[1:2]
	s_cmp_eq_u32 s12, s14
	s_delay_alu instid0(VALU_DEP_2) | instskip(NEXT) | instid1(VALU_DEP_4)
	v_lshlrev_b64 v[13:14], 2, v[3:4]
	v_add_co_u32 v9, vcc_lo, s6, v9
	v_add_co_ci_u32_e32 v10, vcc_lo, s7, v10, vcc_lo
	v_add_nc_u32_e32 v3, 0xfffff600, v1
	s_delay_alu instid0(VALU_DEP_4)
	v_add_co_u32 v13, vcc_lo, s6, v13
	global_load_b32 v25, v[9:10], off
	v_add_co_ci_u32_e32 v14, vcc_lo, s7, v14, vcc_lo
	v_lshlrev_b64 v[15:16], 2, v[3:4]
	v_add_nc_u32_e32 v3, 0xfffff800, v1
	global_load_b32 v26, v[13:14], off
	v_add_co_u32 v13, vcc_lo, s6, v15
	v_add_co_ci_u32_e32 v14, vcc_lo, s7, v16, vcc_lo
	v_lshlrev_b64 v[9:10], 2, v[3:4]
	v_add_nc_u32_e32 v3, 0xfffffa00, v1
	global_load_b32 v27, v[13:14], off
	v_add_co_u32 v9, vcc_lo, s6, v9
	v_lshlrev_b64 v[15:16], 2, v[3:4]
	v_add_nc_u32_e32 v3, 0xfffffc00, v1
	v_add_co_ci_u32_e32 v10, vcc_lo, s7, v10, vcc_lo
	global_load_b32 v28, v[9:10], off
	v_lshlrev_b64 v[13:14], 2, v[3:4]
	v_add_nc_u32_e32 v3, 0xfffffe00, v1
	v_add_co_u32 v9, vcc_lo, s6, v15
	v_add_co_ci_u32_e32 v10, vcc_lo, s7, v16, vcc_lo
	s_delay_alu instid0(VALU_DEP_4) | instskip(NEXT) | instid1(VALU_DEP_4)
	v_add_co_u32 v13, vcc_lo, s6, v13
	v_lshlrev_b64 v[2:3], 2, v[3:4]
	v_add_co_ci_u32_e32 v14, vcc_lo, s7, v14, vcc_lo
	s_clause 0x1
	global_load_b32 v29, v[9:10], off
	global_load_b32 v30, v[13:14], off
	v_add_co_u32 v2, vcc_lo, s6, v2
	v_add_co_ci_u32_e32 v3, vcc_lo, s7, v3, vcc_lo
	v_add_co_u32 v9, vcc_lo, s6, v11
	v_add_co_ci_u32_e32 v10, vcc_lo, s7, v12, vcc_lo
	s_clause 0x1
	global_load_b32 v2, v[2:3], off
	global_load_b32 v3, v[9:10], off
	ds_load_2addr_b64 v[9:12], v21 offset1:1
	ds_load_2addr_b64 v[13:16], v21 offset0:2 offset1:3
	ds_load_2addr_b64 v[17:20], v21 offset0:4 offset1:5
	;; [unrolled: 1-line block ×3, first 2 shown]
	v_add_nc_u32_e32 v1, 0x1000, v1
	s_waitcnt lgkmcnt(1)
	v_sub_f32_e32 v19, v19, v6
	v_sub_f32_e32 v11, v11, v6
	s_waitcnt lgkmcnt(0)
	v_sub_f32_e32 v23, v23, v6
	s_delay_alu instid0(VALU_DEP_3) | instskip(NEXT) | instid1(VALU_DEP_3)
	v_dual_sub_f32 v13, v13, v6 :: v_dual_mul_f32 v36, 0x3fb8aa3b, v19
	v_mul_f32_e32 v32, 0x3fb8aa3b, v11
	s_delay_alu instid0(VALU_DEP_2) | instskip(SKIP_1) | instid1(VALU_DEP_4)
	v_dual_mul_f32 v38, 0x3fb8aa3b, v23 :: v_dual_mul_f32 v33, 0x3fb8aa3b, v13
	v_cmp_ngt_f32_e32 vcc_lo, 0xc2ce8ed0, v13
	v_fma_f32 v49, 0x3fb8aa3b, v19, -v36
	s_delay_alu instid0(VALU_DEP_4) | instskip(SKIP_4) | instid1(VALU_DEP_4)
	v_fma_f32 v41, 0x3fb8aa3b, v11, -v32
	v_rndne_f32_e32 v42, v32
	v_fma_f32 v43, 0x3fb8aa3b, v13, -v33
	v_rndne_f32_e32 v44, v33
	v_rndne_f32_e32 v50, v36
	v_dual_fmac_f32 v41, 0x32a5705f, v11 :: v_dual_sub_f32 v32, v32, v42
	v_sub_f32_e32 v15, v15, v6
	v_fmac_f32_e32 v43, 0x32a5705f, v13
	v_sub_f32_e32 v33, v33, v44
	v_cvt_i32_f32_e32 v42, v42
	v_dual_add_f32 v32, v32, v41 :: v_dual_sub_f32 v9, v9, v6
	v_mul_f32_e32 v34, 0x3fb8aa3b, v15
	s_delay_alu instid0(VALU_DEP_4) | instskip(SKIP_1) | instid1(VALU_DEP_4)
	v_add_f32_e32 v33, v33, v43
	v_cvt_i32_f32_e32 v44, v44
	v_exp_f32_e32 v32, v32
	v_mul_f32_e32 v31, 0x3fb8aa3b, v9
	v_fma_f32 v45, 0x3fb8aa3b, v15, -v34
	v_rndne_f32_e32 v46, v34
	v_exp_f32_e32 v33, v33
	v_cmp_ngt_f32_e64 s5, 0xc2ce8ed0, v9
	v_fma_f32 v39, 0x3fb8aa3b, v9, -v31
	v_rndne_f32_e32 v40, v31
	v_dual_fmac_f32 v45, 0x32a5705f, v15 :: v_dual_sub_f32 v34, v34, v46
	v_sub_f32_e32 v17, v17, v6
	s_delay_alu instid0(VALU_DEP_4) | instskip(NEXT) | instid1(VALU_DEP_4)
	v_fmac_f32_e32 v39, 0x32a5705f, v9
	v_sub_f32_e32 v31, v31, v40
	v_cvt_i32_f32_e32 v40, v40
	v_add_f32_e32 v34, v34, v45
	v_ldexp_f32 v32, v32, v42
	v_ldexp_f32 v33, v33, v44
	v_add_f32_e32 v31, v31, v39
	v_cvt_i32_f32_e32 v46, v46
	v_exp_f32_e32 v34, v34
	v_cmp_ngt_f32_e64 s0, 0xc2ce8ed0, v15
	v_fmac_f32_e32 v49, 0x32a5705f, v19
	v_exp_f32_e32 v31, v31
	v_sub_f32_e32 v36, v36, v50
	v_cvt_i32_f32_e32 v50, v50
	v_cmp_ngt_f32_e64 s1, 0xc2ce8ed0, v17
	v_rndne_f32_e32 v54, v38
	s_delay_alu instid0(VALU_DEP_4) | instskip(NEXT) | instid1(TRANS32_DEP_2)
	v_add_f32_e32 v36, v36, v49
	v_ldexp_f32 v34, v34, v46
	v_cmp_ngt_f32_e64 s2, 0xc2ce8ed0, v19
	s_delay_alu instid0(TRANS32_DEP_1) | instskip(NEXT) | instid1(VALU_DEP_4)
	v_ldexp_f32 v31, v31, v40
	v_exp_f32_e32 v36, v36
	s_delay_alu instid0(VALU_DEP_1) | instskip(SKIP_1) | instid1(VALU_DEP_1)
	v_cndmask_b32_e64 v31, 0, v31, s5
	v_cmp_ngt_f32_e64 s5, 0xc2ce8ed0, v11
	v_cndmask_b32_e64 v32, 0, v32, s5
	v_cmp_nlt_f32_e64 s5, 0x42b17218, v9
	s_waitcnt_depctr 0xfff
	v_ldexp_f32 v36, v36, v50
	v_cndmask_b32_e64 v9, 0x7f800000, v31, s5
	v_cndmask_b32_e32 v31, 0, v33, vcc_lo
	v_cmp_nlt_f32_e32 vcc_lo, 0x42b17218, v11
	s_delay_alu instid0(VALU_DEP_3) | instskip(SKIP_1) | instid1(VALU_DEP_2)
	v_dual_fmac_f32 v8, v9, v10 :: v_dual_cndmask_b32 v11, 0x7f800000, v32
	v_cmp_nlt_f32_e32 vcc_lo, 0x42b17218, v13
	v_fmac_f32_e32 v8, v11, v12
	v_cndmask_b32_e32 v10, 0x7f800000, v31, vcc_lo
	v_cmp_nlt_f32_e32 vcc_lo, 0x42b17218, v15
	v_fma_f32 v53, 0x3fb8aa3b, v23, -v38
	v_sub_f32_e32 v38, v38, v54
	v_cvt_i32_f32_e32 v54, v54
	v_fmac_f32_e32 v8, v10, v14
	v_cmp_ngt_f32_e64 s4, 0xc2ce8ed0, v23
	v_fmac_f32_e32 v53, 0x32a5705f, v23
	s_delay_alu instid0(VALU_DEP_1) | instskip(NEXT) | instid1(VALU_DEP_1)
	v_dual_sub_f32 v21, v21, v6 :: v_dual_add_f32 v38, v38, v53
	v_cmp_ngt_f32_e64 s3, 0xc2ce8ed0, v21
	s_delay_alu instid0(VALU_DEP_2)
	v_exp_f32_e32 v38, v38
	s_waitcnt_depctr 0xfff
	v_ldexp_f32 v38, v38, v54
	s_waitcnt vmcnt(7)
	v_fmac_f32_e32 v7, v25, v9
	v_cndmask_b32_e64 v9, 0, v34, s0
	s_delay_alu instid0(VALU_DEP_1) | instskip(SKIP_1) | instid1(VALU_DEP_3)
	v_cndmask_b32_e32 v9, 0x7f800000, v9, vcc_lo
	s_waitcnt vmcnt(6)
	v_fmac_f32_e32 v7, v26, v11
	v_cmp_nlt_f32_e32 vcc_lo, 0x42b17218, v17
	s_delay_alu instid0(VALU_DEP_3) | instskip(SKIP_1) | instid1(VALU_DEP_3)
	v_dual_fmac_f32 v8, v9, v16 :: v_dual_mul_f32 v35, 0x3fb8aa3b, v17
	s_waitcnt vmcnt(5)
	v_fmac_f32_e32 v7, v27, v10
	s_delay_alu instid0(VALU_DEP_2) | instskip(SKIP_2) | instid1(VALU_DEP_3)
	v_fma_f32 v47, 0x3fb8aa3b, v17, -v35
	v_rndne_f32_e32 v48, v35
	v_cndmask_b32_e64 v10, 0, v36, s2
	v_fmac_f32_e32 v47, 0x32a5705f, v17
	s_delay_alu instid0(VALU_DEP_3) | instskip(SKIP_1) | instid1(VALU_DEP_2)
	v_sub_f32_e32 v35, v35, v48
	v_cvt_i32_f32_e32 v48, v48
	v_add_f32_e32 v35, v35, v47
	s_waitcnt vmcnt(4)
	v_fmac_f32_e32 v7, v28, v9
	s_delay_alu instid0(VALU_DEP_2) | instskip(SKIP_2) | instid1(VALU_DEP_1)
	v_exp_f32_e32 v35, v35
	s_waitcnt_depctr 0xfff
	v_ldexp_f32 v35, v35, v48
	v_cndmask_b32_e64 v11, 0, v35, s1
	s_delay_alu instid0(VALU_DEP_1) | instskip(SKIP_1) | instid1(VALU_DEP_2)
	v_cndmask_b32_e32 v11, 0x7f800000, v11, vcc_lo
	v_cmp_nlt_f32_e32 vcc_lo, 0x42b17218, v19
	v_fmac_f32_e32 v8, v11, v18
	v_cndmask_b32_e32 v10, 0x7f800000, v10, vcc_lo
	v_mul_f32_e32 v37, 0x3fb8aa3b, v21
	s_waitcnt vmcnt(3)
	v_fmac_f32_e32 v7, v29, v11
	v_cmp_nlt_f32_e32 vcc_lo, 0x42b17218, v21
	v_cndmask_b32_e64 v11, 0, v38, s4
	v_fmac_f32_e32 v8, v10, v20
	v_fma_f32 v51, 0x3fb8aa3b, v21, -v37
	v_rndne_f32_e32 v52, v37
	s_waitcnt vmcnt(2)
	v_fmac_f32_e32 v7, v30, v10
	s_delay_alu instid0(VALU_DEP_3) | instskip(NEXT) | instid1(VALU_DEP_3)
	v_fmac_f32_e32 v51, 0x32a5705f, v21
	v_sub_f32_e32 v37, v37, v52
	v_cvt_i32_f32_e32 v52, v52
	s_delay_alu instid0(VALU_DEP_2) | instskip(NEXT) | instid1(VALU_DEP_1)
	v_add_f32_e32 v37, v37, v51
	v_exp_f32_e32 v37, v37
	s_waitcnt_depctr 0xfff
	v_ldexp_f32 v37, v37, v52
	s_delay_alu instid0(VALU_DEP_1) | instskip(NEXT) | instid1(VALU_DEP_1)
	v_cndmask_b32_e64 v9, 0, v37, s3
	v_cndmask_b32_e32 v9, 0x7f800000, v9, vcc_lo
	v_cmp_nlt_f32_e32 vcc_lo, 0x42b17218, v23
	s_delay_alu instid0(VALU_DEP_2) | instskip(SKIP_3) | instid1(VALU_DEP_1)
	v_fmac_f32_e32 v8, v9, v22
	s_waitcnt vmcnt(1)
	v_dual_cndmask_b32 v10, 0x7f800000, v11 :: v_dual_fmac_f32 v7, v2, v9
	s_waitcnt vmcnt(0)
	v_dual_fmac_f32 v8, v10, v24 :: v_dual_fmac_f32 v7, v3, v10
	s_cbranch_scc0 .LBB4_14
; %bb.15:
	s_and_b32 s0, s11, 7
	s_delay_alu instid0(SALU_CYCLE_1)
	s_cmp_eq_u32 s0, 0
	s_cbranch_scc0 .LBB4_18
	s_branch .LBB4_20
.LBB4_16:
	v_mov_b32_e32 v0, 0x7fc00000
	s_branch .LBB4_21
.LBB4_17:
	v_mov_b32_e32 v8, 0
	s_mov_b32 s12, 0
	s_and_b32 s0, s11, 7
	s_delay_alu instid0(SALU_CYCLE_1)
	s_cmp_eq_u32 s0, 0
	s_cbranch_scc1 .LBB4_20
.LBB4_18:
	v_lshl_or_b32 v0, s12, 9, v0
	v_mov_b32_e32 v1, 0
	s_lshl_b32 s1, s12, 3
	s_delay_alu instid0(SALU_CYCLE_1)
	s_add_i32 s1, s1, 0
	s_set_inst_prefetch_distance 0x1
	.p2align	6
.LBB4_19:                               ; =>This Inner Loop Header: Depth=1
	s_delay_alu instid0(VALU_DEP_1) | instskip(SKIP_2) | instid1(VALU_DEP_2)
	v_lshlrev_b64 v[2:3], 2, v[0:1]
	s_add_i32 s0, s0, -1
	v_add_nc_u32_e32 v0, 0x200, v0
	v_add_co_u32 v2, vcc_lo, s6, v2
	s_delay_alu instid0(VALU_DEP_3)
	v_add_co_ci_u32_e32 v3, vcc_lo, s7, v3, vcc_lo
	global_load_b32 v4, v[2:3], off
	v_mov_b32_e32 v2, s1
	s_add_i32 s1, s1, 8
	s_cmp_lg_u32 s0, 0
	ds_load_b64 v[2:3], v2
	s_waitcnt lgkmcnt(0)
	v_sub_f32_e32 v2, v2, v6
	s_delay_alu instid0(VALU_DEP_1) | instskip(SKIP_1) | instid1(VALU_DEP_2)
	v_mul_f32_e32 v9, 0x3fb8aa3b, v2
	v_cmp_ngt_f32_e32 vcc_lo, 0xc2ce8ed0, v2
	v_fma_f32 v10, 0x3fb8aa3b, v2, -v9
	v_rndne_f32_e32 v11, v9
	s_delay_alu instid0(VALU_DEP_1) | instskip(NEXT) | instid1(VALU_DEP_1)
	v_dual_fmac_f32 v10, 0x32a5705f, v2 :: v_dual_sub_f32 v9, v9, v11
	v_add_f32_e32 v9, v9, v10
	v_cvt_i32_f32_e32 v10, v11
	s_delay_alu instid0(VALU_DEP_2) | instskip(SKIP_2) | instid1(VALU_DEP_1)
	v_exp_f32_e32 v9, v9
	s_waitcnt_depctr 0xfff
	v_ldexp_f32 v9, v9, v10
	v_cndmask_b32_e32 v9, 0, v9, vcc_lo
	v_cmp_nlt_f32_e32 vcc_lo, 0x42b17218, v2
	s_delay_alu instid0(VALU_DEP_2) | instskip(SKIP_1) | instid1(VALU_DEP_1)
	v_cndmask_b32_e32 v2, 0x7f800000, v9, vcc_lo
	s_waitcnt vmcnt(0)
	v_dual_fmac_f32 v8, v2, v3 :: v_dual_fmac_f32 v7, v4, v2
	s_cbranch_scc1 .LBB4_19
.LBB4_20:
	s_set_inst_prefetch_distance 0x2
	s_delay_alu instid0(VALU_DEP_1) | instskip(NEXT) | instid1(VALU_DEP_1)
	v_div_scale_f32 v0, null, v8, v8, v7
	v_rcp_f32_e32 v1, v0
	s_waitcnt_depctr 0xfff
	v_fma_f32 v2, -v0, v1, 1.0
	s_delay_alu instid0(VALU_DEP_1) | instskip(SKIP_1) | instid1(VALU_DEP_1)
	v_fmac_f32_e32 v1, v2, v1
	v_div_scale_f32 v2, vcc_lo, v7, v8, v7
	v_mul_f32_e32 v3, v2, v1
	s_delay_alu instid0(VALU_DEP_1) | instskip(NEXT) | instid1(VALU_DEP_1)
	v_fma_f32 v4, -v0, v3, v2
	v_fmac_f32_e32 v3, v4, v1
	s_delay_alu instid0(VALU_DEP_1) | instskip(NEXT) | instid1(VALU_DEP_1)
	v_fma_f32 v0, -v0, v3, v2
	v_div_fmas_f32 v0, v0, v1, v3
	s_delay_alu instid0(VALU_DEP_1)
	v_div_fixup_f32 v0, v0, v8, v7
.LBB4_21:
	s_lshl_b32 s0, s10, 9
	s_delay_alu instid0(SALU_CYCLE_1) | instskip(NEXT) | instid1(SALU_CYCLE_1)
	s_ashr_i32 s1, s0, 31
	s_lshl_b64 s[0:1], s[0:1], 2
	s_delay_alu instid0(SALU_CYCLE_1)
	s_add_u32 s0, s8, s0
	s_addc_u32 s1, s9, s1
	global_store_b32 v5, v0, s[0:1]
	s_nop 0
	s_sendmsg sendmsg(MSG_DEALLOC_VGPRS)
	s_endpgm
	.section	.rodata,"a",@progbits
	.p2align	6, 0x0
	.amdhsa_kernel _ZL26flash_attn_combine_resultsILi512EEvPKfPK15HIP_vector_typeIfLj2EEPfi
		.amdhsa_group_segment_fixed_size 0
		.amdhsa_private_segment_fixed_size 0
		.amdhsa_kernarg_size 288
		.amdhsa_user_sgpr_count 13
		.amdhsa_user_sgpr_dispatch_ptr 0
		.amdhsa_user_sgpr_queue_ptr 0
		.amdhsa_user_sgpr_kernarg_segment_ptr 1
		.amdhsa_user_sgpr_dispatch_id 0
		.amdhsa_user_sgpr_private_segment_size 0
		.amdhsa_wavefront_size32 1
		.amdhsa_uses_dynamic_stack 0
		.amdhsa_enable_private_segment 0
		.amdhsa_system_sgpr_workgroup_id_x 1
		.amdhsa_system_sgpr_workgroup_id_y 1
		.amdhsa_system_sgpr_workgroup_id_z 1
		.amdhsa_system_sgpr_workgroup_info 0
		.amdhsa_system_vgpr_workitem_id 0
		.amdhsa_next_free_vgpr 55
		.amdhsa_next_free_sgpr 16
		.amdhsa_reserve_vcc 1
		.amdhsa_float_round_mode_32 0
		.amdhsa_float_round_mode_16_64 0
		.amdhsa_float_denorm_mode_32 3
		.amdhsa_float_denorm_mode_16_64 3
		.amdhsa_dx10_clamp 1
		.amdhsa_ieee_mode 1
		.amdhsa_fp16_overflow 0
		.amdhsa_workgroup_processor_mode 1
		.amdhsa_memory_ordered 1
		.amdhsa_forward_progress 0
		.amdhsa_shared_vgpr_count 0
		.amdhsa_exception_fp_ieee_invalid_op 0
		.amdhsa_exception_fp_denorm_src 0
		.amdhsa_exception_fp_ieee_div_zero 0
		.amdhsa_exception_fp_ieee_overflow 0
		.amdhsa_exception_fp_ieee_underflow 0
		.amdhsa_exception_fp_ieee_inexact 0
		.amdhsa_exception_int_div_zero 0
	.end_amdhsa_kernel
	.section	.text._ZL26flash_attn_combine_resultsILi512EEvPKfPK15HIP_vector_typeIfLj2EEPfi,"axG",@progbits,_ZL26flash_attn_combine_resultsILi512EEvPKfPK15HIP_vector_typeIfLj2EEPfi,comdat
.Lfunc_end4:
	.size	_ZL26flash_attn_combine_resultsILi512EEvPKfPK15HIP_vector_typeIfLj2EEPfi, .Lfunc_end4-_ZL26flash_attn_combine_resultsILi512EEvPKfPK15HIP_vector_typeIfLj2EEPfi
                                        ; -- End function
	.section	.AMDGPU.csdata,"",@progbits
; Kernel info:
; codeLenInByte = 2352
; NumSgprs: 18
; NumVgprs: 55
; ScratchSize: 0
; MemoryBound: 0
; FloatMode: 240
; IeeeMode: 1
; LDSByteSize: 0 bytes/workgroup (compile time only)
; SGPRBlocks: 2
; VGPRBlocks: 6
; NumSGPRsForWavesPerEU: 18
; NumVGPRsForWavesPerEU: 55
; Occupancy: 16
; WaveLimiterHint : 0
; COMPUTE_PGM_RSRC2:SCRATCH_EN: 0
; COMPUTE_PGM_RSRC2:USER_SGPR: 13
; COMPUTE_PGM_RSRC2:TRAP_HANDLER: 0
; COMPUTE_PGM_RSRC2:TGID_X_EN: 1
; COMPUTE_PGM_RSRC2:TGID_Y_EN: 1
; COMPUTE_PGM_RSRC2:TGID_Z_EN: 1
; COMPUTE_PGM_RSRC2:TIDIG_COMP_CNT: 0
	.section	.text._ZL15flash_attn_tileILi512ELi512ELi2ELi8ELb0EEvPKcS1_S1_S1_S1_PKiPfP15HIP_vector_typeIfLj2EEffffjfiS5_IjLj3EEiiiiiiiiiiiliiliiiiil,"axG",@progbits,_ZL15flash_attn_tileILi512ELi512ELi2ELi8ELb0EEvPKcS1_S1_S1_S1_PKiPfP15HIP_vector_typeIfLj2EEffffjfiS5_IjLj3EEiiiiiiiiiiiliiliiiiil,comdat
	.globl	_ZL15flash_attn_tileILi512ELi512ELi2ELi8ELb0EEvPKcS1_S1_S1_S1_PKiPfP15HIP_vector_typeIfLj2EEffffjfiS5_IjLj3EEiiiiiiiiiiiliiliiiiil ; -- Begin function _ZL15flash_attn_tileILi512ELi512ELi2ELi8ELb0EEvPKcS1_S1_S1_S1_PKiPfP15HIP_vector_typeIfLj2EEffffjfiS5_IjLj3EEiiiiiiiiiiiliiliiiiil
	.p2align	8
	.type	_ZL15flash_attn_tileILi512ELi512ELi2ELi8ELb0EEvPKcS1_S1_S1_S1_PKiPfP15HIP_vector_typeIfLj2EEffffjfiS5_IjLj3EEiiiiiiiiiiiliiliiiiil,@function
_ZL15flash_attn_tileILi512ELi512ELi2ELi8ELb0EEvPKcS1_S1_S1_S1_PKiPfP15HIP_vector_typeIfLj2EEffffjfiS5_IjLj3EEiiiiiiiiiiiliiliiiiil: ; @_ZL15flash_attn_tileILi512ELi512ELi2ELi8ELb0EEvPKcS1_S1_S1_S1_PKiPfP15HIP_vector_typeIfLj2EEffffjfiS5_IjLj3EEiiiiiiiiiiiliiliiiiil
; %bb.0:
	s_clause 0x1
	s_load_b128 s[36:39], s[0:1], 0x5c
	s_load_b64 s[34:35], s[0:1], 0x80
	s_mov_b64 s[40:41], 0
	s_waitcnt lgkmcnt(0)
	s_ashr_i32 s2, s39, 31
	s_delay_alu instid0(SALU_CYCLE_1) | instskip(NEXT) | instid1(SALU_CYCLE_1)
	s_lshr_b32 s2, s2, 29
	s_add_i32 s2, s39, s2
	s_delay_alu instid0(SALU_CYCLE_1) | instskip(NEXT) | instid1(SALU_CYCLE_1)
	s_ashr_i32 s2, s2, 3
	v_cvt_f32_u32_e32 v1, s2
	s_sub_i32 s4, 0, s2
	s_delay_alu instid0(VALU_DEP_1) | instskip(SKIP_2) | instid1(VALU_DEP_1)
	v_rcp_iflag_f32_e32 v1, v1
	s_waitcnt_depctr 0xfff
	v_mul_f32_e32 v1, 0x4f7ffffe, v1
	v_cvt_u32_f32_e32 v1, v1
	s_delay_alu instid0(VALU_DEP_1) | instskip(NEXT) | instid1(VALU_DEP_1)
	v_readfirstlane_b32 s3, v1
	s_mul_i32 s4, s4, s3
	s_delay_alu instid0(SALU_CYCLE_1) | instskip(NEXT) | instid1(SALU_CYCLE_1)
	s_mul_hi_u32 s4, s3, s4
	s_add_i32 s3, s3, s4
	s_delay_alu instid0(SALU_CYCLE_1) | instskip(NEXT) | instid1(SALU_CYCLE_1)
	s_mul_hi_u32 s3, s15, s3
	s_mul_i32 s4, s3, s2
	s_add_i32 s5, s3, 1
	s_sub_i32 s4, s15, s4
	s_delay_alu instid0(SALU_CYCLE_1)
	s_sub_i32 s6, s4, s2
	s_cmp_ge_u32 s4, s2
	s_cselect_b32 s3, s5, s3
	s_cselect_b32 s4, s6, s4
	s_add_i32 s5, s3, 1
	s_cmp_ge_u32 s4, s2
	s_cselect_b32 s33, s5, s3
	s_abs_i32 s2, s35
	s_abs_i32 s7, s39
	v_cvt_f32_u32_e32 v1, s2
	s_sub_i32 s4, 0, s2
	s_lshl_b32 s5, s15, 3
	s_mul_i32 s6, s33, s39
	s_delay_alu instid0(VALU_DEP_1) | instskip(SKIP_3) | instid1(VALU_DEP_1)
	v_rcp_iflag_f32_e32 v1, v1
	s_sub_i32 s15, s5, s6
	s_waitcnt_depctr 0xfff
	v_mul_f32_e32 v1, 0x4f7ffffe, v1
	v_cvt_u32_f32_e32 v1, v1
	s_delay_alu instid0(VALU_DEP_1) | instskip(NEXT) | instid1(VALU_DEP_1)
	v_readfirstlane_b32 s3, v1
	s_mul_i32 s4, s4, s3
	s_delay_alu instid0(SALU_CYCLE_1) | instskip(NEXT) | instid1(SALU_CYCLE_1)
	s_mul_hi_u32 s4, s3, s4
	s_add_i32 s3, s3, s4
	s_xor_b32 s4, s39, s35
	s_mul_hi_u32 s3, s7, s3
	s_ashr_i32 s4, s4, 31
	s_mul_i32 s5, s3, s2
	s_add_i32 s6, s3, 1
	s_sub_i32 s5, s7, s5
	s_delay_alu instid0(SALU_CYCLE_1)
	s_sub_i32 s7, s5, s2
	s_cmp_ge_u32 s5, s2
	s_cselect_b32 s3, s6, s3
	s_cselect_b32 s5, s7, s5
	s_add_i32 s6, s3, 1
	s_cmp_ge_u32 s5, s2
	s_cselect_b32 s2, s6, s3
	s_delay_alu instid0(SALU_CYCLE_1) | instskip(NEXT) | instid1(SALU_CYCLE_1)
	s_xor_b32 s2, s2, s4
	s_sub_i32 s9, s2, s4
	s_clause 0x1
	s_load_b512 s[16:31], s[0:1], 0x0
	s_load_b64 s[2:3], s[0:1], 0xb8
	s_abs_i32 s8, s9
	s_delay_alu instid0(SALU_CYCLE_1) | instskip(NEXT) | instid1(VALU_DEP_1)
	v_cvt_f32_u32_e32 v1, s8
	v_rcp_iflag_f32_e32 v1, v1
	s_waitcnt_depctr 0xfff
	v_mul_f32_e32 v1, 0x4f7ffffe, v1
	s_waitcnt lgkmcnt(0)
	s_cmp_eq_u64 s[22:23], 0
	s_delay_alu instid0(VALU_DEP_1) | instskip(NEXT) | instid1(VALU_DEP_1)
	v_cvt_u32_f32_e32 v1, v1
	v_readfirstlane_b32 s10, v1
	s_cbranch_scc1 .LBB5_2
; %bb.1:
	s_abs_i32 s2, s2
	s_abs_i32 s6, s33
	v_cvt_f32_u32_e32 v1, s2
	s_sub_i32 s5, 0, s2
	s_delay_alu instid0(VALU_DEP_1) | instskip(SKIP_2) | instid1(VALU_DEP_1)
	v_rcp_iflag_f32_e32 v1, v1
	s_waitcnt_depctr 0xfff
	v_mul_f32_e32 v1, 0x4f7ffffe, v1
	v_cvt_u32_f32_e32 v1, v1
	s_delay_alu instid0(VALU_DEP_1) | instskip(NEXT) | instid1(VALU_DEP_1)
	v_readfirstlane_b32 s4, v1
	s_mul_i32 s5, s5, s4
	s_delay_alu instid0(SALU_CYCLE_1) | instskip(NEXT) | instid1(SALU_CYCLE_1)
	s_mul_hi_u32 s5, s4, s5
	s_add_i32 s7, s4, s5
	s_load_b64 s[4:5], s[0:1], 0xc8
	s_mul_hi_u32 s7, s6, s7
	s_delay_alu instid0(SALU_CYCLE_1) | instskip(NEXT) | instid1(SALU_CYCLE_1)
	s_mul_i32 s7, s7, s2
	s_sub_i32 s6, s6, s7
	s_ashr_i32 s7, s33, 31
	s_sub_i32 s11, s6, s2
	s_cmp_ge_u32 s6, s2
	s_cselect_b32 s6, s11, s6
	s_delay_alu instid0(SALU_CYCLE_1) | instskip(SKIP_2) | instid1(SALU_CYCLE_1)
	s_sub_i32 s11, s6, s2
	s_cmp_ge_u32 s6, s2
	s_cselect_b32 s2, s11, s6
	s_xor_b32 s2, s2, s7
	s_delay_alu instid0(SALU_CYCLE_1)
	s_sub_i32 s2, s2, s7
	s_waitcnt lgkmcnt(0)
	s_mul_i32 s5, s2, s5
	s_mul_hi_u32 s6, s2, s4
	s_ashr_i32 s7, s2, 31
	s_add_i32 s5, s6, s5
	s_mul_i32 s7, s7, s4
	s_mul_i32 s2, s2, s4
	s_add_i32 s5, s5, s7
	s_add_u32 s40, s22, s2
	s_addc_u32 s41, s23, s5
.LBB5_2:
	v_bfe_u32 v1, v0, 10, 10
	s_load_b128 s[4:7], s[0:1], 0x70
	s_delay_alu instid0(VALU_DEP_1) | instskip(SKIP_1) | instid1(VALU_DEP_2)
	v_lshrrev_b32_e32 v2, 2, v1
	v_lshlrev_b32_e32 v6, 1, v1
	v_lshl_add_u32 v100, s13, 1, v2
	s_delay_alu instid0(VALU_DEP_2) | instskip(SKIP_1) | instid1(VALU_DEP_3)
	v_and_b32_e32 v110, 6, v6
	v_or_b32_e32 v35, 1, v6
	v_mul_hi_u32 v2, s36, v100
	s_waitcnt lgkmcnt(0)
	s_mul_i32 s2, s33, s6
	s_mul_i32 s6, s15, s5
	s_delay_alu instid0(VALU_DEP_1)
	v_add_nc_u32_e32 v2, v100, v2
	s_ashr_i32 s7, s2, 31
	s_add_u32 s2, s16, s2
	s_addc_u32 s7, s17, s7
	s_ashr_i32 s11, s6, 31
	v_lshrrev_b32_e32 v2, s37, v2
	s_add_u32 s2, s2, s6
	s_addc_u32 s6, s7, s11
	s_ashr_i32 s7, s4, 31
	s_delay_alu instid0(SALU_CYCLE_1) | instskip(SKIP_2) | instid1(SALU_CYCLE_1)
	v_alignbit_b32 v5, s7, s4, 2
	v_mul_lo_u32 v2, v2, s38
	s_ashr_i32 s4, s5, 31
	v_alignbit_b32 v10, s4, s5, 2
	s_lshr_b32 s5, s7, 2
	s_lshr_b32 s4, s4, 2
	s_cmp_eq_u64 s[26:27], 0
	s_delay_alu instid0(VALU_DEP_2) | instskip(NEXT) | instid1(VALU_DEP_1)
	v_sub_nc_u32_e32 v2, v100, v2
	v_mad_u64_u32 v[3:4], null, v5, v2, 0
	v_mad_u64_u32 v[5:6], null, v10, v110, 0
	s_delay_alu instid0(VALU_DEP_1) | instskip(SKIP_3) | instid1(VALU_DEP_3)
	v_mad_u64_u32 v[7:8], null, s5, v2, v[4:5]
	v_and_b32_e32 v13, 7, v35
	v_lshlrev_b32_e32 v35, 8, v35
	s_mov_b32 s5, 0
	v_mov_b32_e32 v4, v7
	s_delay_alu instid0(VALU_DEP_3) | instskip(SKIP_2) | instid1(VALU_DEP_4)
	v_mad_u64_u32 v[8:9], null, v10, v13, 0
	v_and_b32_e32 v101, 0x3ff, v0
	v_mad_u64_u32 v[10:11], null, s4, v110, v[6:7]
	v_lshlrev_b64 v[3:4], 2, v[3:4]
	s_delay_alu instid0(VALU_DEP_3) | instskip(SKIP_1) | instid1(VALU_DEP_4)
	v_dual_mov_b32 v0, v9 :: v_dual_lshlrev_b32 v7, 4, v101
	v_lshlrev_b32_e32 v36, 3, v101
	v_mov_b32_e32 v6, v10
	s_delay_alu instid0(VALU_DEP_3) | instskip(SKIP_2) | instid1(VALU_DEP_4)
	v_mad_u64_u32 v[11:12], null, s4, v13, v[0:1]
	v_add_co_u32 v0, vcc_lo, s2, v3
	v_add_co_ci_u32_e32 v9, vcc_lo, s6, v4, vcc_lo
	v_lshlrev_b64 v[3:4], 2, v[5:6]
	s_delay_alu instid0(VALU_DEP_3) | instskip(NEXT) | instid1(VALU_DEP_3)
	v_add_co_u32 v0, vcc_lo, v0, v7
	v_add_co_ci_u32_e32 v13, vcc_lo, 0, v9, vcc_lo
	v_mov_b32_e32 v9, v11
	s_delay_alu instid0(VALU_DEP_3) | instskip(NEXT) | instid1(VALU_DEP_3)
	v_add_co_u32 v15, vcc_lo, v0, v3
	v_add_co_ci_u32_e32 v16, vcc_lo, v13, v4, vcc_lo
	s_delay_alu instid0(VALU_DEP_3)
	v_lshlrev_b64 v[11:12], 2, v[8:9]
	s_clause 0x1
	global_load_b128 v[3:6], v[15:16], off
	global_load_b128 v[7:10], v[15:16], off offset:512
	s_load_b32 s2, s[0:1], 0x40
	v_lshl_or_b32 v51, v1, 11, v36
	v_add_co_u32 v31, vcc_lo, v0, v11
	v_add_co_ci_u32_e32 v32, vcc_lo, v13, v12, vcc_lo
	s_clause 0x5
	global_load_b128 v[11:14], v[15:16], off offset:1024
	global_load_b128 v[15:18], v[15:16], off offset:1536
	global_load_b128 v[19:22], v[31:32], off
	global_load_b128 v[23:26], v[31:32], off offset:512
	global_load_b128 v[27:30], v[31:32], off offset:1024
	global_load_b128 v[31:34], v[31:32], off offset:1536
	v_lshlrev_b32_e32 v0, 1, v101
	s_delay_alu instid0(VALU_DEP_1)
	v_add_lshl_u32 v0, v35, v0, 2
	s_waitcnt vmcnt(7) lgkmcnt(0)
	v_fma_mixlo_f16 v35, v3, s2, 0
	v_fma_mixlo_f16 v36, v5, s2, 0
	s_waitcnt vmcnt(6)
	v_fma_mixlo_f16 v37, v7, s2, 0
	v_fma_mixlo_f16 v38, v9, s2, 0
	s_waitcnt vmcnt(5)
	;; [unrolled: 3-line block ×7, first 2 shown]
	v_fma_mixlo_f16 v49, v31, s2, 0
	v_fma_mixlo_f16 v50, v33, s2, 0
	v_fma_mixhi_f16 v36, v6, s2, 0
	v_fma_mixhi_f16 v35, v4, s2, 0
	;; [unrolled: 1-line block ×16, first 2 shown]
	ds_store_2addr_b64 v51, v[35:36], v[37:38] offset1:32
	ds_store_2addr_b64 v51, v[39:40], v[41:42] offset0:64 offset1:96
	ds_store_2addr_b64 v0, v[43:44], v[45:46] offset1:32
	ds_store_2addr_b64 v0, v[47:48], v[49:50] offset0:64 offset1:96
	s_waitcnt lgkmcnt(0)
	s_barrier
	buffer_gl0_inv
	s_cbranch_scc1 .LBB5_4
; %bb.3:
	s_load_b32 s2, s[0:1], 0xd0
	s_waitcnt lgkmcnt(0)
	s_mul_i32 s2, s2, s33
	s_delay_alu instid0(SALU_CYCLE_1) | instskip(NEXT) | instid1(SALU_CYCLE_1)
	s_add_i32 s4, s2, s13
	s_lshl_b64 s[4:5], s[4:5], 2
	s_delay_alu instid0(SALU_CYCLE_1)
	s_add_u32 s4, s26, s4
	s_addc_u32 s5, s27, s5
	s_load_b32 s34, s[4:5], 0x0
.LBB5_4:
	v_lshlrev_b32_e32 v109, 2, v101
	v_mbcnt_lo_u32_b32 v111, -1, 0
	s_lshl_b32 s13, s14, 6
	s_waitcnt lgkmcnt(0)
	s_cmp_lt_i32 s13, s34
	s_cbranch_scc1 .LBB5_6
; %bb.5:
	v_mbcnt_lo_u32_b32 v3, -1, 0
	v_mov_b32_e32 v0, 32
	s_mov_b32 s2, 0
	s_mov_b32 s4, 0xfeffffff
	s_delay_alu instid0(VALU_DEP_2)
	v_xor_b32_e32 v116, 16, v3
	v_xor_b32_e32 v115, 8, v3
	;; [unrolled: 1-line block ×5, first 2 shown]
	s_branch .LBB5_7
.LBB5_6:
	s_mov_b32 s2, -1
                                        ; implicit-def: $sgpr4
                                        ; implicit-def: $vgpr3
                                        ; implicit-def: $vgpr0
                                        ; implicit-def: $vgpr116
                                        ; implicit-def: $vgpr115
                                        ; implicit-def: $vgpr114
                                        ; implicit-def: $vgpr113
                                        ; implicit-def: $vgpr112
.LBB5_7:
	s_delay_alu instid0(SALU_CYCLE_1) | instskip(SKIP_2) | instid1(VALU_DEP_3)
	v_cndmask_b32_e64 v4, 0, 1, s2
	v_dual_mov_b32 v108, s4 :: v_dual_mov_b32 v117, s2
	v_dual_mov_b32 v24, s2 :: v_dual_mov_b32 v107, s4
	v_cmp_ne_u32_e32 vcc_lo, 1, v4
	v_dual_mov_b32 v118, s2 :: v_dual_mov_b32 v29, s2
	v_dual_mov_b32 v26, s2 :: v_dual_mov_b32 v25, s2
	;; [unrolled: 1-line block ×8, first 2 shown]
	s_cbranch_vccnz .LBB5_11
; %bb.8:
	s_clause 0x1
	s_load_b128 s[4:7], s[0:1], 0x98
	s_load_b64 s[16:17], s[0:1], 0x8c
	s_sub_i32 s2, 0, s8
	s_abs_i32 s11, s15
	s_mul_i32 s2, s2, s10
	s_ashr_i32 s12, s15, 31
	s_mul_hi_u32 s2, s10, s2
	s_ashr_i32 s9, s9, 31
	s_add_i32 s10, s10, s2
	s_ashr_i32 s2, s3, 1
	s_mul_hi_u32 s3, s11, s10
	s_ashr_i32 s10, s33, 31
	s_load_b64 s[26:27], s[0:1], 0xa8
	s_mul_i32 s35, s3, s8
	v_lshrrev_b32_e32 v0, 3, v101
	v_dual_mov_b32 v14, 0 :: v_dual_and_b32 v9, 28, v109
	v_dual_mov_b32 v107, 0xfeffffff :: v_dual_lshlrev_b32 v122, 11, v1
	v_mov_b32_e32 v19, 0
	s_waitcnt lgkmcnt(0)
	s_ashr_i32 s22, s6, 2
	s_mul_i32 s5, s33, s5
	s_mul_hi_u32 s6, s33, s4
	s_ashr_i32 s23, s16, 2
	s_mul_i32 s16, s10, s4
	s_add_i32 s5, s6, s5
	s_mul_i32 s4, s33, s4
	s_add_i32 s5, s5, s16
	s_add_u32 s4, s18, s4
	s_addc_u32 s5, s19, s5
	s_xor_b32 s6, s12, s9
	s_sub_i32 s9, s11, s35
	s_add_i32 s11, s3, 1
	s_sub_i32 s12, s9, s8
	s_cmp_ge_u32 s9, s8
	v_mul_lo_u32 v5, s22, v1
	s_cselect_b32 s3, s11, s3
	s_cselect_b32 s9, s12, s9
	s_add_i32 s11, s3, 1
	s_cmp_ge_u32 s9, s8
	v_lshl_add_u32 v0, v1, 2, v0
	s_cselect_b32 s3, s11, s3
	v_lshlrev_b32_e32 v4, 2, v9
	s_xor_b32 s3, s3, s6
	v_ashrrev_i32_e32 v6, 31, v5
	s_sub_i32 s3, s3, s6
	v_mul_lo_u32 v3, s23, v0
	s_mul_i32 s9, s3, s17
	v_mad_u32_u24 v0, 0x90, v0, v4
	s_mul_i32 s8, s33, s27
	s_mul_hi_u32 s6, s33, s26
	s_ashr_i32 s11, s9, 31
	s_add_u32 s18, s4, s9
	s_mul_i32 s10, s10, s26
	s_addc_u32 s19, s5, s11
	s_add_i32 s4, s6, s8
	s_mul_i32 s5, s33, s26
	v_lshlrev_b64 v[5:6], 2, v[5:6]
	s_add_i32 s4, s4, s10
	s_mul_i32 s3, s3, s7
	v_dual_mov_b32 v16, 0 :: v_dual_add_nc_u32 v119, 0x4000, v0
	v_dual_mov_b32 v15, 0 :: v_dual_add_nc_u32 v120, 0x5200, v0
	v_dual_mov_b32 v17, 0 :: v_dual_lshlrev_b32 v0, 2, v109
	s_add_u32 s5, s20, s5
	v_lshl_add_u32 v7, s23, 5, v3
	s_addc_u32 s4, s21, s4
	s_ashr_i32 s6, s3, 31
	s_add_u32 s3, s5, s3
	s_addc_u32 s4, s4, s6
	v_lshl_add_u32 v10, v1, 10, v0
	v_lshl_add_u32 v123, v1, 8, 0x6400
	v_add_co_u32 v1, vcc_lo, s3, v5
	v_ashrrev_i32_e32 v4, 31, v3
	v_ashrrev_i32_e32 v8, 31, v7
	v_mad_u64_u32 v[102:103], null, v2, s2, v[101:102]
	v_add_co_ci_u32_e32 v2, vcc_lo, s4, v6, vcc_lo
	v_lshl_or_b32 v126, v101, 3, 0x4000
	v_add_co_u32 v127, vcc_lo, v1, v0
	v_lshlrev_b64 v[103:104], 2, v[3:4]
	v_lshlrev_b64 v[105:106], 2, v[7:8]
	v_mul_u32_u24_e32 v121, 0x90, v101
	v_dual_mov_b32 v21, 0 :: v_dual_add_nc_u32 v124, 0x4000, v10
	v_dual_mov_b32 v20, 0 :: v_dual_add_nc_u32 v125, 0x4200, v10
	v_add_co_ci_u32_e32 v128, vcc_lo, 0, v2, vcc_lo
	v_dual_mov_b32 v18, 0 :: v_dual_lshlrev_b32 v129, 2, v9
	v_xor_b32_e32 v116, 16, v111
	v_xor_b32_e32 v115, 8, v111
	;; [unrolled: 1-line block ×5, first 2 shown]
	v_dual_mov_b32 v23, 0 :: v_dual_add_nc_u32 v130, v123, v109
	v_dual_mov_b32 v22, 0 :: v_dual_add_nc_u32 v131, 0x800, v126
	;; [unrolled: 1-line block ×4, first 2 shown]
	v_dual_mov_b32 v25, 0 :: v_dual_mov_b32 v26, 0
	v_dual_mov_b32 v29, 0 :: v_dual_mov_b32 v24, 0
	;; [unrolled: 1-line block ×3, first 2 shown]
	v_mov_b32_e32 v118, 0
	s_add_u32 s16, s0, 0xd0
	s_addc_u32 s17, s1, 0
.LBB5_9:                                ; =>This Inner Loop Header: Depth=1
	s_mul_hi_i32 s7, s13, s23
	s_mul_i32 s6, s13, s23
	v_cmp_gt_i32_e64 s4, 32, v113
	v_cmp_gt_i32_e64 s5, 32, v112
	;; [unrolled: 1-line block ×4, first 2 shown]
	v_cmp_gt_i32_e32 vcc_lo, 32, v116
	s_lshl_b64 s[10:11], s[6:7], 2
	s_mul_hi_i32 s9, s13, s22
	s_mul_i32 s8, s13, s22
	s_add_u32 s7, s18, s10
	v_cndmask_b32_e64 v5, v111, v113, s4
	v_cndmask_b32_e64 v8, v111, v112, s5
	s_addc_u32 s6, s19, s11
	s_lshl_b64 s[4:5], s[8:9], 2
	s_or_b32 s8, s13, 8
	v_cndmask_b32_e64 v3, v111, v115, s2
	v_cndmask_b32_e64 v4, v111, v114, s3
	v_add_co_u32 v11, s2, s7, v103
	s_delay_alu instid0(VALU_DEP_3)
	v_dual_cndmask_b32 v2, v111, v116 :: v_dual_lshlrev_b32 v39, 2, v3
	v_add_co_u32 v10, vcc_lo, s7, v105
	s_mul_hi_i32 s27, s8, s22
	s_mul_i32 s26, s8, s22
	v_add_co_ci_u32_e64 v13, s2, s6, v104, s2
	v_add_co_u32 v6, s3, v127, s4
	v_add_co_ci_u32_e32 v41, vcc_lo, s6, v106, vcc_lo
	s_lshl_b64 s[6:7], s[26:27], 2
	v_add_co_ci_u32_e64 v7, vcc_lo, s5, v128, s3
	v_lshlrev_b32_e32 v38, 2, v4
	v_add_co_u32 v4, s2, v127, s6
	v_add_co_u32 v12, s6, v11, v129
	v_add_co_u32 v10, vcc_lo, v10, v129
	v_lshlrev_b32_e32 v37, 2, v5
	v_add_co_ci_u32_e64 v5, s2, s7, v128, s2
	v_add_co_ci_u32_e64 v13, s2, 0, v13, s6
	v_add_co_ci_u32_e32 v11, vcc_lo, 0, v41, vcc_lo
	s_clause 0x1
	global_load_b128 v[41:44], v[12:13], off
	global_load_b128 v[50:53], v[10:11], off
	v_dual_mov_b32 v32, 0 :: v_dual_mov_b32 v33, 0
	v_dual_mov_b32 v34, 0 :: v_dual_mov_b32 v35, 0
	s_or_b32 s9, s13, 16
	s_or_b32 s10, s13, 24
	;; [unrolled: 1-line block ×3, first 2 shown]
	s_mul_hi_i32 s37, s9, s22
	s_mul_i32 s36, s9, s22
	s_mul_hi_i32 s9, s10, s22
	s_mul_i32 s8, s10, s22
	s_mul_hi_i32 s11, s12, s22
	s_mul_i32 s10, s12, s22
	v_lshlrev_b32_e32 v36, 2, v8
	s_lshl_b64 s[10:11], s[10:11], 2
	v_dual_mov_b32 v30, v108 :: v_dual_mov_b32 v31, v107
	v_add_co_u32 v48, s5, v127, s10
	s_delay_alu instid0(VALU_DEP_1)
	v_add_co_ci_u32_e64 v49, vcc_lo, s11, v128, s5
	s_lshl_b64 s[26:27], s[36:37], 2
	s_lshl_b64 s[8:9], s[8:9], 2
	s_or_b32 s20, s13, 40
	s_waitcnt vmcnt(1)
	ds_store_b128 v119, v[41:44]
	s_waitcnt vmcnt(0)
	ds_store_b128 v120, v[50:53]
	s_waitcnt lgkmcnt(0)
	s_barrier
	buffer_gl0_inv
	ds_load_b128 v[41:44], v121 offset:16384
	ds_load_b128 v[50:53], v122
	ds_load_b128 v[54:57], v122 offset:1024
	ds_load_b128 v[58:61], v121 offset:20992
	s_waitcnt lgkmcnt(2)
	;;#ASMSTART
	v_dot2_f32_f16 v32, v41, v50, v32
	;;#ASMEND
	;;#ASMSTART
	v_dot2_f32_f16 v32, v42, v51, v32
	;;#ASMEND
	;;#ASMSTART
	v_dot2_f32_f16 v32, v43, v52, v32
	;;#ASMEND
	;;#ASMSTART
	v_dot2_f32_f16 v32, v44, v53, v32
	;;#ASMEND
	s_waitcnt lgkmcnt(1)
	;;#ASMSTART
	v_dot2_f32_f16 v33, v41, v54, v33
	;;#ASMEND
	;;#ASMSTART
	v_dot2_f32_f16 v33, v42, v55, v33
	;;#ASMEND
	;;#ASMSTART
	v_dot2_f32_f16 v33, v43, v56, v33
	;;#ASMEND
	;;#ASMSTART
	v_dot2_f32_f16 v33, v44, v57, v33
	;;#ASMEND
	s_waitcnt lgkmcnt(0)
	;;#ASMSTART
	v_dot2_f32_f16 v34, v58, v50, v34
	;;#ASMEND
	;;#ASMSTART
	v_dot2_f32_f16 v34, v59, v51, v34
	;;#ASMEND
	;;#ASMSTART
	v_dot2_f32_f16 v34, v60, v52, v34
	;;#ASMEND
	;;#ASMSTART
	v_dot2_f32_f16 v34, v61, v53, v34
	;;#ASMEND
	;;#ASMSTART
	v_dot2_f32_f16 v35, v58, v54, v35
	;;#ASMEND
	;;#ASMSTART
	v_dot2_f32_f16 v35, v59, v55, v35
	;;#ASMEND
	;;#ASMSTART
	v_dot2_f32_f16 v35, v60, v56, v35
	;;#ASMEND
	;;#ASMSTART
	v_dot2_f32_f16 v35, v61, v57, v35
	;;#ASMEND
	ds_load_b128 v[41:44], v121 offset:16400
	ds_load_b128 v[50:53], v122 offset:16
	ds_load_b128 v[54:57], v122 offset:1040
	ds_load_b128 v[58:61], v121 offset:21008
	s_waitcnt lgkmcnt(2)
	;;#ASMSTART
	v_dot2_f32_f16 v32, v41, v50, v32
	;;#ASMEND
	;;#ASMSTART
	v_dot2_f32_f16 v32, v42, v51, v32
	;;#ASMEND
	;;#ASMSTART
	v_dot2_f32_f16 v32, v43, v52, v32
	;;#ASMEND
	;;#ASMSTART
	v_dot2_f32_f16 v32, v44, v53, v32
	;;#ASMEND
	s_waitcnt lgkmcnt(1)
	;;#ASMSTART
	v_dot2_f32_f16 v33, v41, v54, v33
	;;#ASMEND
	;;#ASMSTART
	v_dot2_f32_f16 v33, v42, v55, v33
	;;#ASMEND
	;;#ASMSTART
	v_dot2_f32_f16 v33, v43, v56, v33
	;;#ASMEND
	;;#ASMSTART
	v_dot2_f32_f16 v33, v44, v57, v33
	;;#ASMEND
	s_waitcnt lgkmcnt(0)
	;;#ASMSTART
	v_dot2_f32_f16 v34, v58, v50, v34
	;;#ASMEND
	;;#ASMSTART
	v_dot2_f32_f16 v34, v59, v51, v34
	;;#ASMEND
	;;#ASMSTART
	v_dot2_f32_f16 v34, v60, v52, v34
	;;#ASMEND
	;;#ASMSTART
	v_dot2_f32_f16 v34, v61, v53, v34
	;;#ASMEND
	;;#ASMSTART
	v_dot2_f32_f16 v35, v58, v54, v35
	;;#ASMEND
	;;#ASMSTART
	v_dot2_f32_f16 v35, v59, v55, v35
	;;#ASMEND
	;;#ASMSTART
	v_dot2_f32_f16 v35, v60, v56, v35
	;;#ASMEND
	;;#ASMSTART
	v_dot2_f32_f16 v35, v61, v57, v35
	;;#ASMEND
	ds_load_b128 v[41:44], v121 offset:16416
	ds_load_b128 v[50:53], v122 offset:32
	;; [unrolled: 55-line block ×7, first 2 shown]
	ds_load_b128 v[54:57], v122 offset:1136
	ds_load_b128 v[58:61], v121 offset:21104
	s_waitcnt lgkmcnt(2)
	;;#ASMSTART
	v_dot2_f32_f16 v32, v41, v50, v32
	;;#ASMEND
	;;#ASMSTART
	v_dot2_f32_f16 v32, v42, v51, v32
	;;#ASMEND
	;;#ASMSTART
	v_dot2_f32_f16 v32, v43, v52, v32
	;;#ASMEND
	;;#ASMSTART
	v_dot2_f32_f16 v32, v44, v53, v32
	;;#ASMEND
	s_waitcnt lgkmcnt(1)
	;;#ASMSTART
	v_dot2_f32_f16 v33, v41, v54, v33
	;;#ASMEND
	;;#ASMSTART
	v_dot2_f32_f16 v33, v42, v55, v33
	;;#ASMEND
	;;#ASMSTART
	v_dot2_f32_f16 v33, v43, v56, v33
	;;#ASMEND
	;;#ASMSTART
	v_dot2_f32_f16 v33, v44, v57, v33
	;;#ASMEND
	s_waitcnt lgkmcnt(0)
	;;#ASMSTART
	v_dot2_f32_f16 v34, v58, v50, v34
	;;#ASMEND
	;;#ASMSTART
	v_dot2_f32_f16 v34, v59, v51, v34
	;;#ASMEND
	;;#ASMSTART
	v_dot2_f32_f16 v34, v60, v52, v34
	;;#ASMEND
	;;#ASMSTART
	v_dot2_f32_f16 v34, v61, v53, v34
	;;#ASMEND
	;;#ASMSTART
	v_dot2_f32_f16 v35, v58, v54, v35
	;;#ASMEND
	;;#ASMSTART
	v_dot2_f32_f16 v35, v59, v55, v35
	;;#ASMEND
	;; [unrolled: 3-line block ×4, first 2 shown]
	s_barrier
	buffer_gl0_inv
	s_clause 0x1
	global_load_b128 v[41:44], v[12:13], off offset:128
	global_load_b128 v[50:53], v[10:11], off offset:128
	s_waitcnt vmcnt(1)
	ds_store_b128 v119, v[41:44]
	s_waitcnt vmcnt(0)
	ds_store_b128 v120, v[50:53]
	s_waitcnt lgkmcnt(0)
	s_barrier
	buffer_gl0_inv
	ds_load_b128 v[41:44], v121 offset:16384
	ds_load_b128 v[50:53], v122 offset:128
	ds_load_b128 v[54:57], v122 offset:1152
	ds_load_b128 v[58:61], v121 offset:20992
	s_waitcnt lgkmcnt(2)
	;;#ASMSTART
	v_dot2_f32_f16 v32, v41, v50, v32
	;;#ASMEND
	;;#ASMSTART
	v_dot2_f32_f16 v32, v42, v51, v32
	;;#ASMEND
	;;#ASMSTART
	v_dot2_f32_f16 v32, v43, v52, v32
	;;#ASMEND
	;;#ASMSTART
	v_dot2_f32_f16 v32, v44, v53, v32
	;;#ASMEND
	s_waitcnt lgkmcnt(1)
	;;#ASMSTART
	v_dot2_f32_f16 v33, v41, v54, v33
	;;#ASMEND
	;;#ASMSTART
	v_dot2_f32_f16 v33, v42, v55, v33
	;;#ASMEND
	;;#ASMSTART
	v_dot2_f32_f16 v33, v43, v56, v33
	;;#ASMEND
	;;#ASMSTART
	v_dot2_f32_f16 v33, v44, v57, v33
	;;#ASMEND
	s_waitcnt lgkmcnt(0)
	;;#ASMSTART
	v_dot2_f32_f16 v34, v58, v50, v34
	;;#ASMEND
	;;#ASMSTART
	v_dot2_f32_f16 v34, v59, v51, v34
	;;#ASMEND
	;;#ASMSTART
	v_dot2_f32_f16 v34, v60, v52, v34
	;;#ASMEND
	;;#ASMSTART
	v_dot2_f32_f16 v34, v61, v53, v34
	;;#ASMEND
	;;#ASMSTART
	v_dot2_f32_f16 v35, v58, v54, v35
	;;#ASMEND
	;;#ASMSTART
	v_dot2_f32_f16 v35, v59, v55, v35
	;;#ASMEND
	;;#ASMSTART
	v_dot2_f32_f16 v35, v60, v56, v35
	;;#ASMEND
	;;#ASMSTART
	v_dot2_f32_f16 v35, v61, v57, v35
	;;#ASMEND
	ds_load_b128 v[41:44], v121 offset:16400
	ds_load_b128 v[50:53], v122 offset:144
	ds_load_b128 v[54:57], v122 offset:1168
	ds_load_b128 v[58:61], v121 offset:21008
	s_waitcnt lgkmcnt(2)
	;;#ASMSTART
	v_dot2_f32_f16 v32, v41, v50, v32
	;;#ASMEND
	;;#ASMSTART
	v_dot2_f32_f16 v32, v42, v51, v32
	;;#ASMEND
	;;#ASMSTART
	v_dot2_f32_f16 v32, v43, v52, v32
	;;#ASMEND
	;;#ASMSTART
	v_dot2_f32_f16 v32, v44, v53, v32
	;;#ASMEND
	s_waitcnt lgkmcnt(1)
	;;#ASMSTART
	v_dot2_f32_f16 v33, v41, v54, v33
	;;#ASMEND
	;;#ASMSTART
	v_dot2_f32_f16 v33, v42, v55, v33
	;;#ASMEND
	;;#ASMSTART
	v_dot2_f32_f16 v33, v43, v56, v33
	;;#ASMEND
	;;#ASMSTART
	v_dot2_f32_f16 v33, v44, v57, v33
	;;#ASMEND
	s_waitcnt lgkmcnt(0)
	;;#ASMSTART
	v_dot2_f32_f16 v34, v58, v50, v34
	;;#ASMEND
	;;#ASMSTART
	v_dot2_f32_f16 v34, v59, v51, v34
	;;#ASMEND
	;;#ASMSTART
	v_dot2_f32_f16 v34, v60, v52, v34
	;;#ASMEND
	;;#ASMSTART
	v_dot2_f32_f16 v34, v61, v53, v34
	;;#ASMEND
	;;#ASMSTART
	v_dot2_f32_f16 v35, v58, v54, v35
	;;#ASMEND
	;;#ASMSTART
	v_dot2_f32_f16 v35, v59, v55, v35
	;;#ASMEND
	;;#ASMSTART
	v_dot2_f32_f16 v35, v60, v56, v35
	;;#ASMEND
	;;#ASMSTART
	v_dot2_f32_f16 v35, v61, v57, v35
	;;#ASMEND
	;; [unrolled: 55-line block ×8, first 2 shown]
	s_barrier
	buffer_gl0_inv
	s_clause 0x1
	global_load_b128 v[41:44], v[12:13], off offset:256
	global_load_b128 v[50:53], v[10:11], off offset:256
	s_waitcnt vmcnt(1)
	ds_store_b128 v119, v[41:44]
	s_waitcnt vmcnt(0)
	ds_store_b128 v120, v[50:53]
	s_waitcnt lgkmcnt(0)
	s_barrier
	buffer_gl0_inv
	ds_load_b128 v[41:44], v121 offset:16384
	ds_load_b128 v[50:53], v122 offset:256
	ds_load_b128 v[54:57], v122 offset:1280
	ds_load_b128 v[58:61], v121 offset:20992
	s_waitcnt lgkmcnt(2)
	;;#ASMSTART
	v_dot2_f32_f16 v32, v41, v50, v32
	;;#ASMEND
	;;#ASMSTART
	v_dot2_f32_f16 v32, v42, v51, v32
	;;#ASMEND
	;;#ASMSTART
	v_dot2_f32_f16 v32, v43, v52, v32
	;;#ASMEND
	;;#ASMSTART
	v_dot2_f32_f16 v32, v44, v53, v32
	;;#ASMEND
	s_waitcnt lgkmcnt(1)
	;;#ASMSTART
	v_dot2_f32_f16 v33, v41, v54, v33
	;;#ASMEND
	;;#ASMSTART
	v_dot2_f32_f16 v33, v42, v55, v33
	;;#ASMEND
	;;#ASMSTART
	v_dot2_f32_f16 v33, v43, v56, v33
	;;#ASMEND
	;;#ASMSTART
	v_dot2_f32_f16 v33, v44, v57, v33
	;;#ASMEND
	s_waitcnt lgkmcnt(0)
	;;#ASMSTART
	v_dot2_f32_f16 v34, v58, v50, v34
	;;#ASMEND
	;;#ASMSTART
	v_dot2_f32_f16 v34, v59, v51, v34
	;;#ASMEND
	;;#ASMSTART
	v_dot2_f32_f16 v34, v60, v52, v34
	;;#ASMEND
	;;#ASMSTART
	v_dot2_f32_f16 v34, v61, v53, v34
	;;#ASMEND
	;;#ASMSTART
	v_dot2_f32_f16 v35, v58, v54, v35
	;;#ASMEND
	;;#ASMSTART
	v_dot2_f32_f16 v35, v59, v55, v35
	;;#ASMEND
	;;#ASMSTART
	v_dot2_f32_f16 v35, v60, v56, v35
	;;#ASMEND
	;;#ASMSTART
	v_dot2_f32_f16 v35, v61, v57, v35
	;;#ASMEND
	ds_load_b128 v[41:44], v121 offset:16400
	ds_load_b128 v[50:53], v122 offset:272
	ds_load_b128 v[54:57], v122 offset:1296
	ds_load_b128 v[58:61], v121 offset:21008
	s_waitcnt lgkmcnt(2)
	;;#ASMSTART
	v_dot2_f32_f16 v32, v41, v50, v32
	;;#ASMEND
	;;#ASMSTART
	v_dot2_f32_f16 v32, v42, v51, v32
	;;#ASMEND
	;;#ASMSTART
	v_dot2_f32_f16 v32, v43, v52, v32
	;;#ASMEND
	;;#ASMSTART
	v_dot2_f32_f16 v32, v44, v53, v32
	;;#ASMEND
	s_waitcnt lgkmcnt(1)
	;;#ASMSTART
	v_dot2_f32_f16 v33, v41, v54, v33
	;;#ASMEND
	;;#ASMSTART
	v_dot2_f32_f16 v33, v42, v55, v33
	;;#ASMEND
	;;#ASMSTART
	v_dot2_f32_f16 v33, v43, v56, v33
	;;#ASMEND
	;;#ASMSTART
	v_dot2_f32_f16 v33, v44, v57, v33
	;;#ASMEND
	s_waitcnt lgkmcnt(0)
	;;#ASMSTART
	v_dot2_f32_f16 v34, v58, v50, v34
	;;#ASMEND
	;;#ASMSTART
	v_dot2_f32_f16 v34, v59, v51, v34
	;;#ASMEND
	;;#ASMSTART
	v_dot2_f32_f16 v34, v60, v52, v34
	;;#ASMEND
	;;#ASMSTART
	v_dot2_f32_f16 v34, v61, v53, v34
	;;#ASMEND
	;;#ASMSTART
	v_dot2_f32_f16 v35, v58, v54, v35
	;;#ASMEND
	;;#ASMSTART
	v_dot2_f32_f16 v35, v59, v55, v35
	;;#ASMEND
	;;#ASMSTART
	v_dot2_f32_f16 v35, v60, v56, v35
	;;#ASMEND
	;;#ASMSTART
	v_dot2_f32_f16 v35, v61, v57, v35
	;;#ASMEND
	;; [unrolled: 55-line block ×8, first 2 shown]
	s_barrier
	buffer_gl0_inv
	s_clause 0x1
	global_load_b128 v[41:44], v[12:13], off offset:384
	global_load_b128 v[50:53], v[10:11], off offset:384
	s_waitcnt vmcnt(1)
	ds_store_b128 v119, v[41:44]
	s_waitcnt vmcnt(0)
	ds_store_b128 v120, v[50:53]
	s_waitcnt lgkmcnt(0)
	s_barrier
	buffer_gl0_inv
	ds_load_b128 v[41:44], v121 offset:16384
	ds_load_b128 v[50:53], v122 offset:384
	ds_load_b128 v[54:57], v122 offset:1408
	ds_load_b128 v[58:61], v121 offset:20992
	s_waitcnt lgkmcnt(2)
	;;#ASMSTART
	v_dot2_f32_f16 v32, v41, v50, v32
	;;#ASMEND
	;;#ASMSTART
	v_dot2_f32_f16 v32, v42, v51, v32
	;;#ASMEND
	;;#ASMSTART
	v_dot2_f32_f16 v32, v43, v52, v32
	;;#ASMEND
	;;#ASMSTART
	v_dot2_f32_f16 v32, v44, v53, v32
	;;#ASMEND
	s_waitcnt lgkmcnt(1)
	;;#ASMSTART
	v_dot2_f32_f16 v33, v41, v54, v33
	;;#ASMEND
	;;#ASMSTART
	v_dot2_f32_f16 v33, v42, v55, v33
	;;#ASMEND
	;;#ASMSTART
	v_dot2_f32_f16 v33, v43, v56, v33
	;;#ASMEND
	;;#ASMSTART
	v_dot2_f32_f16 v33, v44, v57, v33
	;;#ASMEND
	s_waitcnt lgkmcnt(0)
	;;#ASMSTART
	v_dot2_f32_f16 v34, v58, v50, v34
	;;#ASMEND
	;;#ASMSTART
	v_dot2_f32_f16 v34, v59, v51, v34
	;;#ASMEND
	;;#ASMSTART
	v_dot2_f32_f16 v34, v60, v52, v34
	;;#ASMEND
	;;#ASMSTART
	v_dot2_f32_f16 v34, v61, v53, v34
	;;#ASMEND
	;;#ASMSTART
	v_dot2_f32_f16 v35, v58, v54, v35
	;;#ASMEND
	;;#ASMSTART
	v_dot2_f32_f16 v35, v59, v55, v35
	;;#ASMEND
	;;#ASMSTART
	v_dot2_f32_f16 v35, v60, v56, v35
	;;#ASMEND
	;;#ASMSTART
	v_dot2_f32_f16 v35, v61, v57, v35
	;;#ASMEND
	ds_load_b128 v[41:44], v121 offset:16400
	ds_load_b128 v[50:53], v122 offset:400
	ds_load_b128 v[54:57], v122 offset:1424
	ds_load_b128 v[58:61], v121 offset:21008
	s_waitcnt lgkmcnt(2)
	;;#ASMSTART
	v_dot2_f32_f16 v32, v41, v50, v32
	;;#ASMEND
	;;#ASMSTART
	v_dot2_f32_f16 v32, v42, v51, v32
	;;#ASMEND
	;;#ASMSTART
	v_dot2_f32_f16 v32, v43, v52, v32
	;;#ASMEND
	;;#ASMSTART
	v_dot2_f32_f16 v32, v44, v53, v32
	;;#ASMEND
	s_waitcnt lgkmcnt(1)
	;;#ASMSTART
	v_dot2_f32_f16 v33, v41, v54, v33
	;;#ASMEND
	;;#ASMSTART
	v_dot2_f32_f16 v33, v42, v55, v33
	;;#ASMEND
	;;#ASMSTART
	v_dot2_f32_f16 v33, v43, v56, v33
	;;#ASMEND
	;;#ASMSTART
	v_dot2_f32_f16 v33, v44, v57, v33
	;;#ASMEND
	s_waitcnt lgkmcnt(0)
	;;#ASMSTART
	v_dot2_f32_f16 v34, v58, v50, v34
	;;#ASMEND
	;;#ASMSTART
	v_dot2_f32_f16 v34, v59, v51, v34
	;;#ASMEND
	;;#ASMSTART
	v_dot2_f32_f16 v34, v60, v52, v34
	;;#ASMEND
	;;#ASMSTART
	v_dot2_f32_f16 v34, v61, v53, v34
	;;#ASMEND
	;;#ASMSTART
	v_dot2_f32_f16 v35, v58, v54, v35
	;;#ASMEND
	;;#ASMSTART
	v_dot2_f32_f16 v35, v59, v55, v35
	;;#ASMEND
	;;#ASMSTART
	v_dot2_f32_f16 v35, v60, v56, v35
	;;#ASMEND
	;;#ASMSTART
	v_dot2_f32_f16 v35, v61, v57, v35
	;;#ASMEND
	;; [unrolled: 55-line block ×8, first 2 shown]
	s_barrier
	buffer_gl0_inv
	s_clause 0x1
	global_load_b128 v[41:44], v[12:13], off offset:512
	global_load_b128 v[50:53], v[10:11], off offset:512
	s_waitcnt vmcnt(1)
	ds_store_b128 v119, v[41:44]
	s_waitcnt vmcnt(0)
	ds_store_b128 v120, v[50:53]
	s_waitcnt lgkmcnt(0)
	s_barrier
	buffer_gl0_inv
	ds_load_b128 v[41:44], v121 offset:16384
	ds_load_b128 v[50:53], v122 offset:512
	ds_load_b128 v[54:57], v122 offset:1536
	ds_load_b128 v[58:61], v121 offset:20992
	s_waitcnt lgkmcnt(2)
	;;#ASMSTART
	v_dot2_f32_f16 v32, v41, v50, v32
	;;#ASMEND
	;;#ASMSTART
	v_dot2_f32_f16 v32, v42, v51, v32
	;;#ASMEND
	;;#ASMSTART
	v_dot2_f32_f16 v32, v43, v52, v32
	;;#ASMEND
	;;#ASMSTART
	v_dot2_f32_f16 v32, v44, v53, v32
	;;#ASMEND
	s_waitcnt lgkmcnt(1)
	;;#ASMSTART
	v_dot2_f32_f16 v33, v41, v54, v33
	;;#ASMEND
	;;#ASMSTART
	v_dot2_f32_f16 v33, v42, v55, v33
	;;#ASMEND
	;;#ASMSTART
	v_dot2_f32_f16 v33, v43, v56, v33
	;;#ASMEND
	;;#ASMSTART
	v_dot2_f32_f16 v33, v44, v57, v33
	;;#ASMEND
	s_waitcnt lgkmcnt(0)
	;;#ASMSTART
	v_dot2_f32_f16 v34, v58, v50, v34
	;;#ASMEND
	;;#ASMSTART
	v_dot2_f32_f16 v34, v59, v51, v34
	;;#ASMEND
	;;#ASMSTART
	v_dot2_f32_f16 v34, v60, v52, v34
	;;#ASMEND
	;;#ASMSTART
	v_dot2_f32_f16 v34, v61, v53, v34
	;;#ASMEND
	;;#ASMSTART
	v_dot2_f32_f16 v35, v58, v54, v35
	;;#ASMEND
	;;#ASMSTART
	v_dot2_f32_f16 v35, v59, v55, v35
	;;#ASMEND
	;;#ASMSTART
	v_dot2_f32_f16 v35, v60, v56, v35
	;;#ASMEND
	;;#ASMSTART
	v_dot2_f32_f16 v35, v61, v57, v35
	;;#ASMEND
	ds_load_b128 v[41:44], v121 offset:16400
	ds_load_b128 v[50:53], v122 offset:528
	ds_load_b128 v[54:57], v122 offset:1552
	ds_load_b128 v[58:61], v121 offset:21008
	s_waitcnt lgkmcnt(2)
	;;#ASMSTART
	v_dot2_f32_f16 v32, v41, v50, v32
	;;#ASMEND
	;;#ASMSTART
	v_dot2_f32_f16 v32, v42, v51, v32
	;;#ASMEND
	;;#ASMSTART
	v_dot2_f32_f16 v32, v43, v52, v32
	;;#ASMEND
	;;#ASMSTART
	v_dot2_f32_f16 v32, v44, v53, v32
	;;#ASMEND
	s_waitcnt lgkmcnt(1)
	;;#ASMSTART
	v_dot2_f32_f16 v33, v41, v54, v33
	;;#ASMEND
	;;#ASMSTART
	v_dot2_f32_f16 v33, v42, v55, v33
	;;#ASMEND
	;;#ASMSTART
	v_dot2_f32_f16 v33, v43, v56, v33
	;;#ASMEND
	;;#ASMSTART
	v_dot2_f32_f16 v33, v44, v57, v33
	;;#ASMEND
	s_waitcnt lgkmcnt(0)
	;;#ASMSTART
	v_dot2_f32_f16 v34, v58, v50, v34
	;;#ASMEND
	;;#ASMSTART
	v_dot2_f32_f16 v34, v59, v51, v34
	;;#ASMEND
	;;#ASMSTART
	v_dot2_f32_f16 v34, v60, v52, v34
	;;#ASMEND
	;;#ASMSTART
	v_dot2_f32_f16 v34, v61, v53, v34
	;;#ASMEND
	;;#ASMSTART
	v_dot2_f32_f16 v35, v58, v54, v35
	;;#ASMEND
	;;#ASMSTART
	v_dot2_f32_f16 v35, v59, v55, v35
	;;#ASMEND
	;;#ASMSTART
	v_dot2_f32_f16 v35, v60, v56, v35
	;;#ASMEND
	;;#ASMSTART
	v_dot2_f32_f16 v35, v61, v57, v35
	;;#ASMEND
	;; [unrolled: 55-line block ×8, first 2 shown]
	s_barrier
	buffer_gl0_inv
	s_clause 0x1
	global_load_b128 v[41:44], v[12:13], off offset:640
	global_load_b128 v[50:53], v[10:11], off offset:640
	s_waitcnt vmcnt(1)
	ds_store_b128 v119, v[41:44]
	s_waitcnt vmcnt(0)
	ds_store_b128 v120, v[50:53]
	s_waitcnt lgkmcnt(0)
	s_barrier
	buffer_gl0_inv
	ds_load_b128 v[41:44], v121 offset:16384
	ds_load_b128 v[50:53], v122 offset:640
	ds_load_b128 v[54:57], v122 offset:1664
	ds_load_b128 v[58:61], v121 offset:20992
	s_waitcnt lgkmcnt(2)
	;;#ASMSTART
	v_dot2_f32_f16 v32, v41, v50, v32
	;;#ASMEND
	;;#ASMSTART
	v_dot2_f32_f16 v32, v42, v51, v32
	;;#ASMEND
	;;#ASMSTART
	v_dot2_f32_f16 v32, v43, v52, v32
	;;#ASMEND
	;;#ASMSTART
	v_dot2_f32_f16 v32, v44, v53, v32
	;;#ASMEND
	s_waitcnt lgkmcnt(1)
	;;#ASMSTART
	v_dot2_f32_f16 v33, v41, v54, v33
	;;#ASMEND
	;;#ASMSTART
	v_dot2_f32_f16 v33, v42, v55, v33
	;;#ASMEND
	;;#ASMSTART
	v_dot2_f32_f16 v33, v43, v56, v33
	;;#ASMEND
	;;#ASMSTART
	v_dot2_f32_f16 v33, v44, v57, v33
	;;#ASMEND
	s_waitcnt lgkmcnt(0)
	;;#ASMSTART
	v_dot2_f32_f16 v34, v58, v50, v34
	;;#ASMEND
	;;#ASMSTART
	v_dot2_f32_f16 v34, v59, v51, v34
	;;#ASMEND
	;;#ASMSTART
	v_dot2_f32_f16 v34, v60, v52, v34
	;;#ASMEND
	;;#ASMSTART
	v_dot2_f32_f16 v34, v61, v53, v34
	;;#ASMEND
	;;#ASMSTART
	v_dot2_f32_f16 v35, v58, v54, v35
	;;#ASMEND
	;;#ASMSTART
	v_dot2_f32_f16 v35, v59, v55, v35
	;;#ASMEND
	;;#ASMSTART
	v_dot2_f32_f16 v35, v60, v56, v35
	;;#ASMEND
	;;#ASMSTART
	v_dot2_f32_f16 v35, v61, v57, v35
	;;#ASMEND
	ds_load_b128 v[41:44], v121 offset:16400
	ds_load_b128 v[50:53], v122 offset:656
	ds_load_b128 v[54:57], v122 offset:1680
	ds_load_b128 v[58:61], v121 offset:21008
	s_waitcnt lgkmcnt(2)
	;;#ASMSTART
	v_dot2_f32_f16 v32, v41, v50, v32
	;;#ASMEND
	;;#ASMSTART
	v_dot2_f32_f16 v32, v42, v51, v32
	;;#ASMEND
	;;#ASMSTART
	v_dot2_f32_f16 v32, v43, v52, v32
	;;#ASMEND
	;;#ASMSTART
	v_dot2_f32_f16 v32, v44, v53, v32
	;;#ASMEND
	s_waitcnt lgkmcnt(1)
	;;#ASMSTART
	v_dot2_f32_f16 v33, v41, v54, v33
	;;#ASMEND
	;;#ASMSTART
	v_dot2_f32_f16 v33, v42, v55, v33
	;;#ASMEND
	;;#ASMSTART
	v_dot2_f32_f16 v33, v43, v56, v33
	;;#ASMEND
	;;#ASMSTART
	v_dot2_f32_f16 v33, v44, v57, v33
	;;#ASMEND
	s_waitcnt lgkmcnt(0)
	;;#ASMSTART
	v_dot2_f32_f16 v34, v58, v50, v34
	;;#ASMEND
	;;#ASMSTART
	v_dot2_f32_f16 v34, v59, v51, v34
	;;#ASMEND
	;;#ASMSTART
	v_dot2_f32_f16 v34, v60, v52, v34
	;;#ASMEND
	;;#ASMSTART
	v_dot2_f32_f16 v34, v61, v53, v34
	;;#ASMEND
	;;#ASMSTART
	v_dot2_f32_f16 v35, v58, v54, v35
	;;#ASMEND
	;;#ASMSTART
	v_dot2_f32_f16 v35, v59, v55, v35
	;;#ASMEND
	;;#ASMSTART
	v_dot2_f32_f16 v35, v60, v56, v35
	;;#ASMEND
	;;#ASMSTART
	v_dot2_f32_f16 v35, v61, v57, v35
	;;#ASMEND
	;; [unrolled: 55-line block ×8, first 2 shown]
	s_barrier
	buffer_gl0_inv
	s_clause 0x1
	global_load_b128 v[41:44], v[12:13], off offset:768
	global_load_b128 v[50:53], v[10:11], off offset:768
	s_waitcnt vmcnt(1)
	ds_store_b128 v119, v[41:44]
	s_waitcnt vmcnt(0)
	ds_store_b128 v120, v[50:53]
	s_waitcnt lgkmcnt(0)
	s_barrier
	buffer_gl0_inv
	ds_load_b128 v[41:44], v121 offset:16384
	ds_load_b128 v[50:53], v122 offset:768
	ds_load_b128 v[54:57], v122 offset:1792
	ds_load_b128 v[58:61], v121 offset:20992
	s_waitcnt lgkmcnt(2)
	;;#ASMSTART
	v_dot2_f32_f16 v32, v41, v50, v32
	;;#ASMEND
	;;#ASMSTART
	v_dot2_f32_f16 v32, v42, v51, v32
	;;#ASMEND
	;;#ASMSTART
	v_dot2_f32_f16 v32, v43, v52, v32
	;;#ASMEND
	;;#ASMSTART
	v_dot2_f32_f16 v32, v44, v53, v32
	;;#ASMEND
	s_waitcnt lgkmcnt(1)
	;;#ASMSTART
	v_dot2_f32_f16 v33, v41, v54, v33
	;;#ASMEND
	;;#ASMSTART
	v_dot2_f32_f16 v33, v42, v55, v33
	;;#ASMEND
	;;#ASMSTART
	v_dot2_f32_f16 v33, v43, v56, v33
	;;#ASMEND
	;;#ASMSTART
	v_dot2_f32_f16 v33, v44, v57, v33
	;;#ASMEND
	s_waitcnt lgkmcnt(0)
	;;#ASMSTART
	v_dot2_f32_f16 v34, v58, v50, v34
	;;#ASMEND
	;;#ASMSTART
	v_dot2_f32_f16 v34, v59, v51, v34
	;;#ASMEND
	;;#ASMSTART
	v_dot2_f32_f16 v34, v60, v52, v34
	;;#ASMEND
	;;#ASMSTART
	v_dot2_f32_f16 v34, v61, v53, v34
	;;#ASMEND
	;;#ASMSTART
	v_dot2_f32_f16 v35, v58, v54, v35
	;;#ASMEND
	;;#ASMSTART
	v_dot2_f32_f16 v35, v59, v55, v35
	;;#ASMEND
	;;#ASMSTART
	v_dot2_f32_f16 v35, v60, v56, v35
	;;#ASMEND
	;;#ASMSTART
	v_dot2_f32_f16 v35, v61, v57, v35
	;;#ASMEND
	ds_load_b128 v[41:44], v121 offset:16400
	ds_load_b128 v[50:53], v122 offset:784
	ds_load_b128 v[54:57], v122 offset:1808
	ds_load_b128 v[58:61], v121 offset:21008
	s_waitcnt lgkmcnt(2)
	;;#ASMSTART
	v_dot2_f32_f16 v32, v41, v50, v32
	;;#ASMEND
	;;#ASMSTART
	v_dot2_f32_f16 v32, v42, v51, v32
	;;#ASMEND
	;;#ASMSTART
	v_dot2_f32_f16 v32, v43, v52, v32
	;;#ASMEND
	;;#ASMSTART
	v_dot2_f32_f16 v32, v44, v53, v32
	;;#ASMEND
	s_waitcnt lgkmcnt(1)
	;;#ASMSTART
	v_dot2_f32_f16 v33, v41, v54, v33
	;;#ASMEND
	;;#ASMSTART
	v_dot2_f32_f16 v33, v42, v55, v33
	;;#ASMEND
	;;#ASMSTART
	v_dot2_f32_f16 v33, v43, v56, v33
	;;#ASMEND
	;;#ASMSTART
	v_dot2_f32_f16 v33, v44, v57, v33
	;;#ASMEND
	s_waitcnt lgkmcnt(0)
	;;#ASMSTART
	v_dot2_f32_f16 v34, v58, v50, v34
	;;#ASMEND
	;;#ASMSTART
	v_dot2_f32_f16 v34, v59, v51, v34
	;;#ASMEND
	;;#ASMSTART
	v_dot2_f32_f16 v34, v60, v52, v34
	;;#ASMEND
	;;#ASMSTART
	v_dot2_f32_f16 v34, v61, v53, v34
	;;#ASMEND
	;;#ASMSTART
	v_dot2_f32_f16 v35, v58, v54, v35
	;;#ASMEND
	;;#ASMSTART
	v_dot2_f32_f16 v35, v59, v55, v35
	;;#ASMEND
	;;#ASMSTART
	v_dot2_f32_f16 v35, v60, v56, v35
	;;#ASMEND
	;;#ASMSTART
	v_dot2_f32_f16 v35, v61, v57, v35
	;;#ASMEND
	;; [unrolled: 55-line block ×8, first 2 shown]
	s_barrier
	buffer_gl0_inv
	s_clause 0x1
	global_load_b128 v[41:44], v[12:13], off offset:896
	global_load_b128 v[10:13], v[10:11], off offset:896
	s_waitcnt vmcnt(1)
	ds_store_b128 v119, v[41:44]
	s_waitcnt vmcnt(0)
	ds_store_b128 v120, v[10:13]
	s_waitcnt lgkmcnt(0)
	s_barrier
	buffer_gl0_inv
	ds_load_b128 v[10:13], v121 offset:16384
	ds_load_b128 v[41:44], v122 offset:896
	ds_load_b128 v[50:53], v122 offset:1920
	ds_load_b128 v[54:57], v121 offset:20992
	s_waitcnt lgkmcnt(2)
	;;#ASMSTART
	v_dot2_f32_f16 v32, v10, v41, v32
	;;#ASMEND
	;;#ASMSTART
	v_dot2_f32_f16 v32, v11, v42, v32
	;;#ASMEND
	;;#ASMSTART
	v_dot2_f32_f16 v32, v12, v43, v32
	;;#ASMEND
	;;#ASMSTART
	v_dot2_f32_f16 v32, v13, v44, v32
	;;#ASMEND
	s_waitcnt lgkmcnt(1)
	;;#ASMSTART
	v_dot2_f32_f16 v33, v10, v50, v33
	;;#ASMEND
	;;#ASMSTART
	v_dot2_f32_f16 v33, v11, v51, v33
	;;#ASMEND
	;;#ASMSTART
	v_dot2_f32_f16 v33, v12, v52, v33
	;;#ASMEND
	;;#ASMSTART
	v_dot2_f32_f16 v33, v13, v53, v33
	;;#ASMEND
	s_waitcnt lgkmcnt(0)
	;;#ASMSTART
	v_dot2_f32_f16 v34, v54, v41, v34
	;;#ASMEND
	;;#ASMSTART
	v_dot2_f32_f16 v34, v55, v42, v34
	;;#ASMEND
	;;#ASMSTART
	v_dot2_f32_f16 v34, v56, v43, v34
	;;#ASMEND
	;;#ASMSTART
	v_dot2_f32_f16 v34, v57, v44, v34
	;;#ASMEND
	;;#ASMSTART
	v_dot2_f32_f16 v35, v54, v50, v35
	;;#ASMEND
	;;#ASMSTART
	v_dot2_f32_f16 v35, v55, v51, v35
	;;#ASMEND
	;;#ASMSTART
	v_dot2_f32_f16 v35, v56, v52, v35
	;;#ASMEND
	;;#ASMSTART
	v_dot2_f32_f16 v35, v57, v53, v35
	;;#ASMEND
	ds_load_b128 v[10:13], v121 offset:16400
	ds_load_b128 v[41:44], v122 offset:912
	ds_load_b128 v[50:53], v122 offset:1936
	ds_load_b128 v[54:57], v121 offset:21008
	s_waitcnt lgkmcnt(2)
	;;#ASMSTART
	v_dot2_f32_f16 v32, v10, v41, v32
	;;#ASMEND
	;;#ASMSTART
	v_dot2_f32_f16 v32, v11, v42, v32
	;;#ASMEND
	;;#ASMSTART
	v_dot2_f32_f16 v32, v12, v43, v32
	;;#ASMEND
	;;#ASMSTART
	v_dot2_f32_f16 v32, v13, v44, v32
	;;#ASMEND
	s_waitcnt lgkmcnt(1)
	;;#ASMSTART
	v_dot2_f32_f16 v33, v10, v50, v33
	;;#ASMEND
	;;#ASMSTART
	v_dot2_f32_f16 v33, v11, v51, v33
	;;#ASMEND
	;;#ASMSTART
	v_dot2_f32_f16 v33, v12, v52, v33
	;;#ASMEND
	;;#ASMSTART
	v_dot2_f32_f16 v33, v13, v53, v33
	;;#ASMEND
	s_waitcnt lgkmcnt(0)
	;;#ASMSTART
	v_dot2_f32_f16 v34, v54, v41, v34
	;;#ASMEND
	;;#ASMSTART
	v_dot2_f32_f16 v34, v55, v42, v34
	;;#ASMEND
	;;#ASMSTART
	v_dot2_f32_f16 v34, v56, v43, v34
	;;#ASMEND
	;;#ASMSTART
	v_dot2_f32_f16 v34, v57, v44, v34
	;;#ASMEND
	;;#ASMSTART
	v_dot2_f32_f16 v35, v54, v50, v35
	;;#ASMEND
	;;#ASMSTART
	v_dot2_f32_f16 v35, v55, v51, v35
	;;#ASMEND
	;;#ASMSTART
	v_dot2_f32_f16 v35, v56, v52, v35
	;;#ASMEND
	;;#ASMSTART
	v_dot2_f32_f16 v35, v57, v53, v35
	;;#ASMEND
	;; [unrolled: 55-line block ×7, first 2 shown]
	ds_load_b128 v[10:13], v121 offset:16496
	ds_load_b128 v[41:44], v122 offset:1008
	;; [unrolled: 1-line block ×4, first 2 shown]
	s_waitcnt lgkmcnt(2)
	;;#ASMSTART
	v_dot2_f32_f16 v32, v10, v41, v32
	;;#ASMEND
	;;#ASMSTART
	v_dot2_f32_f16 v32, v11, v42, v32
	;;#ASMEND
	;;#ASMSTART
	v_dot2_f32_f16 v32, v12, v43, v32
	;;#ASMEND
	;;#ASMSTART
	v_dot2_f32_f16 v32, v13, v44, v32
	;;#ASMEND
	s_waitcnt lgkmcnt(1)
	;;#ASMSTART
	v_dot2_f32_f16 v33, v10, v50, v33
	;;#ASMEND
	;;#ASMSTART
	v_dot2_f32_f16 v33, v11, v51, v33
	;;#ASMEND
	;;#ASMSTART
	v_dot2_f32_f16 v33, v12, v52, v33
	;;#ASMEND
	;;#ASMSTART
	v_dot2_f32_f16 v33, v13, v53, v33
	;;#ASMEND
	;; [unrolled: 13-line block ×3, first 2 shown]
	v_add_nc_u32_e32 v0, s13, v102
	;;#ASMSTART
	v_dot2_f32_f16 v35, v54, v50, v35
	;;#ASMEND
	;;#ASMSTART
	v_dot2_f32_f16 v35, v55, v51, v35
	;;#ASMEND
	;; [unrolled: 3-line block ×4, first 2 shown]
	v_ashrrev_i32_e32 v1, 31, v0
	v_mov_b32_e32 v183, v118
	s_delay_alu instid0(VALU_DEP_2) | instskip(SKIP_1) | instid1(VALU_DEP_1)
	v_lshlrev_b64 v[8:9], 1, v[0:1]
	v_add_co_u32 v0, s4, v127, s8
	v_add_co_ci_u32_e64 v1, s2, s9, v128, s4
	s_delay_alu instid0(VALU_DEP_3) | instskip(NEXT) | instid1(VALU_DEP_4)
	v_add_co_u32 v8, vcc_lo, s40, v8
	v_add_co_ci_u32_e32 v9, vcc_lo, s41, v9, vcc_lo
	s_clause 0x1
	flat_load_u16 v12, v[8:9]
	flat_load_u16 v13, v[8:9] offset:64
	s_waitcnt vmcnt(0) lgkmcnt(0)
	s_barrier
	buffer_gl0_inv
	s_clause 0x1
	global_load_b128 v[8:11], v[6:7], off
	global_load_b128 v[41:44], v[6:7], off offset:512
	v_cvt_f32_f16_e32 v6, v12
	v_cvt_f32_f16_e32 v7, v13
	v_lshlrev_b32_e32 v40, 2, v2
	v_add_co_u32 v2, s3, v127, s26
	s_delay_alu instid0(VALU_DEP_3) | instskip(SKIP_2) | instid1(VALU_DEP_3)
	v_dual_add_f32 v12, v32, v6 :: v_dual_add_f32 v13, v34, v7
	v_dual_add_f32 v7, v35, v7 :: v_dual_add_f32 v6, v33, v6
	v_add_co_ci_u32_e64 v3, s2, s27, v128, s3
	v_dual_add_f32 v32, 0x40051340, v12 :: v_dual_add_f32 v33, 0x40051340, v13
	s_delay_alu instid0(VALU_DEP_3) | instskip(NEXT) | instid1(VALU_DEP_2)
	v_dual_add_f32 v34, 0x40051340, v6 :: v_dual_add_f32 v35, 0x40051340, v7
	v_max3_f32 v32, v31, v32, v33
	s_delay_alu instid0(VALU_DEP_2) | instskip(SKIP_4) | instid1(VALU_DEP_1)
	v_max3_f32 v33, v30, v34, v35
	ds_bpermute_b32 v34, v40, v32
	ds_bpermute_b32 v35, v40, v33
	s_waitcnt lgkmcnt(0)
	v_max_f32_e32 v35, v35, v35
	v_max_f32_e32 v33, v33, v35
	ds_bpermute_b32 v35, v39, v33
	s_waitcnt lgkmcnt(0)
	v_dual_max_f32 v35, v35, v35 :: v_dual_max_f32 v34, v34, v34
	s_delay_alu instid0(VALU_DEP_1)
	v_max_f32_e32 v33, v33, v35
	ds_bpermute_b32 v35, v38, v33
	s_waitcnt lgkmcnt(0)
	v_dual_max_f32 v32, v32, v34 :: v_dual_max_f32 v35, v35, v35
	ds_bpermute_b32 v34, v39, v32
	v_max_f32_e32 v33, v33, v35
	ds_bpermute_b32 v35, v37, v33
	s_waitcnt lgkmcnt(1)
	v_max_f32_e32 v34, v34, v34
	s_waitcnt lgkmcnt(0)
	s_delay_alu instid0(VALU_DEP_1)
	v_dual_max_f32 v32, v32, v34 :: v_dual_max_f32 v35, v35, v35
	ds_bpermute_b32 v34, v38, v32
	v_max_f32_e32 v33, v33, v35
	ds_bpermute_b32 v35, v36, v33
	s_waitcnt lgkmcnt(1)
	v_max_f32_e32 v34, v34, v34
	s_waitcnt lgkmcnt(0)
	s_delay_alu instid0(VALU_DEP_1) | instskip(SKIP_2) | instid1(VALU_DEP_1)
	v_dual_max_f32 v32, v32, v34 :: v_dual_max_f32 v35, v35, v35
	ds_bpermute_b32 v34, v37, v32
	v_max_f32_e32 v108, v33, v35
	v_sub_f32_e32 v6, v6, v108
	v_sub_f32_e32 v7, v7, v108
	s_delay_alu instid0(VALU_DEP_2) | instskip(SKIP_1) | instid1(VALU_DEP_3)
	v_mul_f32_e32 v33, 0x3fb8aa3b, v6
	v_cmp_ngt_f32_e32 vcc_lo, 0xc2ce8ed0, v6
	v_cmp_ngt_f32_e64 s4, 0xc2ce8ed0, v7
	v_cmp_nlt_f32_e64 s7, 0x42b17218, v6
	v_cmp_nlt_f32_e64 s10, 0x42b17218, v7
	v_fma_f32 v40, 0x3fb8aa3b, v6, -v33
	s_waitcnt lgkmcnt(0)
	v_max_f32_e32 v34, v34, v34
	v_rndne_f32_e32 v45, v33
	s_delay_alu instid0(VALU_DEP_2) | instskip(SKIP_3) | instid1(VALU_DEP_1)
	v_max_f32_e32 v32, v32, v34
	ds_bpermute_b32 v34, v36, v32
	s_waitcnt lgkmcnt(0)
	v_max_f32_e32 v34, v34, v34
	v_max_f32_e32 v107, v32, v34
	s_delay_alu instid0(VALU_DEP_1) | instskip(SKIP_1) | instid1(VALU_DEP_2)
	v_dual_sub_f32 v31, v31, v107 :: v_dual_sub_f32 v30, v30, v108
	v_sub_f32_e32 v13, v13, v107
	v_mul_f32_e32 v35, 0x3fb8aa3b, v31
	s_delay_alu instid0(VALU_DEP_3) | instskip(SKIP_2) | instid1(VALU_DEP_4)
	v_dual_sub_f32 v12, v12, v107 :: v_dual_mul_f32 v37, 0x3fb8aa3b, v30
	v_cmp_ngt_f32_e64 s5, 0xc2ce8ed0, v30
	v_cmp_nlt_f32_e64 s11, 0x42b17218, v30
	v_fma_f32 v50, 0x3fb8aa3b, v31, -v35
	v_rndne_f32_e32 v51, v35
	v_fma_f32 v54, 0x3fb8aa3b, v30, -v37
	v_rndne_f32_e32 v55, v37
	v_mul_f32_e32 v32, 0x3fb8aa3b, v13
	v_cmp_ngt_f32_e64 s3, 0xc2ce8ed0, v31
	v_cmp_nlt_f32_e64 s9, 0x42b17218, v31
	v_fmac_f32_e32 v54, 0x32a5705f, v30
	v_sub_f32_e32 v30, v37, v55
	v_fmac_f32_e32 v50, 0x32a5705f, v31
	v_sub_f32_e32 v31, v35, v51
	v_fma_f32 v38, 0x3fb8aa3b, v13, -v32
	v_rndne_f32_e32 v39, v32
	v_add_f32_e32 v30, v30, v54
	v_cvt_i32_f32_e32 v37, v55
	v_mul_f32_e32 v34, 0x3fb8aa3b, v12
	v_cmp_ngt_f32_e64 s6, 0xc2ce8ed0, v13
	v_cmp_nlt_f32_e64 s12, 0x42b17218, v13
	v_exp_f32_e32 v30, v30
	v_dual_fmac_f32 v38, 0x32a5705f, v13 :: v_dual_add_f32 v31, v31, v50
	v_sub_f32_e32 v13, v32, v39
	v_mul_f32_e32 v36, 0x3fb8aa3b, v7
	v_fma_f32 v46, 0x3fb8aa3b, v12, -v34
	v_rndne_f32_e32 v47, v34
	v_cmp_ngt_f32_e64 s2, 0xc2ce8ed0, v12
	v_add_f32_e32 v13, v13, v38
	v_fma_f32 v52, 0x3fb8aa3b, v7, -v36
	s_delay_alu instid0(TRANS32_DEP_1)
	v_ldexp_f32 v30, v30, v37
	v_rndne_f32_e32 v53, v36
	v_cmp_nlt_f32_e64 s8, 0x42b17218, v12
	v_fmac_f32_e32 v40, 0x32a5705f, v6
	v_fmac_f32_e32 v46, 0x32a5705f, v12
	v_cndmask_b32_e64 v30, 0, v30, s5
	v_sub_f32_e32 v12, v34, v47
	v_exp_f32_e32 v13, v13
	v_cvt_i32_f32_e32 v32, v39
	v_cvt_i32_f32_e32 v34, v47
	v_cndmask_b32_e64 v134, 0x7f800000, v30, s11
	v_dual_fmac_f32 v52, 0x32a5705f, v7 :: v_dual_sub_f32 v7, v36, v53
	v_sub_f32_e32 v6, v33, v45
	v_add_f32_e32 v12, v12, v46
	v_cvt_i32_f32_e32 v33, v45
	v_cvt_i32_f32_e32 v36, v53
	v_add_f32_e32 v7, v7, v52
	v_add_f32_e32 v6, v6, v40
	v_exp_f32_e32 v12, v12
	v_exp_f32_e32 v31, v31
	v_cvt_i32_f32_e32 v35, v51
	v_exp_f32_e32 v7, v7
	v_exp_f32_e32 v6, v6
	v_ldexp_f32 v13, v13, v32
	v_cvt_f16_f32_e64 v94, v134
	v_ldexp_f32 v12, v12, v34
	s_delay_alu instid0(TRANS32_DEP_3) | instskip(NEXT) | instid1(VALU_DEP_4)
	v_ldexp_f32 v31, v31, v35
	v_cndmask_b32_e64 v13, 0, v13, s6
	s_delay_alu instid0(TRANS32_DEP_2) | instskip(NEXT) | instid1(TRANS32_DEP_1)
	v_ldexp_f32 v7, v7, v36
	v_ldexp_f32 v6, v6, v33
	v_cndmask_b32_e64 v12, 0, v12, s2
	v_cndmask_b32_e64 v31, 0, v31, s3
	;; [unrolled: 1-line block ×4, first 2 shown]
	v_cndmask_b32_e32 v6, 0, v6, vcc_lo
	v_cndmask_b32_e64 v139, 0x7f800000, v12, s8
	v_cndmask_b32_e64 v135, 0x7f800000, v31, s9
	v_pk_mul_f16 v99, v94, v21 op_sel_hi:[0,1]
	v_cndmask_b32_e64 v137, 0x7f800000, v7, s10
	v_cndmask_b32_e64 v136, 0x7f800000, v6, s7
	v_cvt_f16_f32_e64 v6, v138
	v_cvt_f16_f32_e64 v12, v139
	v_cvt_f16_f32_e64 v47, v135
	v_cvt_f16_f32_e64 v13, v137
	v_cvt_f16_f32_e64 v7, v136
	v_pk_mul_f16 v140, v94, v19 op_sel_hi:[0,1]
	v_pk_mul_f16 v141, v94, v20 op_sel_hi:[0,1]
	;; [unrolled: 1-line block ×3, first 2 shown]
	v_pack_b32_f16 v6, v6, v13
	v_pack_b32_f16 v7, v12, v7
	v_pk_mul_f16 v96, v47, v29 op_sel_hi:[0,1]
	v_pk_mul_f16 v97, v47, v27 op_sel_hi:[0,1]
	;; [unrolled: 1-line block ×7, first 2 shown]
	ds_store_2addr_b32 v130, v7, v6 offset1:32
	s_waitcnt vmcnt(1)
	ds_store_b128 v124, v[8:11]
	s_waitcnt vmcnt(0)
	ds_store_b128 v125, v[41:44]
	s_waitcnt lgkmcnt(0)
	s_barrier
	buffer_gl0_inv
	ds_load_2addr_b64 v[6:9], v126 offset1:32
	ds_load_2addr_b64 v[10:13], v126 offset0:64 offset1:96
	ds_load_b128 v[14:17], v123
	ds_load_b128 v[19:22], v123 offset:16
	ds_load_2addr_b64 v[27:30], v126 offset0:128 offset1:160
	ds_load_2addr_b64 v[31:34], v126 offset0:192 offset1:224
	ds_load_2addr_b64 v[35:38], v131 offset1:32
	ds_load_2addr_b64 v[39:42], v131 offset0:64 offset1:96
	ds_load_2addr_b64 v[43:46], v131 offset0:128 offset1:160
	ds_load_2addr_b64 v[50:53], v131 offset0:192 offset1:224
	ds_load_2addr_b64 v[54:57], v132 offset1:32
	ds_load_2addr_b64 v[58:61], v132 offset0:64 offset1:96
	;; [unrolled: 4-line block ×3, first 2 shown]
	ds_load_2addr_b64 v[78:81], v133 offset0:128 offset1:160
	ds_load_2addr_b64 v[82:85], v133 offset0:192 offset1:224
	s_waitcnt lgkmcnt(0)
	s_barrier
	buffer_gl0_inv
	s_clause 0x1
	global_load_b128 v[86:89], v[4:5], off
	global_load_b128 v[90:93], v[4:5], off offset:512
	v_pk_mul_f16 v25, v47, v25 op_sel_hi:[0,1]
	v_pk_mul_f16 v23, v47, v23 op_sel_hi:[0,1]
	v_pk_mul_f16 v4, v6, v14 op_sel_hi:[1,0]
	v_pk_mul_f16 v5, v6, v14 op_sel:[0,1]
	v_pk_mul_f16 v6, v7, v14 op_sel_hi:[1,0]
	v_pk_fma_f16 v7, v7, v14, v99 op_sel:[0,1,0]
	v_pk_fma_f16 v95, v8, v14, v95 op_sel_hi:[1,0,1]
	v_pk_fma_f16 v8, v8, v14, v140 op_sel:[0,1,0]
	v_pk_fma_f16 v96, v9, v14, v96 op_sel_hi:[1,0,1]
	;; [unrolled: 2-line block ×7, first 2 shown]
	v_pk_fma_f16 v5, v94, v18, v5 op_sel_hi:[0,1,1]
	v_pk_fma_f16 v6, v47, v26, v6 op_sel_hi:[0,1,1]
	v_pk_fma_f16 v7, v28, v15, v7 op_sel:[0,1,0]
	v_pk_fma_f16 v14, v29, v15, v95 op_sel_hi:[1,0,1]
	v_pk_fma_f16 v8, v29, v15, v8 op_sel:[0,1,0]
	;; [unrolled: 2-line block ×48, first 2 shown]
	v_pk_fma_f16 v21, v71, v21, v6 op_sel_hi:[1,0,1]
	s_waitcnt vmcnt(1)
	ds_store_b128 v124, v[86:89]
	s_waitcnt vmcnt(0)
	ds_store_b128 v125, v[90:93]
	s_waitcnt lgkmcnt(0)
	s_barrier
	buffer_gl0_inv
	ds_load_2addr_b64 v[4:7], v126 offset1:32
	ds_load_2addr_b64 v[8:11], v126 offset0:64 offset1:96
	ds_load_b128 v[12:15], v123 offset:32
	ds_load_b128 v[16:19], v123 offset:48
	ds_load_2addr_b64 v[23:26], v126 offset0:128 offset1:160
	ds_load_2addr_b64 v[27:30], v126 offset0:192 offset1:224
	ds_load_2addr_b64 v[31:34], v131 offset1:32
	ds_load_2addr_b64 v[35:38], v131 offset0:64 offset1:96
	ds_load_2addr_b64 v[39:42], v131 offset0:128 offset1:160
	ds_load_2addr_b64 v[43:46], v131 offset0:192 offset1:224
	ds_load_2addr_b64 v[50:53], v132 offset1:32
	ds_load_2addr_b64 v[54:57], v132 offset0:64 offset1:96
	;; [unrolled: 4-line block ×3, first 2 shown]
	ds_load_2addr_b64 v[74:77], v133 offset0:128 offset1:160
	ds_load_2addr_b64 v[86:89], v133 offset0:192 offset1:224
	s_waitcnt lgkmcnt(0)
	s_barrier
	buffer_gl0_inv
	s_clause 0x1
	global_load_b128 v[90:93], v[2:3], off
	global_load_b128 v[94:97], v[2:3], off offset:512
	v_pk_fma_f16 v2, v79, v22, v20 op_sel:[0,1,0]
	v_pk_fma_f16 v3, v80, v22, v47 op_sel_hi:[1,0,1]
	v_pk_fma_f16 v20, v80, v22, v98 op_sel:[0,1,0]
	v_pk_fma_f16 v47, v81, v22, v99 op_sel_hi:[1,0,1]
	;; [unrolled: 2-line block ×3, first 2 shown]
	v_pk_fma_f16 v141, v78, v22, v149 op_sel_hi:[1,0,1]
	v_pk_fma_f16 v78, v78, v22, v150 op_sel:[0,1,0]
	v_pk_fma_f16 v82, v82, v22, v142 op_sel:[0,1,0]
	v_pk_fma_f16 v98, v83, v22, v143 op_sel_hi:[1,0,1]
	v_pk_fma_f16 v83, v83, v22, v144 op_sel:[0,1,0]
	v_pk_fma_f16 v99, v84, v22, v145 op_sel_hi:[1,0,1]
	;; [unrolled: 2-line block ×4, first 2 shown]
	v_pk_fma_f16 v22, v4, v12, v141 op_sel_hi:[1,0,1]
	v_pk_fma_f16 v4, v4, v12, v78 op_sel:[0,1,0]
	v_pk_fma_f16 v2, v5, v12, v2 op_sel:[0,1,0]
	v_pk_fma_f16 v3, v6, v12, v3 op_sel_hi:[1,0,1]
	v_pk_fma_f16 v21, v5, v12, v21 op_sel_hi:[1,0,1]
	v_pk_fma_f16 v5, v6, v12, v20 op_sel:[0,1,0]
	v_pk_fma_f16 v6, v7, v12, v47 op_sel_hi:[1,0,1]
	v_pk_fma_f16 v7, v7, v12, v80 op_sel:[0,1,0]
	;; [unrolled: 2-line block ×31, first 2 shown]
	s_waitcnt vmcnt(1)
	ds_store_b128 v124, v[90:93]
	s_waitcnt vmcnt(0)
	ds_store_b128 v125, v[94:97]
	s_waitcnt lgkmcnt(0)
	s_barrier
	buffer_gl0_inv
	ds_load_2addr_b64 v[2:5], v126 offset1:32
	ds_load_2addr_b64 v[6:9], v126 offset0:64 offset1:96
	ds_load_b128 v[78:81], v123 offset:64
	ds_load_b128 v[82:85], v123 offset:80
	ds_load_2addr_b64 v[10:13], v126 offset0:128 offset1:160
	ds_load_2addr_b64 v[20:23], v126 offset0:192 offset1:224
	ds_load_2addr_b64 v[24:27], v131 offset1:32
	ds_load_2addr_b64 v[28:31], v131 offset0:64 offset1:96
	ds_load_2addr_b64 v[90:93], v131 offset0:128 offset1:160
	ds_load_2addr_b64 v[94:97], v131 offset0:192 offset1:224
	ds_load_2addr_b64 v[140:143], v132 offset1:32
	ds_load_2addr_b64 v[144:147], v132 offset0:64 offset1:96
	;; [unrolled: 4-line block ×3, first 2 shown]
	ds_load_2addr_b64 v[164:167], v133 offset0:128 offset1:160
	ds_load_2addr_b64 v[168:171], v133 offset0:192 offset1:224
	s_waitcnt lgkmcnt(0)
	s_barrier
	buffer_gl0_inv
	s_clause 0x1
	global_load_b128 v[32:35], v[0:1], off
	global_load_b128 v[36:39], v[0:1], off offset:512
	v_pk_fma_f16 v0, v51, v16, v14 op_sel_hi:[1,0,1]
	v_pk_fma_f16 v1, v51, v16, v40 op_sel:[0,1,0]
	v_pk_fma_f16 v14, v52, v16, v47 op_sel_hi:[1,0,1]
	v_pk_fma_f16 v40, v52, v16, v41 op_sel:[0,1,0]
	;; [unrolled: 2-line block ×55, first 2 shown]
	s_waitcnt vmcnt(1)
	ds_store_b128 v124, v[32:35]
	s_waitcnt vmcnt(0)
	ds_store_b128 v125, v[36:39]
	s_waitcnt lgkmcnt(0)
	s_barrier
	buffer_gl0_inv
	ds_load_2addr_b64 v[50:53], v126 offset1:32
	ds_load_2addr_b64 v[54:57], v126 offset0:64 offset1:96
	ds_load_b128 v[32:35], v123 offset:96
	ds_load_b128 v[0:3], v123 offset:112
	ds_load_2addr_b64 v[58:61], v126 offset0:128 offset1:160
	ds_load_2addr_b64 v[62:65], v126 offset0:192 offset1:224
	ds_load_2addr_b64 v[66:69], v131 offset1:32
	ds_load_2addr_b64 v[70:73], v131 offset0:64 offset1:96
	ds_load_2addr_b64 v[44:47], v131 offset0:128 offset1:160
	ds_load_2addr_b64 v[40:43], v131 offset0:192 offset1:224
	ds_load_2addr_b64 v[36:39], v132 offset1:32
	ds_load_2addr_b64 v[28:31], v132 offset0:64 offset1:96
	;; [unrolled: 4-line block ×3, first 2 shown]
	ds_load_2addr_b64 v[8:11], v133 offset0:128 offset1:160
	ds_load_2addr_b64 v[4:7], v133 offset0:192 offset1:224
	s_waitcnt lgkmcnt(0)
	s_barrier
	buffer_gl0_inv
	s_clause 0x1
	global_load_b128 v[74:77], v[48:49], off
	global_load_b128 v[86:89], v[48:49], off offset:512
	v_pk_fma_f16 v48, v90, v81, v78 op_sel_hi:[1,0,1]
	v_pk_fma_f16 v49, v90, v81, v79 op_sel:[0,1,0]
	v_pk_fma_f16 v78, v91, v81, v98 op_sel_hi:[1,0,1]
	v_pk_fma_f16 v79, v91, v81, v99 op_sel:[0,1,0]
	;; [unrolled: 2-line block ×40, first 2 shown]
	s_mul_hi_i32 s3, s20, s22
	s_mul_i32 s2, s20, s22
	v_pk_fma_f16 v48, v50, v32, v48 op_sel_hi:[1,0,1]
	v_pk_fma_f16 v49, v50, v32, v49 op_sel:[0,1,0]
	v_pk_fma_f16 v50, v51, v32, v78 op_sel_hi:[1,0,1]
	v_pk_fma_f16 v51, v51, v32, v79 op_sel:[0,1,0]
	;; [unrolled: 2-line block ×8, first 2 shown]
	s_lshl_b64 s[2:3], s[2:3], 2
	v_pk_fma_f16 v48, v58, v33, v48 op_sel_hi:[1,0,1]
	v_add_co_u32 v172, vcc_lo, v127, s2
	v_add_co_ci_u32_e32 v173, vcc_lo, s3, v128, vcc_lo
	v_pk_fma_f16 v49, v58, v33, v49 op_sel:[0,1,0]
	v_pk_fma_f16 v50, v59, v33, v50 op_sel_hi:[1,0,1]
	v_pk_fma_f16 v51, v59, v33, v51 op_sel:[0,1,0]
	v_pk_fma_f16 v57, v60, v33, v78 op_sel_hi:[1,0,1]
	;; [unrolled: 2-line block ×15, first 2 shown]
	v_pk_fma_f16 v34, v73, v34, v63 op_sel:[0,1,0]
	s_waitcnt vmcnt(1)
	ds_store_b128 v124, v[74:77]
	s_waitcnt vmcnt(0)
	ds_store_b128 v125, v[86:89]
	s_waitcnt lgkmcnt(0)
	s_barrier
	buffer_gl0_inv
	ds_load_2addr_b64 v[146:149], v126 offset1:32
	ds_load_2addr_b64 v[150:153], v126 offset0:64 offset1:96
	ds_load_b128 v[80:83], v123 offset:128
	ds_load_b128 v[48:51], v123 offset:144
	ds_load_2addr_b64 v[154:157], v126 offset0:128 offset1:160
	ds_load_2addr_b64 v[158:161], v126 offset0:192 offset1:224
	ds_load_2addr_b64 v[162:165], v131 offset1:32
	ds_load_2addr_b64 v[96:99], v131 offset0:64 offset1:96
	ds_load_2addr_b64 v[92:95], v131 offset0:128 offset1:160
	ds_load_2addr_b64 v[88:91], v131 offset0:192 offset1:224
	ds_load_2addr_b64 v[84:87], v132 offset1:32
	ds_load_2addr_b64 v[76:79], v132 offset0:64 offset1:96
	;; [unrolled: 4-line block ×3, first 2 shown]
	ds_load_2addr_b64 v[56:59], v133 offset0:128 offset1:160
	ds_load_2addr_b64 v[52:55], v133 offset0:192 offset1:224
	s_waitcnt lgkmcnt(0)
	s_barrier
	buffer_gl0_inv
	s_clause 0x1
	global_load_b128 v[166:169], v[172:173], off
	global_load_b128 v[170:173], v[172:173], off offset:512
	v_add_f32_e32 v118, v139, v138
	v_add_f32_e32 v184, v136, v137
	v_pk_fma_f16 v32, v44, v35, v32 op_sel_hi:[1,0,1]
	v_pk_fma_f16 v33, v44, v35, v33 op_sel:[0,1,0]
	v_pk_fma_f16 v44, v45, v35, v140 op_sel_hi:[1,0,1]
	v_fmac_f32_e32 v118, v183, v135
	v_pk_fma_f16 v45, v45, v35, v141 op_sel:[0,1,0]
	v_pk_fma_f16 v135, v46, v35, v142 op_sel_hi:[1,0,1]
	v_pk_fma_f16 v46, v46, v35, v143 op_sel:[0,1,0]
	v_pk_fma_f16 v136, v47, v35, v144 op_sel_hi:[1,0,1]
	;; [unrolled: 2-line block ×34, first 2 shown]
	v_pk_fma_f16 v11, v11, v3, v19 op_sel:[0,1,0]
	s_or_b32 s2, s13, 48
	v_pk_fma_f16 v17, v4, v3, v26 op_sel_hi:[1,0,1]
	s_mul_hi_i32 s3, s2, s22
	s_mul_i32 s2, s2, s22
	v_pk_fma_f16 v4, v4, v3, v12 op_sel:[0,1,0]
	v_pk_fma_f16 v12, v5, v3, v20 op_sel_hi:[1,0,1]
	v_pk_fma_f16 v5, v5, v3, v13 op_sel:[0,1,0]
	v_pk_fma_f16 v13, v6, v3, v21 op_sel_hi:[1,0,1]
	;; [unrolled: 2-line block ×7, first 2 shown]
	v_pk_fma_f16 v11, v149, v80, v11 op_sel:[0,1,0]
	s_lshl_b64 s[2:3], s[2:3], 2
	v_pk_fma_f16 v15, v150, v80, v17 op_sel_hi:[1,0,1]
	v_add_co_u32 v174, vcc_lo, v127, s2
	v_add_co_ci_u32_e32 v175, vcc_lo, s3, v128, vcc_lo
	v_pk_fma_f16 v4, v150, v80, v4 op_sel:[0,1,0]
	v_pk_fma_f16 v12, v151, v80, v12 op_sel_hi:[1,0,1]
	v_pk_fma_f16 v5, v151, v80, v5 op_sel:[0,1,0]
	v_pk_fma_f16 v13, v152, v80, v13 op_sel_hi:[1,0,1]
	;; [unrolled: 2-line block ×15, first 2 shown]
	v_pk_fma_f16 v190, v165, v82, v11 op_sel:[0,1,0]
	s_waitcnt vmcnt(1)
	ds_store_b128 v124, v[166:169]
	s_waitcnt vmcnt(0)
	ds_store_b128 v125, v[170:173]
	s_waitcnt lgkmcnt(0)
	s_barrier
	buffer_gl0_inv
	ds_load_2addr_b64 v[0:3], v126 offset1:32
	ds_load_2addr_b64 v[4:7], v126 offset0:64 offset1:96
	ds_load_b128 v[8:11], v123 offset:160
	ds_load_b128 v[12:15], v123 offset:176
	ds_load_2addr_b64 v[16:19], v126 offset0:128 offset1:160
	ds_load_2addr_b64 v[20:23], v126 offset0:192 offset1:224
	ds_load_2addr_b64 v[24:27], v131 offset1:32
	ds_load_2addr_b64 v[28:31], v131 offset0:64 offset1:96
	ds_load_2addr_b64 v[32:35], v131 offset0:128 offset1:160
	ds_load_2addr_b64 v[36:39], v131 offset0:192 offset1:224
	ds_load_2addr_b64 v[40:43], v132 offset1:32
	ds_load_2addr_b64 v[44:47], v132 offset0:64 offset1:96
	;; [unrolled: 4-line block ×3, first 2 shown]
	ds_load_2addr_b64 v[151:154], v133 offset0:128 offset1:160
	ds_load_2addr_b64 v[155:158], v133 offset0:192 offset1:224
	s_waitcnt lgkmcnt(0)
	s_barrier
	buffer_gl0_inv
	s_clause 0x1
	global_load_b128 v[159:162], v[174:175], off
	global_load_b128 v[163:166], v[174:175], off offset:512
	v_mov_b32_e32 v167, v117
	v_mov_b32_e32 v117, v184
	v_pk_fma_f16 v80, v96, v82, v80 op_sel_hi:[1,0,1]
	v_pk_fma_f16 v96, v96, v82, v176 op_sel:[0,1,0]
	v_pk_fma_f16 v169, v98, v82, v179 op_sel_hi:[1,0,1]
	v_pk_fma_f16 v98, v98, v82, v180 op_sel:[0,1,0]
	v_fmac_f32_e32 v117, v167, v134
	v_pk_fma_f16 v134, v97, v82, v177 op_sel_hi:[1,0,1]
	v_pk_fma_f16 v97, v97, v82, v178 op_sel:[0,1,0]
	v_pk_fma_f16 v170, v99, v82, v181 op_sel_hi:[1,0,1]
	v_pk_fma_f16 v81, v99, v82, v81 op_sel:[0,1,0]
	;; [unrolled: 2-line block ×39, first 2 shown]
	s_or_b32 s2, s13, 56
	v_pk_fma_f16 v60, v53, v51, v68 op_sel_hi:[1,0,1]
	s_mul_hi_i32 s3, s2, s22
	s_mul_i32 s2, s2, s22
	v_pk_fma_f16 v53, v53, v51, v61 op_sel:[0,1,0]
	v_pk_fma_f16 v61, v54, v51, v69 op_sel_hi:[1,0,1]
	v_pk_fma_f16 v54, v54, v51, v62 op_sel:[0,1,0]
	v_pk_fma_f16 v62, v55, v51, v70 op_sel_hi:[1,0,1]
	v_pk_fma_f16 v48, v55, v51, v48 op_sel:[0,1,0]
	v_pk_fma_f16 v49, v0, v8, v49 op_sel_hi:[1,0,1]
	v_pk_fma_f16 v0, v0, v8, v50 op_sel:[0,1,0]
	v_pk_fma_f16 v50, v1, v8, v56 op_sel_hi:[1,0,1]
	v_pk_fma_f16 v1, v1, v8, v57 op_sel:[0,1,0]
	v_pk_fma_f16 v51, v2, v8, v63 op_sel_hi:[1,0,1]
	v_pk_fma_f16 v2, v2, v8, v58 op_sel:[0,1,0]
	v_pk_fma_f16 v55, v3, v8, v64 op_sel_hi:[1,0,1]
	v_pk_fma_f16 v3, v3, v8, v59 op_sel:[0,1,0]
	v_pk_fma_f16 v56, v4, v8, v65 op_sel_hi:[1,0,1]
	v_pk_fma_f16 v4, v4, v8, v52 op_sel:[0,1,0]
	s_lshl_b64 s[2:3], s[2:3], 2
	v_pk_fma_f16 v52, v5, v8, v60 op_sel_hi:[1,0,1]
	v_add_co_u32 v167, vcc_lo, v127, s2
	v_add_co_ci_u32_e32 v168, vcc_lo, s3, v128, vcc_lo
	v_pk_fma_f16 v5, v5, v8, v53 op_sel:[0,1,0]
	v_pk_fma_f16 v53, v6, v8, v61 op_sel_hi:[1,0,1]
	v_pk_fma_f16 v6, v6, v8, v54 op_sel:[0,1,0]
	v_pk_fma_f16 v54, v7, v8, v62 op_sel_hi:[1,0,1]
	;; [unrolled: 2-line block ×15, first 2 shown]
	v_pk_fma_f16 v28, v28, v10, v4 op_sel:[0,1,0]
	s_waitcnt vmcnt(1)
	ds_store_b128 v124, v[159:162]
	s_waitcnt vmcnt(0)
	ds_store_b128 v125, v[163:166]
	s_waitcnt lgkmcnt(0)
	s_barrier
	buffer_gl0_inv
	ds_load_2addr_b64 v[0:3], v126 offset1:32
	ds_load_2addr_b64 v[4:7], v126 offset0:64 offset1:96
	ds_load_b128 v[16:19], v123 offset:192
	ds_load_b128 v[20:23], v123 offset:208
	ds_load_2addr_b64 v[24:27], v126 offset0:128 offset1:160
	ds_load_2addr_b64 v[48:51], v126 offset0:192 offset1:224
	ds_load_2addr_b64 v[52:55], v131 offset1:32
	ds_load_2addr_b64 v[56:59], v131 offset0:64 offset1:96
	ds_load_2addr_b64 v[60:63], v131 offset0:128 offset1:160
	ds_load_2addr_b64 v[64:67], v131 offset0:192 offset1:224
	ds_load_2addr_b64 v[68:71], v132 offset1:32
	ds_load_2addr_b64 v[72:75], v132 offset0:64 offset1:96
	;; [unrolled: 4-line block ×3, first 2 shown]
	ds_load_2addr_b64 v[92:95], v133 offset0:128 offset1:160
	ds_load_2addr_b64 v[96:99], v133 offset0:192 offset1:224
	s_waitcnt lgkmcnt(0)
	s_barrier
	buffer_gl0_inv
	s_clause 0x1
	global_load_b128 v[159:162], v[167:168], off
	global_load_b128 v[163:166], v[167:168], off offset:512
	v_pk_fma_f16 v134, v29, v10, v134 op_sel_hi:[1,0,1]
	v_pk_fma_f16 v29, v29, v10, v169 op_sel:[0,1,0]
	v_pk_fma_f16 v167, v30, v10, v170 op_sel_hi:[1,0,1]
	v_pk_fma_f16 v30, v30, v10, v171 op_sel:[0,1,0]
	;; [unrolled: 2-line block ×107, first 2 shown]
	s_waitcnt vmcnt(1)
	ds_store_b128 v124, v[159:162]
	s_waitcnt vmcnt(0)
	ds_store_b128 v125, v[163:166]
	s_waitcnt lgkmcnt(0)
	s_barrier
	buffer_gl0_inv
	ds_load_2addr_b64 v[0:3], v126 offset1:32
	ds_load_2addr_b64 v[4:7], v126 offset0:64 offset1:96
	ds_load_b128 v[8:11], v123 offset:224
	ds_load_b128 v[27:30], v123 offset:240
	ds_load_2addr_b64 v[12:15], v126 offset0:128 offset1:160
	ds_load_2addr_b64 v[16:19], v126 offset0:192 offset1:224
	ds_load_2addr_b64 v[20:23], v131 offset1:32
	ds_load_2addr_b64 v[31:34], v131 offset0:64 offset1:96
	ds_load_2addr_b64 v[35:38], v131 offset0:128 offset1:160
	ds_load_2addr_b64 v[39:42], v131 offset0:192 offset1:224
	ds_load_2addr_b64 v[43:46], v132 offset1:32
	ds_load_2addr_b64 v[47:50], v132 offset0:64 offset1:96
	;; [unrolled: 4-line block ×3, first 2 shown]
	ds_load_2addr_b64 v[67:70], v133 offset0:128 offset1:160
	ds_load_2addr_b64 v[71:74], v133 offset0:192 offset1:224
	s_waitcnt lgkmcnt(0)
	s_barrier
	buffer_gl0_inv
	s_load_b32 s2, s[16:17], 0x4
	v_pk_fma_f16 v24, v0, v8, v24 op_sel_hi:[1,0,1]
	v_pk_fma_f16 v0, v0, v8, v25 op_sel:[0,1,0]
	v_pk_fma_f16 v25, v1, v8, v26 op_sel_hi:[1,0,1]
	v_pk_fma_f16 v1, v1, v8, v75 op_sel:[0,1,0]
	;; [unrolled: 2-line block ×56, first 2 shown]
	s_waitcnt lgkmcnt(0)
	s_lshl_b32 s2, s2, 6
	v_pk_fma_f16 v24, v67, v30, v8 op_sel_hi:[1,0,1]
	v_pk_fma_f16 v18, v67, v30, v0 op_sel:[0,1,0]
	v_pk_fma_f16 v26, v68, v30, v9 op_sel_hi:[1,0,1]
	v_pk_fma_f16 v21, v68, v30, v1 op_sel:[0,1,0]
	;; [unrolled: 2-line block ×8, first 2 shown]
	s_add_i32 s13, s2, s13
	s_delay_alu instid0(SALU_CYCLE_1)
	s_cmp_ge_i32 s13, s34
	s_cbranch_scc0 .LBB5_9
; %bb.10:
	v_dual_mov_b32 v0, 32 :: v_dual_mov_b32 v3, v111
.LBB5_11:
	s_delay_alu instid0(VALU_DEP_1)
	v_cmp_lt_i32_e32 vcc_lo, v116, v0
	s_cmp_lg_u64 s[24:25], 0
	s_cselect_b32 s2, -1, 0
	s_cmp_eq_u32 s14, 0
	v_cndmask_b32_e32 v1, v3, v116, vcc_lo
	v_cmp_lt_i32_e32 vcc_lo, v115, v0
	s_cselect_b32 s3, -1, 0
	s_delay_alu instid0(SALU_CYCLE_1) | instskip(NEXT) | instid1(VALU_DEP_2)
	s_and_b32 s2, s3, s2
	v_dual_cndmask_b32 v4, v3, v115 :: v_dual_lshlrev_b32 v1, 2, v1
	v_cmp_lt_i32_e32 vcc_lo, v114, v0
	ds_bpermute_b32 v2, v1, v118
	ds_bpermute_b32 v1, v1, v117
	v_lshlrev_b32_e32 v4, 2, v4
	s_waitcnt lgkmcnt(0)
	v_dual_add_f32 v2, v118, v2 :: v_dual_add_f32 v1, v117, v1
	ds_bpermute_b32 v5, v4, v2
	ds_bpermute_b32 v4, v4, v1
	v_cndmask_b32_e32 v6, v3, v114, vcc_lo
	v_cmp_lt_i32_e32 vcc_lo, v113, v0
	s_waitcnt lgkmcnt(0)
	v_dual_add_f32 v2, v2, v5 :: v_dual_add_f32 v1, v1, v4
	s_delay_alu instid0(VALU_DEP_3)
	v_lshlrev_b32_e32 v6, 2, v6
	ds_bpermute_b32 v5, v6, v1
	s_waitcnt lgkmcnt(0)
	v_add_f32_e32 v1, v1, v5
	ds_bpermute_b32 v4, v6, v2
	v_cndmask_b32_e32 v6, v3, v113, vcc_lo
	v_cmp_lt_i32_e32 vcc_lo, v112, v0
	s_delay_alu instid0(VALU_DEP_2)
	v_lshlrev_b32_e32 v6, 2, v6
	v_cndmask_b32_e32 v0, v3, v112, vcc_lo
	s_and_b32 vcc_lo, exec_lo, s2
	ds_bpermute_b32 v5, v6, v1
	v_lshlrev_b32_e32 v0, 2, v0
	s_waitcnt lgkmcnt(0)
	v_dual_add_f32 v2, v2, v4 :: v_dual_add_f32 v1, v1, v5
	ds_bpermute_b32 v4, v6, v2
	s_waitcnt lgkmcnt(0)
	v_add_f32_e32 v2, v2, v4
	ds_bpermute_b32 v3, v0, v2
	ds_bpermute_b32 v0, v0, v1
	s_waitcnt lgkmcnt(0)
	v_dual_add_f32 v2, v2, v3 :: v_dual_add_f32 v3, v1, v0
	s_cbranch_vccz .LBB5_14
; %bb.12:
	v_add_nc_u32_e32 v0, s15, v110
	s_delay_alu instid0(VALU_DEP_1) | instskip(NEXT) | instid1(VALU_DEP_1)
	v_ashrrev_i32_e32 v1, 31, v0
	v_lshlrev_b64 v[0:1], 2, v[0:1]
	s_delay_alu instid0(VALU_DEP_1) | instskip(NEXT) | instid1(VALU_DEP_2)
	v_add_co_u32 v0, vcc_lo, s24, v0
	v_add_co_ci_u32_e32 v1, vcc_lo, s25, v1, vcc_lo
	global_load_b64 v[0:1], v[0:1], off
	v_max_f32_e32 v4, v107, v107
	v_max_f32_e32 v6, v108, v108
	s_waitcnt vmcnt(0)
	v_max_f32_e32 v5, v0, v0
	v_max_f32_e32 v7, v1, v1
	s_delay_alu instid0(VALU_DEP_1) | instskip(NEXT) | instid1(VALU_DEP_1)
	v_dual_max_f32 v4, v4, v5 :: v_dual_max_f32 v5, v6, v7
	v_dual_sub_f32 v6, v107, v4 :: v_dual_sub_f32 v7, v108, v5
	v_dual_sub_f32 v1, v1, v5 :: v_dual_sub_f32 v0, v0, v4
	v_mov_b32_e32 v108, v5
	s_delay_alu instid0(VALU_DEP_3) | instskip(SKIP_1) | instid1(VALU_DEP_4)
	v_cmp_ngt_f32_e32 vcc_lo, 0xc2ce8ed0, v6
	v_mov_b32_e32 v107, v4
	v_dual_mul_f32 v11, 0x3fb8aa3b, v1 :: v_dual_mul_f32 v8, 0x3fb8aa3b, v6
	v_mul_f32_e32 v9, 0x3fb8aa3b, v0
	s_delay_alu instid0(VALU_DEP_2) | instskip(NEXT) | instid1(VALU_DEP_3)
	v_fma_f32 v34, 0x3fb8aa3b, v1, -v11
	v_fma_f32 v12, 0x3fb8aa3b, v6, -v8
	v_rndne_f32_e32 v13, v8
	s_delay_alu instid0(VALU_DEP_4) | instskip(SKIP_4) | instid1(VALU_DEP_4)
	v_fma_f32 v30, 0x3fb8aa3b, v0, -v9
	v_rndne_f32_e32 v31, v9
	v_rndne_f32_e32 v35, v11
	v_fmac_f32_e32 v12, 0x32a5705f, v6
	v_sub_f32_e32 v8, v8, v13
	v_dual_fmac_f32 v34, 0x32a5705f, v1 :: v_dual_sub_f32 v9, v9, v31
	s_delay_alu instid0(VALU_DEP_4) | instskip(NEXT) | instid1(VALU_DEP_3)
	v_dual_sub_f32 v11, v11, v35 :: v_dual_fmac_f32 v30, 0x32a5705f, v0
	v_add_f32_e32 v8, v8, v12
	v_cvt_i32_f32_e32 v12, v13
	v_cvt_i32_f32_e32 v13, v31
	s_delay_alu instid0(VALU_DEP_4) | instskip(SKIP_3) | instid1(VALU_DEP_3)
	v_dual_add_f32 v11, v11, v34 :: v_dual_mul_f32 v10, 0x3fb8aa3b, v7
	v_add_f32_e32 v9, v9, v30
	v_exp_f32_e32 v8, v8
	v_cvt_i32_f32_e32 v31, v35
	v_exp_f32_e32 v11, v11
	v_fma_f32 v32, 0x3fb8aa3b, v7, -v10
	v_exp_f32_e32 v9, v9
	v_rndne_f32_e32 v33, v10
	s_delay_alu instid0(TRANS32_DEP_3) | instskip(NEXT) | instid1(VALU_DEP_2)
	v_ldexp_f32 v8, v8, v12
	v_cvt_i32_f32_e32 v30, v33
	s_waitcnt_depctr 0xfff
	v_ldexp_f32 v11, v11, v31
	v_sub_f32_e32 v10, v10, v33
	v_ldexp_f32 v9, v9, v13
	v_cndmask_b32_e32 v8, 0, v8, vcc_lo
	v_cmp_ngt_f32_e32 vcc_lo, 0xc2ce8ed0, v0
	s_delay_alu instid0(VALU_DEP_3) | instskip(NEXT) | instid1(VALU_DEP_1)
	v_dual_fmac_f32 v32, 0x32a5705f, v7 :: v_dual_cndmask_b32 v9, 0, v9
	v_add_f32_e32 v10, v10, v32
	v_cmp_ngt_f32_e32 vcc_lo, 0xc2ce8ed0, v7
	s_delay_alu instid0(VALU_DEP_2) | instskip(SKIP_2) | instid1(VALU_DEP_1)
	v_exp_f32_e32 v10, v10
	s_waitcnt_depctr 0xfff
	v_ldexp_f32 v10, v10, v30
	v_cndmask_b32_e32 v10, 0, v10, vcc_lo
	v_cmp_ngt_f32_e32 vcc_lo, 0xc2ce8ed0, v1
	v_cndmask_b32_e32 v11, 0, v11, vcc_lo
	v_cmp_nlt_f32_e32 vcc_lo, 0x42b17218, v6
	v_cndmask_b32_e32 v6, 0x7f800000, v8, vcc_lo
	v_cmp_nlt_f32_e32 vcc_lo, 0x42b17218, v0
	s_delay_alu instid0(VALU_DEP_2) | instskip(SKIP_2) | instid1(VALU_DEP_3)
	v_cvt_f16_f32_e32 v8, v6
	v_cndmask_b32_e32 v0, 0x7f800000, v9, vcc_lo
	v_cmp_nlt_f32_e32 vcc_lo, 0x42b17218, v7
	v_pk_mul_f16 v24, v8, v24 op_sel_hi:[0,1]
	s_delay_alu instid0(VALU_DEP_3)
	v_fmac_f32_e32 v0, v2, v6
	v_cndmask_b32_e32 v7, 0x7f800000, v10, vcc_lo
	v_cmp_nlt_f32_e32 vcc_lo, 0x42b17218, v1
	v_pk_mul_f16 v26, v8, v26 op_sel_hi:[0,1]
	v_pk_mul_f16 v28, v8, v28 op_sel_hi:[0,1]
	;; [unrolled: 1-line block ×3, first 2 shown]
	v_cvt_f16_f32_e32 v2, v7
	v_cndmask_b32_e32 v1, 0x7f800000, v11, vcc_lo
	v_pk_mul_f16 v25, v8, v25 op_sel_hi:[0,1]
	v_pk_mul_f16 v27, v8, v27 op_sel_hi:[0,1]
	;; [unrolled: 1-line block ×4, first 2 shown]
	v_fmac_f32_e32 v1, v3, v7
	v_pk_mul_f16 v18, v2, v18 op_sel_hi:[0,1]
	v_pk_mul_f16 v21, v2, v21 op_sel_hi:[0,1]
	v_pk_mul_f16 v19, v2, v19 op_sel_hi:[0,1]
	v_pk_mul_f16 v20, v2, v20 op_sel_hi:[0,1]
	v_mov_b32_e32 v3, v1
	v_pk_mul_f16 v16, v2, v16 op_sel_hi:[0,1]
	v_pk_mul_f16 v17, v2, v17 op_sel_hi:[0,1]
	;; [unrolled: 1-line block ×4, first 2 shown]
	v_mov_b32_e32 v2, v0
	s_mov_b32 s2, exec_lo
	v_cmpx_gt_i32_e64 s38, v100
	s_cbranch_execnz .LBB5_15
.LBB5_13:
	s_nop 0
	s_sendmsg sendmsg(MSG_DEALLOC_VGPRS)
	s_endpgm
.LBB5_14:
	s_delay_alu instid0(VALU_DEP_1)
	v_dual_mov_b32 v0, v2 :: v_dual_mov_b32 v1, v3
	s_mov_b32 s2, exec_lo
	v_cmpx_gt_i32_e64 s38, v100
	s_cbranch_execz .LBB5_13
.LBB5_15:
	s_load_b32 s1, s[0:1], 0xd4
	v_mov_b32_e32 v6, 1.0
	s_waitcnt lgkmcnt(0)
	s_cmp_lg_u32 s1, 1
	s_cselect_b32 s3, -1, 0
	s_cmp_eq_u32 s1, 1
	s_cselect_b32 s2, -1, 0
	s_and_b32 vcc_lo, exec_lo, s3
	s_cbranch_vccnz .LBB5_17
; %bb.16:
	v_div_scale_f32 v4, null, v2, v2, 1.0
	s_delay_alu instid0(VALU_DEP_1) | instskip(SKIP_2) | instid1(VALU_DEP_1)
	v_rcp_f32_e32 v5, v4
	s_waitcnt_depctr 0xfff
	v_fma_f32 v6, -v4, v5, 1.0
	v_fmac_f32_e32 v5, v6, v5
	v_div_scale_f32 v6, vcc_lo, 1.0, v2, 1.0
	s_delay_alu instid0(VALU_DEP_1) | instskip(NEXT) | instid1(VALU_DEP_1)
	v_mul_f32_e32 v7, v6, v5
	v_fma_f32 v8, -v4, v7, v6
	s_delay_alu instid0(VALU_DEP_1) | instskip(NEXT) | instid1(VALU_DEP_1)
	v_fmac_f32_e32 v7, v8, v5
	v_fma_f32 v4, -v4, v7, v6
	s_delay_alu instid0(VALU_DEP_1) | instskip(NEXT) | instid1(VALU_DEP_1)
	v_div_fmas_f32 v4, v4, v5, v7
	v_div_fixup_f32 v6, v4, v2, 1.0
.LBB5_17:
	v_mad_u64_u32 v[4:5], null, s33, s38, v[100:101]
	v_lshrrev_b32_e32 v11, 16, v29
	v_cvt_f32_f16_e32 v7, v26
	v_cvt_f32_f16_e32 v10, v24
	v_mov_b32_e32 v12, 0
	v_cvt_f32_f16_e32 v13, v29
	v_lshrrev_b32_e32 v29, 16, v27
	v_mul_lo_u32 v4, v4, s39
	v_cvt_f32_f16_e32 v40, v27
	v_cvt_f32_f16_e32 v27, v11
	v_lshrrev_b32_e32 v8, 16, v24
	v_lshrrev_b32_e32 v24, 16, v28
	;; [unrolled: 1-line block ×3, first 2 shown]
	v_cvt_f32_f16_e32 v26, v28
	v_lshrrev_b32_e32 v41, 16, v25
	v_add3_u32 v9, s15, v110, v4
	v_cmp_eq_u32_e32 vcc_lo, 0, v101
	v_cvt_f32_f16_e32 v2, v2
	s_delay_alu instid0(VALU_DEP_3)
	v_mad_u64_u32 v[4:5], null, s1, v9, s[14:15]
	v_mul_f32_e32 v9, v6, v7
	v_dual_mul_f32 v28, v6, v13 :: v_dual_mov_b32 v31, v12
	v_cvt_f32_f16_e32 v5, v8
	v_cvt_f32_f16_e32 v13, v24
	v_dual_mul_f32 v26, v6, v26 :: v_dual_mov_b32 v35, v12
	v_lshl_add_u32 v11, v4, 9, v109
	v_mul_f32_e32 v7, v6, v10
	v_mul_f32_e32 v8, v6, v5
	v_cvt_f32_f16_e32 v5, v25
	v_cvt_f32_f16_e32 v24, v29
	v_add_nc_u32_e32 v30, 0x80, v11
	v_lshlrev_b64 v[32:33], 2, v[11:12]
	v_mul_f32_e32 v29, v6, v27
	v_dual_mul_f32 v27, v6, v13 :: v_dual_add_nc_u32 v34, 0x100, v11
	s_delay_alu instid0(VALU_DEP_4)
	v_lshlrev_b64 v[30:31], 2, v[30:31]
	v_dual_mul_f32 v10, v6, v2 :: v_dual_add_nc_u32 v11, 0x180, v11
	v_add_co_u32 v36, s0, s28, v32
	v_cvt_f32_f16_e32 v2, v41
	v_add_co_ci_u32_e64 v37, s0, s29, v33, s0
	v_add_co_u32 v38, s0, s28, v30
	v_mul_f32_e32 v30, v6, v5
	v_lshrrev_b32_e32 v5, 16, v22
	v_mul_f32_e32 v33, v6, v24
	v_lshlrev_b64 v[24:25], 2, v[34:35]
	v_add_co_ci_u32_e64 v39, s0, s29, v31, s0
	v_mul_f32_e32 v31, v6, v2
	v_lshrrev_b32_e32 v2, 16, v23
	v_lshlrev_b64 v[11:12], 2, v[11:12]
	v_cvt_f32_f16_e32 v5, v5
	v_add_co_u32 v34, s0, s28, v24
	s_delay_alu instid0(VALU_DEP_4)
	v_cvt_f32_f16_e32 v2, v2
	v_cvt_f32_f16_e32 v13, v23
	;; [unrolled: 1-line block ×3, first 2 shown]
	v_add_co_ci_u32_e64 v35, s0, s29, v25, s0
	v_mul_f32_e32 v23, v6, v5
	v_add_co_u32 v5, s0, s28, v11
	v_mul_f32_e32 v32, v6, v40
	v_mul_f32_e32 v25, v6, v2
	;; [unrolled: 1-line block ×4, first 2 shown]
	v_add_co_ci_u32_e64 v6, s0, s29, v12, s0
	s_and_b32 s0, vcc_lo, s3
	s_clause 0x3
	global_store_b128 v[36:37], v[7:10], off
	global_store_b128 v[38:39], v[26:29], off
	;; [unrolled: 1-line block ×4, first 2 shown]
	s_and_saveexec_b32 s3, s0
	s_cbranch_execz .LBB5_19
; %bb.18:
	v_ashrrev_i32_e32 v5, 31, v4
	v_dual_mov_b32 v7, v107 :: v_dual_mov_b32 v8, v0
	s_delay_alu instid0(VALU_DEP_2) | instskip(NEXT) | instid1(VALU_DEP_1)
	v_lshlrev_b64 v[5:6], 3, v[4:5]
	v_add_co_u32 v5, vcc_lo, s30, v5
	s_delay_alu instid0(VALU_DEP_2)
	v_add_co_ci_u32_e32 v6, vcc_lo, s31, v6, vcc_lo
	global_store_b64 v[5:6], v[7:8], off
.LBB5_19:
	s_or_b32 exec_lo, exec_lo, s3
	v_mov_b32_e32 v0, 1.0
	s_and_not1_b32 vcc_lo, exec_lo, s2
	s_cbranch_vccnz .LBB5_21
; %bb.20:
	v_div_scale_f32 v0, null, v3, v3, 1.0
	s_delay_alu instid0(VALU_DEP_1) | instskip(SKIP_2) | instid1(VALU_DEP_1)
	v_rcp_f32_e32 v2, v0
	s_waitcnt_depctr 0xfff
	v_fma_f32 v5, -v0, v2, 1.0
	v_fmac_f32_e32 v2, v5, v2
	v_div_scale_f32 v5, vcc_lo, 1.0, v3, 1.0
	s_delay_alu instid0(VALU_DEP_1) | instskip(NEXT) | instid1(VALU_DEP_1)
	v_mul_f32_e32 v6, v5, v2
	v_fma_f32 v7, -v0, v6, v5
	s_delay_alu instid0(VALU_DEP_1) | instskip(NEXT) | instid1(VALU_DEP_1)
	v_fmac_f32_e32 v6, v7, v2
	v_fma_f32 v0, -v0, v6, v5
	s_delay_alu instid0(VALU_DEP_1) | instskip(NEXT) | instid1(VALU_DEP_1)
	v_div_fmas_f32 v0, v0, v2, v6
	v_div_fixup_f32 v0, v0, v3, 1.0
.LBB5_21:
	v_lshrrev_b32_e32 v3, 16, v21
	v_cvt_f32_f16_e32 v6, v18
	v_add_nc_u32_e32 v2, s1, v4
	v_cvt_f32_f16_e32 v4, v21
	v_lshrrev_b32_e32 v5, 16, v18
	v_mov_b32_e32 v12, 0
	v_cvt_f32_f16_e32 v10, v3
	v_mul_f32_e32 v3, v0, v6
	v_lshl_add_u32 v11, v2, 9, v109
	v_cvt_f32_f16_e32 v13, v5
	v_mul_f32_e32 v5, v0, v4
	v_mul_f32_e32 v6, v0, v10
	v_lshrrev_b32_e32 v9, 16, v20
	v_lshlrev_b64 v[7:8], 2, v[11:12]
	v_dual_mul_f32 v4, v0, v13 :: v_dual_add_nc_u32 v25, 0x100, v11
	v_lshrrev_b32_e32 v10, 16, v19
	v_cvt_f32_f16_e32 v23, v19
	v_cvt_f32_f16_e32 v9, v9
	v_add_co_u32 v21, vcc_lo, s28, v7
	v_add_co_ci_u32_e32 v22, vcc_lo, s29, v8, vcc_lo
	v_dual_mov_b32 v8, v12 :: v_dual_add_nc_u32 v7, 0x80, v11
	v_add_nc_u32_e32 v11, 0x180, v11
	v_cvt_f32_f16_e32 v13, v20
	v_cvt_f32_f16_e32 v20, v10
	v_mul_f32_e32 v10, v0, v9
	v_lshlrev_b64 v[18:19], 2, v[7:8]
	v_mul_f32_e32 v7, v0, v23
	v_mul_f32_e32 v9, v0, v13
	v_lshrrev_b32_e32 v13, 16, v17
	v_mov_b32_e32 v26, v12
	v_mul_f32_e32 v8, v0, v20
	v_add_co_u32 v23, vcc_lo, s28, v18
	v_lshrrev_b32_e32 v18, 16, v16
	v_cvt_f32_f16_e32 v13, v13
	v_cvt_f32_f16_e32 v17, v17
	v_lshlrev_b64 v[25:26], 2, v[25:26]
	v_add_co_ci_u32_e32 v24, vcc_lo, s29, v19, vcc_lo
	v_cvt_f32_f16_e32 v20, v18
	v_mul_f32_e32 v19, v0, v13
	v_mul_f32_e32 v18, v0, v17
	v_lshrrev_b32_e32 v13, 16, v14
	v_lshlrev_b64 v[27:28], 2, v[11:12]
	v_mul_f32_e32 v17, v0, v20
	v_lshrrev_b32_e32 v20, 16, v15
	v_cvt_f32_f16_e32 v16, v16
	v_add_co_u32 v25, vcc_lo, s28, v25
	v_cvt_f32_f16_e32 v13, v13
	v_cvt_f32_f16_e32 v29, v14
	;; [unrolled: 1-line block ×4, first 2 shown]
	v_add_co_ci_u32_e32 v26, vcc_lo, s29, v26, vcc_lo
	v_add_co_u32 v27, vcc_lo, s28, v27
	v_mul_f32_e32 v16, v0, v16
	v_mul_f32_e32 v14, v0, v13
	;; [unrolled: 1-line block ×5, first 2 shown]
	v_add_co_ci_u32_e32 v28, vcc_lo, s29, v28, vcc_lo
	s_clause 0x3
	global_store_b128 v[21:22], v[3:6], off
	global_store_b128 v[23:24], v[7:10], off
	;; [unrolled: 1-line block ×4, first 2 shown]
	s_and_b32 exec_lo, exec_lo, s0
	s_cbranch_execz .LBB5_13
; %bb.22:
	v_ashrrev_i32_e32 v3, 31, v2
	v_mov_b32_e32 v0, v108
	s_delay_alu instid0(VALU_DEP_2) | instskip(NEXT) | instid1(VALU_DEP_1)
	v_lshlrev_b64 v[2:3], 3, v[2:3]
	v_add_co_u32 v2, vcc_lo, s30, v2
	s_delay_alu instid0(VALU_DEP_2)
	v_add_co_ci_u32_e32 v3, vcc_lo, s31, v3, vcc_lo
	global_store_b64 v[2:3], v[0:1], off
	s_nop 0
	s_sendmsg sendmsg(MSG_DEALLOC_VGPRS)
	s_endpgm
	.section	.rodata,"a",@progbits
	.p2align	6, 0x0
	.amdhsa_kernel _ZL15flash_attn_tileILi512ELi512ELi2ELi8ELb0EEvPKcS1_S1_S1_S1_PKiPfP15HIP_vector_typeIfLj2EEffffjfiS5_IjLj3EEiiiiiiiiiiiliiliiiiil
		.amdhsa_group_segment_fixed_size 27648
		.amdhsa_private_segment_fixed_size 0
		.amdhsa_kernarg_size 464
		.amdhsa_user_sgpr_count 13
		.amdhsa_user_sgpr_dispatch_ptr 0
		.amdhsa_user_sgpr_queue_ptr 0
		.amdhsa_user_sgpr_kernarg_segment_ptr 1
		.amdhsa_user_sgpr_dispatch_id 0
		.amdhsa_user_sgpr_private_segment_size 0
		.amdhsa_wavefront_size32 1
		.amdhsa_uses_dynamic_stack 0
		.amdhsa_enable_private_segment 0
		.amdhsa_system_sgpr_workgroup_id_x 1
		.amdhsa_system_sgpr_workgroup_id_y 1
		.amdhsa_system_sgpr_workgroup_id_z 1
		.amdhsa_system_sgpr_workgroup_info 0
		.amdhsa_system_vgpr_workitem_id 1
		.amdhsa_next_free_vgpr 191
		.amdhsa_next_free_sgpr 42
		.amdhsa_reserve_vcc 1
		.amdhsa_float_round_mode_32 0
		.amdhsa_float_round_mode_16_64 0
		.amdhsa_float_denorm_mode_32 3
		.amdhsa_float_denorm_mode_16_64 3
		.amdhsa_dx10_clamp 1
		.amdhsa_ieee_mode 1
		.amdhsa_fp16_overflow 0
		.amdhsa_workgroup_processor_mode 1
		.amdhsa_memory_ordered 1
		.amdhsa_forward_progress 0
		.amdhsa_shared_vgpr_count 0
		.amdhsa_exception_fp_ieee_invalid_op 0
		.amdhsa_exception_fp_denorm_src 0
		.amdhsa_exception_fp_ieee_div_zero 0
		.amdhsa_exception_fp_ieee_overflow 0
		.amdhsa_exception_fp_ieee_underflow 0
		.amdhsa_exception_fp_ieee_inexact 0
		.amdhsa_exception_int_div_zero 0
	.end_amdhsa_kernel
	.section	.text._ZL15flash_attn_tileILi512ELi512ELi2ELi8ELb0EEvPKcS1_S1_S1_S1_PKiPfP15HIP_vector_typeIfLj2EEffffjfiS5_IjLj3EEiiiiiiiiiiiliiliiiiil,"axG",@progbits,_ZL15flash_attn_tileILi512ELi512ELi2ELi8ELb0EEvPKcS1_S1_S1_S1_PKiPfP15HIP_vector_typeIfLj2EEffffjfiS5_IjLj3EEiiiiiiiiiiiliiliiiiil,comdat
.Lfunc_end5:
	.size	_ZL15flash_attn_tileILi512ELi512ELi2ELi8ELb0EEvPKcS1_S1_S1_S1_PKiPfP15HIP_vector_typeIfLj2EEffffjfiS5_IjLj3EEiiiiiiiiiiiliiliiiiil, .Lfunc_end5-_ZL15flash_attn_tileILi512ELi512ELi2ELi8ELb0EEvPKcS1_S1_S1_S1_PKiPfP15HIP_vector_typeIfLj2EEffffjfiS5_IjLj3EEiiiiiiiiiiiliiliiiiil
                                        ; -- End function
	.section	.AMDGPU.csdata,"",@progbits
; Kernel info:
; codeLenInByte = 39688
; NumSgprs: 44
; NumVgprs: 191
; ScratchSize: 0
; MemoryBound: 0
; FloatMode: 240
; IeeeMode: 1
; LDSByteSize: 27648 bytes/workgroup (compile time only)
; SGPRBlocks: 5
; VGPRBlocks: 23
; NumSGPRsForWavesPerEU: 44
; NumVGPRsForWavesPerEU: 191
; Occupancy: 8
; WaveLimiterHint : 1
; COMPUTE_PGM_RSRC2:SCRATCH_EN: 0
; COMPUTE_PGM_RSRC2:USER_SGPR: 13
; COMPUTE_PGM_RSRC2:TRAP_HANDLER: 0
; COMPUTE_PGM_RSRC2:TGID_X_EN: 1
; COMPUTE_PGM_RSRC2:TGID_Y_EN: 1
; COMPUTE_PGM_RSRC2:TGID_Z_EN: 1
; COMPUTE_PGM_RSRC2:TIDIG_COMP_CNT: 1
	.section	.text._ZL25flash_attn_mask_to_KV_maxILi2EEvPK7__half2Piiii,"axG",@progbits,_ZL25flash_attn_mask_to_KV_maxILi2EEvPK7__half2Piiii,comdat
	.globl	_ZL25flash_attn_mask_to_KV_maxILi2EEvPK7__half2Piiii ; -- Begin function _ZL25flash_attn_mask_to_KV_maxILi2EEvPK7__half2Piiii
	.p2align	8
	.type	_ZL25flash_attn_mask_to_KV_maxILi2EEvPK7__half2Piiii,@function
_ZL25flash_attn_mask_to_KV_maxILi2EEvPK7__half2Piiii: ; @_ZL25flash_attn_mask_to_KV_maxILi2EEvPK7__half2Piiii
; %bb.0:
	s_load_b128 s[4:7], s[0:1], 0x0
	s_mov_b32 s2, exec_lo
	v_cmpx_gt_u32_e32 32, v0
	s_cbranch_execz .LBB6_2
; %bb.1:
	v_dual_mov_b32 v2, 1 :: v_dual_lshlrev_b32 v1, 2, v0
	ds_store_b32 v1, v2
.LBB6_2:
	s_or_b32 exec_lo, exec_lo, s2
	s_clause 0x1
	s_load_b128 s[8:11], s[0:1], 0x10
	s_load_b32 s1, s[0:1], 0x20
	v_dual_mov_b32 v2, 0 :: v_dual_and_b32 v1, 31, v0
	v_lshrrev_b32_e32 v3, 3, v0
	s_waitcnt lgkmcnt(0)
	s_barrier
	s_delay_alu instid0(VALU_DEP_2) | instskip(SKIP_4) | instid1(SALU_CYCLE_1)
	v_lshlrev_b32_e32 v4, 2, v1
	buffer_gl0_inv
	s_mul_i32 s0, s14, s9
	s_mul_i32 s2, s15, s10
	s_lshl_b32 s0, s0, 1
	s_add_i32 s2, s2, s0
	v_cmp_eq_u32_e64 s0, 0, v1
	s_ashr_i32 s3, s2, 31
	s_delay_alu instid0(SALU_CYCLE_1) | instskip(NEXT) | instid1(SALU_CYCLE_1)
	s_lshl_b64 s[10:11], s[2:3], 2
	s_add_u32 s3, s4, s10
	s_addc_u32 s4, s5, s11
	s_lshl_b32 s5, s8, 8
	s_branch .LBB6_4
.LBB6_3:                                ;   in Loop: Header=BB6_4 Depth=1
	s_or_b32 exec_lo, exec_lo, s10
	s_waitcnt lgkmcnt(0)
	s_barrier
	buffer_gl0_inv
	ds_load_b32 v1, v4
	s_waitcnt lgkmcnt(0)
	s_barrier
	buffer_gl0_inv
	;;#ASMSTART
	;;#ASMEND
	v_cmp_ne_u32_e32 vcc_lo, 0, v1
	s_cmp_lg_u32 vcc_lo, exec_lo
	s_cselect_b32 s8, -1, 0
	s_delay_alu instid0(SALU_CYCLE_1)
	s_and_b32 vcc_lo, exec_lo, s8
	s_cbranch_vccnz .LBB6_12
.LBB6_4:                                ; =>This Inner Loop Header: Depth=1
	s_mov_b32 s2, s5
	s_addk_i32 s5, 0xff00
	s_delay_alu instid0(SALU_CYCLE_1)
	s_cmp_lt_i32 s5, 0
	s_cbranch_scc1 .LBB6_11
; %bb.5:                                ;   in Loop: Header=BB6_4 Depth=1
	s_lshr_b32 s8, s5, 1
	s_mov_b32 s10, 0
	v_add_nc_u32_e32 v1, s8, v0
	s_delay_alu instid0(VALU_DEP_1) | instskip(NEXT) | instid1(VALU_DEP_1)
	v_lshlrev_b64 v[5:6], 2, v[1:2]
	v_add_co_u32 v5, vcc_lo, s3, v5
	s_delay_alu instid0(VALU_DEP_2) | instskip(SKIP_4) | instid1(VALU_DEP_2)
	v_add_co_ci_u32_e32 v6, vcc_lo, s4, v6, vcc_lo
	global_load_b32 v5, v[5:6], off
	s_waitcnt vmcnt(0)
	v_lshrrev_b32_e32 v6, 16, v5
	v_cmp_class_f16_e64 s8, v5, 0x204
	v_and_b32_e32 v6, 0x7fff, v6
	s_delay_alu instid0(VALU_DEP_1) | instskip(NEXT) | instid1(VALU_DEP_3)
	v_cmp_eq_f16_e32 vcc_lo, 0x7c00, v6
	s_and_b32 s11, s8, vcc_lo
	s_delay_alu instid0(SALU_CYCLE_1)
	s_and_saveexec_b32 s8, s11
	s_cbranch_execz .LBB6_9
; %bb.6:                                ;   in Loop: Header=BB6_4 Depth=1
	v_add_nc_u32_e32 v5, s9, v1
	s_delay_alu instid0(VALU_DEP_1) | instskip(NEXT) | instid1(VALU_DEP_1)
	v_ashrrev_i32_e32 v6, 31, v5
	v_lshlrev_b64 v[5:6], 2, v[5:6]
	s_delay_alu instid0(VALU_DEP_1) | instskip(NEXT) | instid1(VALU_DEP_2)
	v_add_co_u32 v5, vcc_lo, s3, v5
	v_add_co_ci_u32_e32 v6, vcc_lo, s4, v6, vcc_lo
	global_load_b32 v1, v[5:6], off
	s_waitcnt vmcnt(0)
	v_cmp_class_f16_e64 s12, v1, 0x204
	s_delay_alu instid0(VALU_DEP_1)
	s_and_saveexec_b32 s11, s12
; %bb.7:                                ;   in Loop: Header=BB6_4 Depth=1
	v_lshrrev_b32_e32 v1, 16, v1
	s_delay_alu instid0(VALU_DEP_1) | instskip(NEXT) | instid1(VALU_DEP_1)
	v_cmp_class_f16_e64 s10, v1, 0x204
	s_and_b32 s10, s10, exec_lo
; %bb.8:                                ;   in Loop: Header=BB6_4 Depth=1
	s_or_b32 exec_lo, exec_lo, s11
	s_delay_alu instid0(SALU_CYCLE_1)
	s_and_b32 s10, s10, exec_lo
.LBB6_9:                                ;   in Loop: Header=BB6_4 Depth=1
	s_or_b32 exec_lo, exec_lo, s8
	v_cndmask_b32_e64 v1, 0, 1, s10
	;;#ASMSTART
	;;#ASMEND
	s_delay_alu instid0(VALU_DEP_1)
	v_cmp_ne_u32_e32 vcc_lo, 0, v1
	s_mov_b32 s8, exec_lo
	s_and_saveexec_b32 s10, s0
	s_cbranch_execz .LBB6_3
; %bb.10:                               ;   in Loop: Header=BB6_4 Depth=1
	s_cmp_eq_u32 vcc_lo, s8
	s_cselect_b32 s8, -1, 0
	s_delay_alu instid0(SALU_CYCLE_1)
	v_cndmask_b32_e64 v1, 0, 1, s8
	ds_store_b32 v3, v1
	s_branch .LBB6_3
.LBB6_11:                               ;   in Loop: Header=BB6_4 Depth=1
                                        ; implicit-def: $sgpr5
	s_cbranch_execz .LBB6_4
.LBB6_12:
	s_mov_b32 s0, exec_lo
	v_cmpx_eq_u32_e32 0, v0
	s_cbranch_execz .LBB6_14
; %bb.13:
	s_mul_i32 s0, s1, s15
	v_dual_mov_b32 v0, 0 :: v_dual_mov_b32 v1, s2
	s_add_i32 s0, s0, s14
	s_delay_alu instid0(SALU_CYCLE_1) | instskip(NEXT) | instid1(SALU_CYCLE_1)
	s_ashr_i32 s1, s0, 31
	s_lshl_b64 s[0:1], s[0:1], 2
	s_delay_alu instid0(SALU_CYCLE_1)
	s_add_u32 s0, s6, s0
	s_addc_u32 s1, s7, s1
	global_store_b32 v0, v1, s[0:1]
.LBB6_14:
	s_nop 0
	s_sendmsg sendmsg(MSG_DEALLOC_VGPRS)
	s_endpgm
	.section	.rodata,"a",@progbits
	.p2align	6, 0x0
	.amdhsa_kernel _ZL25flash_attn_mask_to_KV_maxILi2EEvPK7__half2Piiii
		.amdhsa_group_segment_fixed_size 128
		.amdhsa_private_segment_fixed_size 0
		.amdhsa_kernarg_size 288
		.amdhsa_user_sgpr_count 14
		.amdhsa_user_sgpr_dispatch_ptr 0
		.amdhsa_user_sgpr_queue_ptr 0
		.amdhsa_user_sgpr_kernarg_segment_ptr 1
		.amdhsa_user_sgpr_dispatch_id 0
		.amdhsa_user_sgpr_private_segment_size 0
		.amdhsa_wavefront_size32 1
		.amdhsa_uses_dynamic_stack 0
		.amdhsa_enable_private_segment 0
		.amdhsa_system_sgpr_workgroup_id_x 1
		.amdhsa_system_sgpr_workgroup_id_y 1
		.amdhsa_system_sgpr_workgroup_id_z 0
		.amdhsa_system_sgpr_workgroup_info 0
		.amdhsa_system_vgpr_workitem_id 0
		.amdhsa_next_free_vgpr 7
		.amdhsa_next_free_sgpr 16
		.amdhsa_reserve_vcc 1
		.amdhsa_float_round_mode_32 0
		.amdhsa_float_round_mode_16_64 0
		.amdhsa_float_denorm_mode_32 3
		.amdhsa_float_denorm_mode_16_64 3
		.amdhsa_dx10_clamp 1
		.amdhsa_ieee_mode 1
		.amdhsa_fp16_overflow 0
		.amdhsa_workgroup_processor_mode 1
		.amdhsa_memory_ordered 1
		.amdhsa_forward_progress 0
		.amdhsa_shared_vgpr_count 0
		.amdhsa_exception_fp_ieee_invalid_op 0
		.amdhsa_exception_fp_denorm_src 0
		.amdhsa_exception_fp_ieee_div_zero 0
		.amdhsa_exception_fp_ieee_overflow 0
		.amdhsa_exception_fp_ieee_underflow 0
		.amdhsa_exception_fp_ieee_inexact 0
		.amdhsa_exception_int_div_zero 0
	.end_amdhsa_kernel
	.section	.text._ZL25flash_attn_mask_to_KV_maxILi2EEvPK7__half2Piiii,"axG",@progbits,_ZL25flash_attn_mask_to_KV_maxILi2EEvPK7__half2Piiii,comdat
.Lfunc_end6:
	.size	_ZL25flash_attn_mask_to_KV_maxILi2EEvPK7__half2Piiii, .Lfunc_end6-_ZL25flash_attn_mask_to_KV_maxILi2EEvPK7__half2Piiii
                                        ; -- End function
	.section	.AMDGPU.csdata,"",@progbits
; Kernel info:
; codeLenInByte = 584
; NumSgprs: 18
; NumVgprs: 7
; ScratchSize: 0
; MemoryBound: 0
; FloatMode: 240
; IeeeMode: 1
; LDSByteSize: 128 bytes/workgroup (compile time only)
; SGPRBlocks: 2
; VGPRBlocks: 0
; NumSGPRsForWavesPerEU: 18
; NumVGPRsForWavesPerEU: 7
; Occupancy: 16
; WaveLimiterHint : 0
; COMPUTE_PGM_RSRC2:SCRATCH_EN: 0
; COMPUTE_PGM_RSRC2:USER_SGPR: 14
; COMPUTE_PGM_RSRC2:TRAP_HANDLER: 0
; COMPUTE_PGM_RSRC2:TGID_X_EN: 1
; COMPUTE_PGM_RSRC2:TGID_Y_EN: 1
; COMPUTE_PGM_RSRC2:TGID_Z_EN: 0
; COMPUTE_PGM_RSRC2:TIDIG_COMP_CNT: 0
	.section	.text._ZL33flash_attn_stream_k_fixup_uniformILi512ELi2ELi8EEvPfPK15HIP_vector_typeIfLj2EEiiiiiiS1_IjLj3EES5_S5_,"axG",@progbits,_ZL33flash_attn_stream_k_fixup_uniformILi512ELi2ELi8EEvPfPK15HIP_vector_typeIfLj2EEiiiiiiS1_IjLj3EES5_S5_,comdat
	.globl	_ZL33flash_attn_stream_k_fixup_uniformILi512ELi2ELi8EEvPfPK15HIP_vector_typeIfLj2EEiiiiiiS1_IjLj3EES5_S5_ ; -- Begin function _ZL33flash_attn_stream_k_fixup_uniformILi512ELi2ELi8EEvPfPK15HIP_vector_typeIfLj2EEiiiiiiS1_IjLj3EES5_S5_
	.p2align	8
	.type	_ZL33flash_attn_stream_k_fixup_uniformILi512ELi2ELi8EEvPfPK15HIP_vector_typeIfLj2EEiiiiiiS1_IjLj3EES5_S5_,@function
_ZL33flash_attn_stream_k_fixup_uniformILi512ELi2ELi8EEvPfPK15HIP_vector_typeIfLj2EEiiiiiiS1_IjLj3EES5_S5_: ; @_ZL33flash_attn_stream_k_fixup_uniformILi512ELi2ELi8EEvPfPK15HIP_vector_typeIfLj2EEiiiiiiS1_IjLj3EES5_S5_
; %bb.0:
	s_clause 0x1
	s_load_b256 s[4:11], s[0:1], 0x1c
	s_load_b128 s[16:19], s[0:1], 0x3c
	s_waitcnt lgkmcnt(0)
	s_mul_hi_u32 s2, s7, s13
	s_delay_alu instid0(SALU_CYCLE_1) | instskip(NEXT) | instid1(SALU_CYCLE_1)
	s_add_i32 s2, s13, s2
	s_lshr_b32 s2, s2, s8
	s_delay_alu instid0(SALU_CYCLE_1) | instskip(SKIP_2) | instid1(SALU_CYCLE_1)
	s_mul_i32 s3, s2, s9
	s_load_b64 s[8:9], s[0:1], 0x10
	s_sub_i32 s7, s13, s3
	s_mul_hi_u32 s3, s7, s10
	s_delay_alu instid0(SALU_CYCLE_1) | instskip(NEXT) | instid1(SALU_CYCLE_1)
	s_add_i32 s3, s7, s3
	s_lshr_b32 s3, s3, s11
	s_delay_alu instid0(SALU_CYCLE_1) | instskip(NEXT) | instid1(SALU_CYCLE_1)
	s_mul_i32 s10, s3, s16
	s_sub_i32 s7, s7, s10
	s_delay_alu instid0(SALU_CYCLE_1) | instskip(NEXT) | instid1(SALU_CYCLE_1)
	s_mul_hi_u32 s10, s7, s17
	s_add_i32 s10, s7, s10
	s_delay_alu instid0(SALU_CYCLE_1) | instskip(NEXT) | instid1(SALU_CYCLE_1)
	s_lshr_b32 s10, s10, s18
	s_mul_i32 s11, s10, s19
	s_lshl_b32 s10, s10, 3
	s_sub_i32 s7, s7, s11
	s_delay_alu instid0(SALU_CYCLE_1) | instskip(NEXT) | instid1(SALU_CYCLE_1)
	s_lshl_b32 s11, s7, 1
	s_add_i32 s11, s11, s14
	s_waitcnt lgkmcnt(0)
	s_cmp_lt_i32 s11, s8
	s_cselect_b32 s11, -1, 0
	s_add_i32 s12, s10, s15
	s_delay_alu instid0(SALU_CYCLE_1) | instskip(SKIP_1) | instid1(SALU_CYCLE_1)
	s_cmp_lt_i32 s12, s5
	s_cselect_b32 s12, -1, 0
	s_and_b32 s11, s11, s12
	s_delay_alu instid0(SALU_CYCLE_1)
	s_and_not1_b32 vcc_lo, exec_lo, s11
	s_cbranch_vccnz .LBB7_6
; %bb.1:
	s_mul_i32 s2, s2, s8
	s_mul_i32 s5, s3, s5
	s_add_i32 s2, s2, s14
	s_mul_i32 s7, s9, s7
	s_mul_i32 s2, s2, s9
	s_lshl_b32 s7, s7, 10
	s_add_i32 s8, s2, s15
	s_load_b128 s[0:3], s[0:1], 0x0
	s_add_i32 s5, s8, s5
	s_lshl_b32 s9, s14, 3
	s_add_i32 s5, s5, s10
	s_delay_alu instid0(SALU_CYCLE_1) | instskip(NEXT) | instid1(SALU_CYCLE_1)
	s_lshl_b32 s5, s5, 9
	s_add_i32 s7, s7, s5
	s_mul_i32 s5, s13, s6
	v_or_b32_e32 v1, s7, v0
	s_add_i32 s10, s5, s6
	s_delay_alu instid0(VALU_DEP_1) | instskip(NEXT) | instid1(VALU_DEP_1)
	v_ashrrev_i32_e32 v2, 31, v1
	v_lshlrev_b64 v[1:2], 2, v[1:2]
	s_waitcnt lgkmcnt(0)
	s_delay_alu instid0(VALU_DEP_1) | instskip(NEXT) | instid1(VALU_DEP_2)
	v_add_co_u32 v1, vcc_lo, s0, v1
	v_add_co_ci_u32_e32 v2, vcc_lo, s1, v2, vcc_lo
	s_add_i32 s0, s9, s15
	s_lshl_b32 s1, s10, 4
	s_delay_alu instid0(SALU_CYCLE_1) | instskip(SKIP_2) | instid1(SALU_CYCLE_1)
	s_add_i32 s0, s0, s1
	global_load_b32 v5, v[1:2], off
	s_add_i32 s0, s0, -16
	s_ashr_i32 s1, s0, 31
	s_delay_alu instid0(SALU_CYCLE_1) | instskip(NEXT) | instid1(SALU_CYCLE_1)
	s_lshl_b64 s[0:1], s[0:1], 3
	s_add_u32 s0, s2, s0
	s_addc_u32 s1, s3, s1
	s_add_i32 s7, s10, -2
	s_load_b32 s11, s[0:1], 0x4
	s_cmp_lt_i32 s7, s5
	s_cbranch_scc1 .LBB7_4
; %bb.2:
	s_lshl_b32 s16, s4, 6
	s_load_b32 s12, s[0:1], 0x0
	s_ashr_i32 s17, s16, 31
	s_delay_alu instid0(SALU_CYCLE_1) | instskip(NEXT) | instid1(SALU_CYCLE_1)
	s_lshl_b64 s[0:1], s[16:17], 2
	s_add_u32 s7, s2, s0
	s_addc_u32 s8, s3, s1
	s_add_i32 s13, s13, 1
	s_lshl_b32 s0, s14, 12
	s_lshl_b32 s1, s15, 9
	s_mul_i32 s6, s6, s13
	s_add_i32 s0, s1, s0
	s_lshl_b32 s1, s6, 13
	s_delay_alu instid0(SALU_CYCLE_1)
	s_add_i32 s0, s0, s1
	s_lshl_b32 s1, s6, 4
	v_or_b32_e32 v0, s0, v0
	s_lshl_b32 s0, s4, 4
	s_add_i32 s1, s15, s1
	s_waitcnt lgkmcnt(0)
	v_mov_b32_e32 v6, s11
	s_add_i32 s0, s1, s0
	v_dual_mov_b32 v0, s12 :: v_dual_add_nc_u32 v3, 0xffffc000, v0
	s_add_i32 s0, s0, s9
	s_add_i32 s4, s10, -1
	s_sub_i32 s0, s0, 32
.LBB7_3:                                ; =>This Inner Loop Header: Depth=1
	s_delay_alu instid0(VALU_DEP_1) | instskip(SKIP_1) | instid1(SALU_CYCLE_1)
	v_ashrrev_i32_e32 v4, 31, v3
	s_ashr_i32 s1, s0, 31
	s_lshl_b64 s[10:11], s[0:1], 3
	s_delay_alu instid0(SALU_CYCLE_1) | instskip(NEXT) | instid1(VALU_DEP_1)
	s_add_u32 s10, s2, s10
	v_lshlrev_b64 v[7:8], 2, v[3:4]
	s_addc_u32 s11, s3, s11
	s_add_i32 s4, s4, -1
	s_add_i32 s0, s0, -16
	s_cmp_le_i32 s4, s5
	s_load_b64 s[10:11], s[10:11], 0x0
	v_add_co_u32 v7, vcc_lo, s7, v7
	v_add_co_ci_u32_e32 v8, vcc_lo, s8, v8, vcc_lo
	global_load_b32 v4, v[7:8], off
	v_max_f32_e32 v7, v0, v0
	s_waitcnt lgkmcnt(0)
	v_max_f32_e64 v8, s10, s10
	s_delay_alu instid0(VALU_DEP_1) | instskip(NEXT) | instid1(VALU_DEP_1)
	v_max_f32_e32 v7, v7, v8
	v_sub_f32_e32 v8, s10, v7
	s_delay_alu instid0(VALU_DEP_1) | instskip(NEXT) | instid1(VALU_DEP_1)
	v_dual_sub_f32 v0, v0, v7 :: v_dual_mul_f32 v9, 0x3fb8aa3b, v8
	v_fma_f32 v10, 0x3fb8aa3b, v8, -v9
	v_rndne_f32_e32 v11, v9
	s_delay_alu instid0(VALU_DEP_3) | instskip(NEXT) | instid1(VALU_DEP_2)
	v_mul_f32_e32 v12, 0x3fb8aa3b, v0
	v_dual_fmac_f32 v10, 0x32a5705f, v8 :: v_dual_sub_f32 v9, v9, v11
	v_cvt_i32_f32_e32 v11, v11
	s_delay_alu instid0(VALU_DEP_3) | instskip(SKIP_1) | instid1(VALU_DEP_4)
	v_fma_f32 v13, 0x3fb8aa3b, v0, -v12
	v_rndne_f32_e32 v14, v12
	v_add_f32_e32 v9, v9, v10
	v_cmp_ngt_f32_e32 vcc_lo, 0xc2ce8ed0, v8
	s_delay_alu instid0(VALU_DEP_3) | instskip(NEXT) | instid1(VALU_DEP_3)
	v_sub_f32_e32 v10, v12, v14
	v_exp_f32_e32 v9, v9
	s_waitcnt_depctr 0xfff
	v_ldexp_f32 v9, v9, v11
	v_cvt_i32_f32_e32 v11, v14
	s_delay_alu instid0(VALU_DEP_2) | instskip(SKIP_1) | instid1(VALU_DEP_2)
	v_cndmask_b32_e32 v9, 0, v9, vcc_lo
	v_cmp_nlt_f32_e32 vcc_lo, 0x42b17218, v8
	v_cndmask_b32_e32 v9, 0x7f800000, v9, vcc_lo
	v_cmp_ngt_f32_e32 vcc_lo, 0xc2ce8ed0, v0
	v_fmac_f32_e32 v13, 0x32a5705f, v0
	s_delay_alu instid0(VALU_DEP_1) | instskip(NEXT) | instid1(VALU_DEP_1)
	v_add_f32_e32 v10, v10, v13
	v_exp_f32_e32 v10, v10
	s_waitcnt_depctr 0xfff
	v_ldexp_f32 v10, v10, v11
	s_delay_alu instid0(VALU_DEP_1)
	v_dual_mov_b32 v11, v6 :: v_dual_cndmask_b32 v10, 0, v10
	v_cmp_le_f32_e32 vcc_lo, 0xc1a00000, v8
	s_waitcnt vmcnt(1)
	v_dual_cndmask_b32 v8, 0, v9 :: v_dual_mov_b32 v9, v5
	v_cmp_nlt_f32_e32 vcc_lo, 0x42b17218, v0
	v_cndmask_b32_e32 v5, 0x7f800000, v10, vcc_lo
	s_delay_alu instid0(VALU_DEP_3) | instskip(SKIP_2) | instid1(VALU_DEP_3)
	v_mul_f32_e32 v10, s11, v8
	v_cmp_le_f32_e32 vcc_lo, 0xc1a00000, v0
	v_mov_b32_e32 v0, v7
	v_mov_b32_e32 v6, v10
	s_waitcnt vmcnt(0)
	v_dual_cndmask_b32 v12, 0, v5 :: v_dual_mul_f32 v5, v4, v8
	s_delay_alu instid0(VALU_DEP_1) | instskip(NEXT) | instid1(VALU_DEP_2)
	v_dual_fmac_f32 v6, v11, v12 :: v_dual_add_nc_u32 v3, 0xffffe000, v3
	v_fmac_f32_e32 v5, v9, v12
	s_cbranch_scc0 .LBB7_3
	s_branch .LBB7_5
.LBB7_4:
	s_waitcnt lgkmcnt(0)
	v_mov_b32_e32 v6, s11
.LBB7_5:
	s_waitcnt vmcnt(0)
	s_delay_alu instid0(VALU_DEP_1) | instskip(NEXT) | instid1(VALU_DEP_1)
	v_div_scale_f32 v0, null, v6, v6, v5
	v_rcp_f32_e32 v3, v0
	s_waitcnt_depctr 0xfff
	v_fma_f32 v4, -v0, v3, 1.0
	s_delay_alu instid0(VALU_DEP_1) | instskip(SKIP_1) | instid1(VALU_DEP_1)
	v_fmac_f32_e32 v3, v4, v3
	v_div_scale_f32 v4, vcc_lo, v5, v6, v5
	v_mul_f32_e32 v7, v4, v3
	s_delay_alu instid0(VALU_DEP_1) | instskip(NEXT) | instid1(VALU_DEP_1)
	v_fma_f32 v8, -v0, v7, v4
	v_fmac_f32_e32 v7, v8, v3
	s_delay_alu instid0(VALU_DEP_1) | instskip(NEXT) | instid1(VALU_DEP_1)
	v_fma_f32 v0, -v0, v7, v4
	v_div_fmas_f32 v0, v0, v3, v7
	s_delay_alu instid0(VALU_DEP_1)
	v_div_fixup_f32 v0, v0, v6, v5
	global_store_b32 v[1:2], v0, off
.LBB7_6:
	s_nop 0
	s_sendmsg sendmsg(MSG_DEALLOC_VGPRS)
	s_endpgm
	.section	.rodata,"a",@progbits
	.p2align	6, 0x0
	.amdhsa_kernel _ZL33flash_attn_stream_k_fixup_uniformILi512ELi2ELi8EEvPfPK15HIP_vector_typeIfLj2EEiiiiiiS1_IjLj3EES5_S5_
		.amdhsa_group_segment_fixed_size 0
		.amdhsa_private_segment_fixed_size 0
		.amdhsa_kernarg_size 76
		.amdhsa_user_sgpr_count 13
		.amdhsa_user_sgpr_dispatch_ptr 0
		.amdhsa_user_sgpr_queue_ptr 0
		.amdhsa_user_sgpr_kernarg_segment_ptr 1
		.amdhsa_user_sgpr_dispatch_id 0
		.amdhsa_user_sgpr_private_segment_size 0
		.amdhsa_wavefront_size32 1
		.amdhsa_uses_dynamic_stack 0
		.amdhsa_enable_private_segment 0
		.amdhsa_system_sgpr_workgroup_id_x 1
		.amdhsa_system_sgpr_workgroup_id_y 1
		.amdhsa_system_sgpr_workgroup_id_z 1
		.amdhsa_system_sgpr_workgroup_info 0
		.amdhsa_system_vgpr_workitem_id 0
		.amdhsa_next_free_vgpr 15
		.amdhsa_next_free_sgpr 20
		.amdhsa_reserve_vcc 1
		.amdhsa_float_round_mode_32 0
		.amdhsa_float_round_mode_16_64 0
		.amdhsa_float_denorm_mode_32 3
		.amdhsa_float_denorm_mode_16_64 3
		.amdhsa_dx10_clamp 1
		.amdhsa_ieee_mode 1
		.amdhsa_fp16_overflow 0
		.amdhsa_workgroup_processor_mode 1
		.amdhsa_memory_ordered 1
		.amdhsa_forward_progress 0
		.amdhsa_shared_vgpr_count 0
		.amdhsa_exception_fp_ieee_invalid_op 0
		.amdhsa_exception_fp_denorm_src 0
		.amdhsa_exception_fp_ieee_div_zero 0
		.amdhsa_exception_fp_ieee_overflow 0
		.amdhsa_exception_fp_ieee_underflow 0
		.amdhsa_exception_fp_ieee_inexact 0
		.amdhsa_exception_int_div_zero 0
	.end_amdhsa_kernel
	.section	.text._ZL33flash_attn_stream_k_fixup_uniformILi512ELi2ELi8EEvPfPK15HIP_vector_typeIfLj2EEiiiiiiS1_IjLj3EES5_S5_,"axG",@progbits,_ZL33flash_attn_stream_k_fixup_uniformILi512ELi2ELi8EEvPfPK15HIP_vector_typeIfLj2EEiiiiiiS1_IjLj3EES5_S5_,comdat
.Lfunc_end7:
	.size	_ZL33flash_attn_stream_k_fixup_uniformILi512ELi2ELi8EEvPfPK15HIP_vector_typeIfLj2EEiiiiiiS1_IjLj3EES5_S5_, .Lfunc_end7-_ZL33flash_attn_stream_k_fixup_uniformILi512ELi2ELi8EEvPfPK15HIP_vector_typeIfLj2EEiiiiiiS1_IjLj3EES5_S5_
                                        ; -- End function
	.section	.AMDGPU.csdata,"",@progbits
; Kernel info:
; codeLenInByte = 996
; NumSgprs: 22
; NumVgprs: 15
; ScratchSize: 0
; MemoryBound: 0
; FloatMode: 240
; IeeeMode: 1
; LDSByteSize: 0 bytes/workgroup (compile time only)
; SGPRBlocks: 2
; VGPRBlocks: 1
; NumSGPRsForWavesPerEU: 22
; NumVGPRsForWavesPerEU: 15
; Occupancy: 16
; WaveLimiterHint : 0
; COMPUTE_PGM_RSRC2:SCRATCH_EN: 0
; COMPUTE_PGM_RSRC2:USER_SGPR: 13
; COMPUTE_PGM_RSRC2:TRAP_HANDLER: 0
; COMPUTE_PGM_RSRC2:TGID_X_EN: 1
; COMPUTE_PGM_RSRC2:TGID_Y_EN: 1
; COMPUTE_PGM_RSRC2:TGID_Z_EN: 1
; COMPUTE_PGM_RSRC2:TIDIG_COMP_CNT: 0
	.section	.text._ZL33flash_attn_stream_k_fixup_generalILi512ELi2ELi8EEvPfPK15HIP_vector_typeIfLj2EEiiiiS1_IjLj3EES5_S5_S5_,"axG",@progbits,_ZL33flash_attn_stream_k_fixup_generalILi512ELi2ELi8EEvPfPK15HIP_vector_typeIfLj2EEiiiiS1_IjLj3EES5_S5_S5_,comdat
	.globl	_ZL33flash_attn_stream_k_fixup_generalILi512ELi2ELi8EEvPfPK15HIP_vector_typeIfLj2EEiiiiS1_IjLj3EES5_S5_S5_ ; -- Begin function _ZL33flash_attn_stream_k_fixup_generalILi512ELi2ELi8EEvPfPK15HIP_vector_typeIfLj2EEiiiiS1_IjLj3EES5_S5_S5_
	.p2align	8
	.type	_ZL33flash_attn_stream_k_fixup_generalILi512ELi2ELi8EEvPfPK15HIP_vector_typeIfLj2EEiiiiS1_IjLj3EES5_S5_S5_,@function
_ZL33flash_attn_stream_k_fixup_generalILi512ELi2ELi8EEvPfPK15HIP_vector_typeIfLj2EEiiiiS1_IjLj3EES5_S5_S5_: ; @_ZL33flash_attn_stream_k_fixup_generalILi512ELi2ELi8EEvPfPK15HIP_vector_typeIfLj2EEiiiiS1_IjLj3EES5_S5_S5_
; %bb.0:
	s_clause 0x1
	s_load_b128 s[4:7], s[0:1], 0x10
	s_load_b32 s20, s[0:1], 0x50
	s_mov_b32 s2, 0
	s_waitcnt lgkmcnt(0)
	s_mul_hi_i32 s3, s7, s13
	s_mul_i32 s12, s7, s13
	s_cmp_lg_u64 s[2:3], 0
	s_cbranch_scc0 .LBB8_21
; %bb.1:
	v_cvt_f32_ubyte0_e32 v1, 0
	v_cvt_f32_u32_e32 v2, s20
	s_sub_u32 s10, 0, s20
	s_subb_u32 s11, 0, 0
	s_delay_alu instid0(VALU_DEP_1) | instskip(NEXT) | instid1(VALU_DEP_1)
	v_fmamk_f32 v1, v1, 0x4f800000, v2
	v_rcp_f32_e32 v1, v1
	s_waitcnt_depctr 0xfff
	v_mul_f32_e32 v1, 0x5f7ffffc, v1
	s_delay_alu instid0(VALU_DEP_1) | instskip(NEXT) | instid1(VALU_DEP_1)
	v_mul_f32_e32 v2, 0x2f800000, v1
	v_trunc_f32_e32 v2, v2
	s_delay_alu instid0(VALU_DEP_1) | instskip(SKIP_1) | instid1(VALU_DEP_2)
	v_fmamk_f32 v1, v2, 0xcf800000, v1
	v_cvt_u32_f32_e32 v2, v2
	v_cvt_u32_f32_e32 v1, v1
	s_delay_alu instid0(VALU_DEP_2) | instskip(NEXT) | instid1(VALU_DEP_2)
	v_readfirstlane_b32 s8, v2
	v_readfirstlane_b32 s9, v1
	s_delay_alu instid0(VALU_DEP_2) | instskip(NEXT) | instid1(VALU_DEP_1)
	s_mul_i32 s16, s10, s8
	s_mul_hi_u32 s18, s10, s9
	s_mul_i32 s17, s11, s9
	s_add_i32 s16, s18, s16
	s_mul_i32 s19, s10, s9
	s_add_i32 s16, s16, s17
	s_mul_hi_u32 s18, s9, s19
	s_mul_hi_u32 s21, s8, s19
	s_mul_i32 s17, s8, s19
	s_mul_hi_u32 s19, s9, s16
	s_mul_i32 s9, s9, s16
	s_mul_hi_u32 s22, s8, s16
	s_add_u32 s9, s18, s9
	s_addc_u32 s18, 0, s19
	s_add_u32 s9, s9, s17
	s_mul_i32 s16, s8, s16
	s_addc_u32 s9, s18, s21
	s_addc_u32 s17, s22, 0
	s_add_u32 s9, s9, s16
	s_addc_u32 s16, 0, s17
	v_add_co_u32 v1, s9, v1, s9
	s_delay_alu instid0(VALU_DEP_1) | instskip(SKIP_1) | instid1(VALU_DEP_1)
	s_cmp_lg_u32 s9, 0
	s_addc_u32 s8, s8, s16
	v_readfirstlane_b32 s9, v1
	s_mul_i32 s16, s10, s8
	s_delay_alu instid0(VALU_DEP_1)
	s_mul_hi_u32 s17, s10, s9
	s_mul_i32 s11, s11, s9
	s_add_i32 s16, s17, s16
	s_mul_i32 s10, s10, s9
	s_add_i32 s16, s16, s11
	s_mul_hi_u32 s17, s8, s10
	s_mul_i32 s18, s8, s10
	s_mul_hi_u32 s10, s9, s10
	s_mul_hi_u32 s19, s9, s16
	s_mul_i32 s9, s9, s16
	s_mul_hi_u32 s11, s8, s16
	s_add_u32 s9, s10, s9
	s_addc_u32 s10, 0, s19
	s_add_u32 s9, s9, s18
	s_mul_i32 s16, s8, s16
	s_addc_u32 s9, s10, s17
	s_addc_u32 s10, s11, 0
	s_add_u32 s9, s9, s16
	s_addc_u32 s10, 0, s10
	v_add_co_u32 v1, s9, v1, s9
	s_delay_alu instid0(VALU_DEP_1) | instskip(SKIP_2) | instid1(SALU_CYCLE_1)
	s_cmp_lg_u32 s9, 0
	s_addc_u32 s16, s8, s10
	s_ashr_i32 s8, s3, 31
	s_add_u32 s10, s12, s8
	s_addc_u32 s11, s3, s8
	v_readfirstlane_b32 s3, v1
	s_mov_b32 s9, s8
	s_delay_alu instid0(SALU_CYCLE_1) | instskip(NEXT) | instid1(SALU_CYCLE_1)
	s_xor_b64 s[10:11], s[10:11], s[8:9]
	s_mul_i32 s18, s10, s16
	s_delay_alu instid0(VALU_DEP_1)
	s_mul_hi_u32 s19, s10, s3
	s_mul_hi_u32 s17, s10, s16
	;; [unrolled: 1-line block ×3, first 2 shown]
	s_mul_i32 s3, s11, s3
	s_add_u32 s18, s19, s18
	s_addc_u32 s17, 0, s17
	s_mul_hi_u32 s21, s11, s16
	s_add_u32 s3, s18, s3
	s_mul_i32 s16, s11, s16
	s_addc_u32 s3, s17, s22
	s_addc_u32 s17, s21, 0
	s_add_u32 s3, s3, s16
	s_addc_u32 s16, 0, s17
	s_mul_i32 s18, s20, s3
	s_add_u32 s17, s3, 1
	v_sub_co_u32 v1, s10, s10, s18
	s_mul_hi_u32 s18, s20, s3
	s_addc_u32 s19, s16, 0
	s_mul_i32 s21, s20, s16
	s_delay_alu instid0(VALU_DEP_1)
	v_sub_co_u32 v2, s22, v1, s20
	s_add_u32 s23, s3, 2
	s_addc_u32 s24, s16, 0
	s_add_i32 s18, s18, s21
	s_cmp_lg_u32 s10, 0
	v_readfirstlane_b32 s10, v2
	s_subb_u32 s11, s11, s18
	s_cmp_lg_u32 s22, 0
	s_subb_u32 s18, s11, 0
	s_delay_alu instid0(VALU_DEP_1) | instskip(SKIP_4) | instid1(SALU_CYCLE_1)
	s_cmp_ge_u32 s10, s20
	s_cselect_b32 s10, -1, 0
	s_cmp_eq_u32 s18, 0
	v_readfirstlane_b32 s18, v1
	s_cselect_b32 s10, s10, -1
	s_cmp_lg_u32 s10, 0
	s_cselect_b32 s10, s23, s17
	s_cselect_b32 s17, s24, s19
	s_cmp_ge_u32 s18, s20
	s_cselect_b32 s18, -1, 0
	s_cmp_eq_u32 s11, 0
	s_cselect_b32 s11, s18, -1
	s_delay_alu instid0(SALU_CYCLE_1) | instskip(SKIP_2) | instid1(SALU_CYCLE_1)
	s_cmp_lg_u32 s11, 0
	s_cselect_b32 s11, s17, s16
	s_cselect_b32 s10, s10, s3
	s_xor_b64 s[10:11], s[10:11], s[8:9]
	s_delay_alu instid0(SALU_CYCLE_1)
	s_sub_u32 s16, s10, s8
	s_load_b128 s[8:11], s[0:1], 0x44
	s_and_not1_b32 vcc_lo, exec_lo, s2
	s_cbranch_vccnz .LBB8_3
.LBB8_2:
	v_cvt_f32_u32_e32 v1, s20
	s_sub_i32 s3, 0, s20
	s_delay_alu instid0(VALU_DEP_1) | instskip(SKIP_2) | instid1(VALU_DEP_1)
	v_rcp_iflag_f32_e32 v1, v1
	s_waitcnt_depctr 0xfff
	v_mul_f32_e32 v1, 0x4f7ffffe, v1
	v_cvt_u32_f32_e32 v1, v1
	s_delay_alu instid0(VALU_DEP_1) | instskip(NEXT) | instid1(VALU_DEP_1)
	v_readfirstlane_b32 s2, v1
	s_mul_i32 s3, s3, s2
	s_delay_alu instid0(SALU_CYCLE_1) | instskip(NEXT) | instid1(SALU_CYCLE_1)
	s_mul_hi_u32 s3, s2, s3
	s_add_i32 s2, s2, s3
	s_delay_alu instid0(SALU_CYCLE_1) | instskip(NEXT) | instid1(SALU_CYCLE_1)
	s_mul_hi_u32 s2, s12, s2
	s_mul_i32 s3, s2, s20
	s_waitcnt lgkmcnt(0)
	s_add_i32 s11, s2, 1
	s_sub_i32 s3, s12, s3
	s_delay_alu instid0(SALU_CYCLE_1)
	s_sub_i32 s12, s3, s20
	s_cmp_ge_u32 s3, s20
	s_cselect_b32 s2, s11, s2
	s_cselect_b32 s3, s12, s3
	s_add_i32 s11, s2, 1
	s_cmp_ge_u32 s3, s20
	s_cselect_b32 s16, s11, s2
.LBB8_3:
	s_waitcnt lgkmcnt(0)
	s_add_i32 s11, s13, 1
	s_mov_b32 s2, 0
	s_mul_hi_i32 s3, s7, s11
	s_mul_i32 s11, s7, s11
	s_cmp_lg_u64 s[2:3], 0
	s_cbranch_scc0 .LBB8_22
; %bb.4:
	v_cvt_f32_ubyte0_e32 v1, 0
	v_cvt_f32_u32_e32 v2, s20
	s_sub_u32 s18, 0, s20
	s_subb_u32 s19, 0, 0
	s_delay_alu instid0(VALU_DEP_1) | instskip(NEXT) | instid1(VALU_DEP_1)
	v_fmamk_f32 v1, v1, 0x4f800000, v2
	v_rcp_f32_e32 v1, v1
	s_waitcnt_depctr 0xfff
	v_mul_f32_e32 v1, 0x5f7ffffc, v1
	s_delay_alu instid0(VALU_DEP_1) | instskip(NEXT) | instid1(VALU_DEP_1)
	v_mul_f32_e32 v2, 0x2f800000, v1
	v_trunc_f32_e32 v2, v2
	s_delay_alu instid0(VALU_DEP_1) | instskip(SKIP_1) | instid1(VALU_DEP_2)
	v_fmamk_f32 v1, v2, 0xcf800000, v1
	v_cvt_u32_f32_e32 v2, v2
	v_cvt_u32_f32_e32 v1, v1
	s_delay_alu instid0(VALU_DEP_2) | instskip(NEXT) | instid1(VALU_DEP_2)
	v_readfirstlane_b32 s12, v2
	v_readfirstlane_b32 s17, v1
	s_delay_alu instid0(VALU_DEP_2) | instskip(NEXT) | instid1(VALU_DEP_1)
	s_mul_i32 s21, s18, s12
	s_mul_hi_u32 s23, s18, s17
	s_mul_i32 s22, s19, s17
	s_add_i32 s21, s23, s21
	s_mul_i32 s24, s18, s17
	s_add_i32 s21, s21, s22
	s_mul_hi_u32 s23, s17, s24
	s_mul_hi_u32 s25, s12, s24
	s_mul_i32 s22, s12, s24
	s_mul_hi_u32 s24, s17, s21
	s_mul_i32 s17, s17, s21
	s_mul_hi_u32 s26, s12, s21
	s_add_u32 s17, s23, s17
	s_addc_u32 s23, 0, s24
	s_add_u32 s17, s17, s22
	s_mul_i32 s21, s12, s21
	s_addc_u32 s17, s23, s25
	s_addc_u32 s22, s26, 0
	s_add_u32 s17, s17, s21
	s_addc_u32 s21, 0, s22
	v_add_co_u32 v1, s17, v1, s17
	s_delay_alu instid0(VALU_DEP_1) | instskip(SKIP_1) | instid1(VALU_DEP_1)
	s_cmp_lg_u32 s17, 0
	s_addc_u32 s12, s12, s21
	v_readfirstlane_b32 s17, v1
	s_mul_i32 s21, s18, s12
	s_delay_alu instid0(VALU_DEP_1)
	s_mul_hi_u32 s22, s18, s17
	s_mul_i32 s19, s19, s17
	s_add_i32 s21, s22, s21
	s_mul_i32 s18, s18, s17
	s_add_i32 s21, s21, s19
	s_mul_hi_u32 s22, s12, s18
	s_mul_i32 s23, s12, s18
	s_mul_hi_u32 s18, s17, s18
	s_mul_hi_u32 s24, s17, s21
	s_mul_i32 s17, s17, s21
	s_mul_hi_u32 s19, s12, s21
	s_add_u32 s17, s18, s17
	s_addc_u32 s18, 0, s24
	s_add_u32 s17, s17, s23
	s_mul_i32 s21, s12, s21
	s_addc_u32 s17, s18, s22
	s_addc_u32 s18, s19, 0
	s_add_u32 s17, s17, s21
	s_addc_u32 s18, 0, s18
	v_add_co_u32 v1, s17, v1, s17
	s_delay_alu instid0(VALU_DEP_1) | instskip(SKIP_2) | instid1(SALU_CYCLE_1)
	s_cmp_lg_u32 s17, 0
	s_addc_u32 s12, s12, s18
	s_ashr_i32 s18, s3, 31
	s_add_u32 s22, s11, s18
	s_addc_u32 s23, s3, s18
	v_readfirstlane_b32 s3, v1
	s_mov_b32 s19, s18
	s_delay_alu instid0(SALU_CYCLE_1) | instskip(NEXT) | instid1(SALU_CYCLE_1)
	s_xor_b64 s[22:23], s[22:23], s[18:19]
	s_mul_i32 s21, s22, s12
	s_delay_alu instid0(VALU_DEP_1)
	s_mul_hi_u32 s24, s22, s3
	s_mul_hi_u32 s17, s22, s12
	;; [unrolled: 1-line block ×3, first 2 shown]
	s_mul_i32 s3, s23, s3
	s_add_u32 s21, s24, s21
	s_addc_u32 s17, 0, s17
	s_mul_hi_u32 s25, s23, s12
	s_add_u32 s3, s21, s3
	s_mul_i32 s12, s23, s12
	s_addc_u32 s3, s17, s26
	s_addc_u32 s17, s25, 0
	s_add_u32 s3, s3, s12
	s_addc_u32 s12, 0, s17
	s_mul_i32 s21, s20, s3
	s_add_u32 s17, s3, 1
	v_sub_co_u32 v1, s21, s22, s21
	s_mul_hi_u32 s22, s20, s3
	s_addc_u32 s24, s12, 0
	s_mul_i32 s25, s20, s12
	s_delay_alu instid0(VALU_DEP_1)
	v_sub_co_u32 v2, s26, v1, s20
	s_add_u32 s27, s3, 2
	s_addc_u32 s28, s12, 0
	s_add_i32 s22, s22, s25
	s_cmp_lg_u32 s21, 0
	v_readfirstlane_b32 s21, v2
	s_subb_u32 s22, s23, s22
	s_cmp_lg_u32 s26, 0
	s_subb_u32 s23, s22, 0
	s_delay_alu instid0(VALU_DEP_1) | instskip(SKIP_4) | instid1(SALU_CYCLE_1)
	s_cmp_ge_u32 s21, s20
	s_cselect_b32 s21, -1, 0
	s_cmp_eq_u32 s23, 0
	v_readfirstlane_b32 s23, v1
	s_cselect_b32 s21, s21, -1
	s_cmp_lg_u32 s21, 0
	s_cselect_b32 s17, s27, s17
	s_cselect_b32 s21, s28, s24
	s_cmp_ge_u32 s23, s20
	s_cselect_b32 s23, -1, 0
	s_cmp_eq_u32 s22, 0
	s_cselect_b32 s22, s23, -1
	s_delay_alu instid0(SALU_CYCLE_1) | instskip(SKIP_2) | instid1(SALU_CYCLE_1)
	s_cmp_lg_u32 s22, 0
	s_cselect_b32 s23, s21, s12
	s_cselect_b32 s22, s17, s3
	s_xor_b64 s[22:23], s[22:23], s[18:19]
	s_delay_alu instid0(SALU_CYCLE_1)
	s_sub_u32 s18, s22, s18
	s_and_not1_b32 vcc_lo, exec_lo, s2
	s_cbranch_vccnz .LBB8_6
.LBB8_5:
	v_cvt_f32_u32_e32 v1, s20
	s_sub_i32 s3, 0, s20
	s_delay_alu instid0(VALU_DEP_1) | instskip(SKIP_2) | instid1(VALU_DEP_1)
	v_rcp_iflag_f32_e32 v1, v1
	s_waitcnt_depctr 0xfff
	v_mul_f32_e32 v1, 0x4f7ffffe, v1
	v_cvt_u32_f32_e32 v1, v1
	s_delay_alu instid0(VALU_DEP_1) | instskip(NEXT) | instid1(VALU_DEP_1)
	v_readfirstlane_b32 s2, v1
	s_mul_i32 s3, s3, s2
	s_delay_alu instid0(SALU_CYCLE_1) | instskip(NEXT) | instid1(SALU_CYCLE_1)
	s_mul_hi_u32 s3, s2, s3
	s_add_i32 s2, s2, s3
	s_delay_alu instid0(SALU_CYCLE_1) | instskip(NEXT) | instid1(SALU_CYCLE_1)
	s_mul_hi_u32 s2, s11, s2
	s_mul_i32 s3, s2, s20
	s_delay_alu instid0(SALU_CYCLE_1)
	s_sub_i32 s3, s11, s3
	s_add_i32 s11, s2, 1
	s_sub_i32 s12, s3, s20
	s_cmp_ge_u32 s3, s20
	s_cselect_b32 s2, s11, s2
	s_cselect_b32 s3, s12, s3
	s_add_i32 s11, s2, 1
	s_cmp_ge_u32 s3, s20
	s_cselect_b32 s18, s11, s2
.LBB8_6:
	s_delay_alu instid0(SALU_CYCLE_1) | instskip(SKIP_3) | instid1(SALU_CYCLE_1)
	s_cmp_eq_u32 s16, s18
	s_mul_hi_u32 s2, s16, s8
	s_cselect_b32 s3, -1, 0
	s_add_i32 s2, s2, s16
	s_lshr_b32 s11, s2, s9
	s_delay_alu instid0(SALU_CYCLE_1) | instskip(NEXT) | instid1(SALU_CYCLE_1)
	s_mul_i32 s2, s11, s10
	s_cmp_eq_u32 s2, s16
	s_mul_hi_u32 s2, s18, s8
	s_cselect_b32 s12, -1, 0
	s_add_i32 s2, s2, s18
	s_delay_alu instid0(SALU_CYCLE_1) | instskip(NEXT) | instid1(SALU_CYCLE_1)
	s_lshr_b32 s2, s2, s9
	s_cmp_eq_u32 s11, s2
	s_mul_i32 s2, s2, s10
	s_cselect_b32 s17, -1, 0
	s_cmp_lg_u32 s2, s18
	s_cselect_b32 s2, -1, 0
	s_or_b32 s3, s3, s12
	s_and_b32 s2, s17, s2
	s_delay_alu instid0(SALU_CYCLE_1) | instskip(NEXT) | instid1(SALU_CYCLE_1)
	s_or_b32 s2, s3, s2
	s_and_b32 vcc_lo, exec_lo, s2
	s_cbranch_vccnz .LBB8_24
; %bb.7:
	s_load_b256 s[24:31], s[0:1], 0x20
	s_waitcnt lgkmcnt(0)
	s_mul_hi_u32 s2, s16, s24
	s_delay_alu instid0(SALU_CYCLE_1) | instskip(NEXT) | instid1(SALU_CYCLE_1)
	s_add_i32 s2, s2, s16
	s_lshr_b32 s17, s2, s25
	s_load_b32 s2, s[0:1], 0x40
	s_mul_i32 s3, s17, s26
	s_delay_alu instid0(SALU_CYCLE_1) | instskip(NEXT) | instid1(SALU_CYCLE_1)
	s_sub_i32 s3, s16, s3
	s_mul_hi_u32 s12, s3, s27
	s_delay_alu instid0(SALU_CYCLE_1) | instskip(NEXT) | instid1(SALU_CYCLE_1)
	s_add_i32 s12, s3, s12
	s_lshr_b32 s21, s12, s28
	s_delay_alu instid0(SALU_CYCLE_1) | instskip(NEXT) | instid1(SALU_CYCLE_1)
	s_mul_i32 s12, s21, s29
	s_sub_i32 s3, s3, s12
	s_delay_alu instid0(SALU_CYCLE_1) | instskip(NEXT) | instid1(SALU_CYCLE_1)
	s_mul_hi_u32 s12, s3, s30
	s_add_i32 s12, s3, s12
	s_delay_alu instid0(SALU_CYCLE_1)
	s_lshr_b32 s12, s12, s31
	s_waitcnt lgkmcnt(0)
	s_mul_i32 s2, s12, s2
	s_lshl_b32 s23, s12, 3
	s_sub_i32 s2, s3, s2
	s_mov_b32 s12, 0
	s_mul_hi_u32 s3, s2, s8
	s_delay_alu instid0(SALU_CYCLE_1) | instskip(NEXT) | instid1(SALU_CYCLE_1)
	s_add_i32 s2, s2, s3
	s_lshr_b32 s22, s2, s9
	s_delay_alu instid0(SALU_CYCLE_1) | instskip(NEXT) | instid1(SALU_CYCLE_1)
	s_lshl_b32 s2, s22, 1
	s_add_i32 s2, s2, s14
	s_delay_alu instid0(SALU_CYCLE_1) | instskip(SKIP_2) | instid1(SALU_CYCLE_1)
	s_cmp_lt_i32 s2, s4
	s_cselect_b32 s2, -1, 0
	s_add_i32 s3, s23, s15
	s_cmp_lt_i32 s3, s6
	s_cselect_b32 s3, -1, 0
	s_delay_alu instid0(SALU_CYCLE_1) | instskip(NEXT) | instid1(SALU_CYCLE_1)
	s_and_b32 s2, s2, s3
	s_and_not1_b32 vcc_lo, exec_lo, s2
	s_cbranch_vccnz .LBB8_24
; %bb.8:
	s_load_b128 s[0:3], s[0:1], 0x0
	s_lshl_b32 s18, s20, 6
	s_mov_b32 s19, s12
	s_lshl_b32 s24, s14, 3
	s_lshl_b64 s[18:19], s[18:19], 2
	s_mul_i32 s4, s17, s4
	s_add_i32 s17, s24, s15
	s_mul_i32 s21, s21, s6
	v_cvt_f32_ubyte0_e32 v4, 0
	v_cvt_f32_u32_e32 v5, s20
	s_waitcnt lgkmcnt(0)
	s_add_u32 s18, s2, s18
	s_addc_u32 s19, s3, s19
	s_add_i32 s4, s4, s14
	s_delay_alu instid0(SALU_CYCLE_1) | instskip(SKIP_4) | instid1(SALU_CYCLE_1)
	s_mul_i32 s4, s4, s5
	s_mul_i32 s5, s5, s22
	s_add_i32 s4, s4, s15
	s_lshl_b32 s5, s5, 10
	s_add_i32 s4, s4, s21
	s_add_i32 s4, s4, s23
	s_delay_alu instid0(SALU_CYCLE_1) | instskip(NEXT) | instid1(SALU_CYCLE_1)
	s_lshl_b32 s4, s4, 9
	s_add_i32 s5, s5, s4
	s_delay_alu instid0(SALU_CYCLE_1) | instskip(SKIP_1) | instid1(VALU_DEP_2)
	v_or_b32_e32 v1, s5, v0
	v_lshl_or_b32 v0, s17, 9, v0
	v_ashrrev_i32_e32 v2, 31, v1
	s_delay_alu instid0(VALU_DEP_1) | instskip(NEXT) | instid1(VALU_DEP_1)
	v_lshlrev_b64 v[1:2], 2, v[1:2]
	v_add_co_u32 v1, vcc_lo, s0, v1
	s_delay_alu instid0(VALU_DEP_2) | instskip(SKIP_1) | instid1(SALU_CYCLE_1)
	v_add_co_ci_u32_e32 v2, vcc_lo, s1, v2, vcc_lo
	s_lshl_b32 s0, s13, 4
	s_add_i32 s0, s17, s0
	global_load_b32 v3, v[1:2], off
	s_ashr_i32 s1, s0, 31
	s_delay_alu instid0(SALU_CYCLE_1) | instskip(NEXT) | instid1(SALU_CYCLE_1)
	s_lshl_b64 s[0:1], s[0:1], 3
	s_add_u32 s0, s2, s0
	s_addc_u32 s1, s3, s1
	s_add_i32 s14, s13, -1
	s_load_b64 s[0:1], s[0:1], 0x0
	v_fmac_f32_e32 v5, 0x4f800000, v4
	s_sub_i32 s6, 0, s20
	s_waitcnt lgkmcnt(0)
	v_mov_b32_e32 v8, s0
	s_delay_alu instid0(VALU_DEP_2) | instskip(SKIP_2) | instid1(VALU_DEP_2)
	v_rcp_f32_e32 v4, v5
	v_cvt_f32_u32_e32 v5, s20
	v_mov_b32_e32 v7, s1
	v_rcp_iflag_f32_e32 v5, v5
	s_waitcnt_depctr 0xfff
	v_mul_f32_e32 v4, 0x5f7ffffc, v4
	s_delay_alu instid0(VALU_DEP_1) | instskip(SKIP_1) | instid1(VALU_DEP_2)
	v_mul_f32_e32 v6, 0x2f800000, v4
	v_mul_f32_e32 v9, 0x4f7ffffe, v5
	v_trunc_f32_e32 v6, v6
	s_delay_alu instid0(VALU_DEP_1) | instskip(SKIP_1) | instid1(VALU_DEP_4)
	v_fmac_f32_e32 v4, 0xcf800000, v6
	v_cvt_u32_f32_e32 v5, v6
	v_cvt_u32_f32_e32 v6, v9
	s_delay_alu instid0(VALU_DEP_3)
	v_cvt_u32_f32_e32 v4, v4
.LBB8_9:                                ; =>This Inner Loop Header: Depth=1
	s_mul_hi_i32 s13, s14, s7
	s_mul_i32 s4, s14, s7
	s_cmp_lg_u64 s[12:13], 0
	s_mov_b32 s5, -1
                                        ; implicit-def: $sgpr0_sgpr1
	s_cbranch_scc0 .LBB8_11
; %bb.10:                               ;   in Loop: Header=BB8_9 Depth=1
	v_readfirstlane_b32 s0, v4
	v_readfirstlane_b32 s1, v5
	s_sub_u32 s5, 0, s20
	s_subb_u32 s15, 0, 0
	s_delay_alu instid0(VALU_DEP_2) | instskip(NEXT) | instid1(VALU_DEP_1)
	s_mul_hi_u32 s21, s5, s0
	s_mul_i32 s22, s5, s1
	s_mul_i32 s23, s15, s0
	s_add_i32 s21, s21, s22
	s_mul_i32 s22, s5, s0
	s_add_i32 s21, s21, s23
	s_mul_hi_u32 s23, s0, s22
	s_mul_i32 s24, s0, s21
	s_mul_hi_u32 s0, s0, s21
	s_add_u32 s23, s23, s24
	s_mul_i32 s25, s1, s22
	s_addc_u32 s0, 0, s0
	s_mul_hi_u32 s22, s1, s22
	s_mul_hi_u32 s24, s1, s21
	s_add_u32 s23, s23, s25
	s_addc_u32 s0, s0, s22
	s_mul_i32 s21, s1, s21
	s_addc_u32 s22, s24, 0
	s_add_u32 s0, s0, s21
	s_addc_u32 s21, 0, s22
	v_add_co_u32 v9, s0, v4, s0
	s_delay_alu instid0(VALU_DEP_1) | instskip(SKIP_1) | instid1(VALU_DEP_1)
	s_cmp_lg_u32 s0, 0
	s_addc_u32 s1, s1, s21
	v_readfirstlane_b32 s0, v9
	s_mul_i32 s21, s5, s1
	s_delay_alu instid0(VALU_DEP_1)
	s_mul_hi_u32 s22, s5, s0
	s_mul_i32 s15, s15, s0
	s_add_i32 s21, s22, s21
	s_mul_i32 s5, s5, s0
	s_add_i32 s21, s21, s15
	s_mul_hi_u32 s15, s1, s5
	s_mul_i32 s23, s1, s5
	s_mul_i32 s24, s0, s21
	s_mul_hi_u32 s5, s0, s5
	s_mul_hi_u32 s0, s0, s21
	s_add_u32 s5, s5, s24
	s_addc_u32 s0, 0, s0
	s_mul_hi_u32 s22, s1, s21
	s_add_u32 s5, s5, s23
	s_addc_u32 s0, s0, s15
	s_mul_i32 s5, s1, s21
	s_addc_u32 s15, s22, 0
	s_add_u32 s0, s0, s5
	s_addc_u32 s5, 0, s15
	v_add_co_u32 v9, s0, v9, s0
	s_delay_alu instid0(VALU_DEP_1) | instskip(SKIP_2) | instid1(SALU_CYCLE_1)
	s_cmp_lg_u32 s0, 0
	s_addc_u32 s5, s1, s5
	s_ashr_i32 s0, s13, 31
	s_add_u32 s22, s4, s0
	s_addc_u32 s23, s13, s0
	v_readfirstlane_b32 s13, v9
	s_mov_b32 s1, s0
	s_delay_alu instid0(SALU_CYCLE_1) | instskip(NEXT) | instid1(SALU_CYCLE_1)
	s_xor_b64 s[22:23], s[22:23], s[0:1]
	s_mul_i32 s15, s22, s5
	s_delay_alu instid0(VALU_DEP_1)
	s_mul_hi_u32 s21, s22, s13
	s_mul_hi_u32 s24, s22, s5
	s_add_u32 s15, s21, s15
	s_mul_i32 s25, s23, s13
	s_addc_u32 s21, 0, s24
	s_mul_hi_u32 s13, s23, s13
	s_mul_hi_u32 s24, s23, s5
	s_add_u32 s15, s15, s25
	s_addc_u32 s13, s21, s13
	s_mul_i32 s5, s23, s5
	s_addc_u32 s15, s24, 0
	s_add_u32 s5, s13, s5
	s_addc_u32 s13, 0, s15
	s_mul_i32 s21, s20, s5
	s_add_u32 s15, s5, 1
	v_sub_co_u32 v9, s21, s22, s21
	s_addc_u32 s22, s13, 0
	s_mul_i32 s25, s20, s13
	s_mul_hi_u32 s27, s20, s5
	s_delay_alu instid0(VALU_DEP_1)
	v_sub_co_u32 v10, s26, v9, s20
	s_add_u32 s24, s5, 2
	s_addc_u32 s28, s13, 0
	s_add_i32 s27, s27, s25
	s_cmp_lg_u32 s21, 0
	v_readfirstlane_b32 s21, v10
	s_subb_u32 s23, s23, s27
	s_cmp_lg_u32 s26, 0
	s_subb_u32 s25, s23, 0
	s_delay_alu instid0(VALU_DEP_1) | instskip(SKIP_4) | instid1(SALU_CYCLE_1)
	s_cmp_ge_u32 s21, s20
	s_cselect_b32 s21, -1, 0
	s_cmp_eq_u32 s25, 0
	v_readfirstlane_b32 s25, v9
	s_cselect_b32 s21, s21, -1
	s_cmp_lg_u32 s21, 0
	s_cselect_b32 s15, s24, s15
	s_cselect_b32 s21, s28, s22
	s_cmp_ge_u32 s25, s20
	s_cselect_b32 s22, -1, 0
	s_cmp_eq_u32 s23, 0
	s_cselect_b32 s22, s22, -1
	s_delay_alu instid0(SALU_CYCLE_1) | instskip(SKIP_4) | instid1(SALU_CYCLE_1)
	s_cmp_lg_u32 s22, 0
	s_cselect_b32 s23, s21, s13
	s_cselect_b32 s22, s15, s5
	s_mov_b32 s5, 0
	s_xor_b64 s[22:23], s[22:23], s[0:1]
	s_sub_u32 s0, s22, s0
.LBB8_11:                               ;   in Loop: Header=BB8_9 Depth=1
	s_and_not1_b32 vcc_lo, exec_lo, s5
	s_cbranch_vccnz .LBB8_13
; %bb.12:                               ;   in Loop: Header=BB8_9 Depth=1
	v_readfirstlane_b32 s0, v6
	s_delay_alu instid0(VALU_DEP_1) | instskip(NEXT) | instid1(SALU_CYCLE_1)
	s_mul_i32 s1, s6, s0
	s_mul_hi_u32 s1, s0, s1
	s_delay_alu instid0(SALU_CYCLE_1) | instskip(NEXT) | instid1(SALU_CYCLE_1)
	s_add_i32 s0, s0, s1
	s_mul_hi_u32 s0, s4, s0
	s_delay_alu instid0(SALU_CYCLE_1) | instskip(NEXT) | instid1(SALU_CYCLE_1)
	s_mul_i32 s1, s0, s20
	s_sub_i32 s1, s4, s1
	s_add_i32 s4, s0, 1
	s_sub_i32 s5, s1, s20
	s_cmp_ge_u32 s1, s20
	s_cselect_b32 s0, s4, s0
	s_cselect_b32 s1, s5, s1
	s_add_i32 s4, s0, 1
	s_cmp_ge_u32 s1, s20
	s_cselect_b32 s0, s4, s0
.LBB8_13:                               ;   in Loop: Header=BB8_9 Depth=1
	s_delay_alu instid0(SALU_CYCLE_1)
	s_cmp_lg_u32 s16, s0
	s_cbranch_scc0 .LBB8_17
; %bb.14:                               ;   in Loop: Header=BB8_9 Depth=1
	s_add_i32 s1, s14, s20
	s_mov_b32 s5, s12
	s_lshl_b32 s1, s1, 4
	s_mov_b32 s15, s16
	s_add_i32 s4, s1, s17
	s_mul_hi_u32 s1, s0, s8
	s_lshl_b64 s[4:5], s[4:5], 3
	s_delay_alu instid0(SALU_CYCLE_1) | instskip(SKIP_2) | instid1(SALU_CYCLE_1)
	s_add_u32 s4, s2, s4
	s_addc_u32 s5, s3, s5
	s_add_i32 s1, s1, s0
	s_lshr_b32 s1, s1, s9
	s_delay_alu instid0(SALU_CYCLE_1) | instskip(NEXT) | instid1(SALU_CYCLE_1)
	s_mul_i32 s13, s1, s10
	s_cmp_eq_u32 s13, s0
	s_cselect_b32 s13, -1, 0
	s_cmp_lt_u32 s1, s11
	s_cselect_b32 s1, -1, 0
	s_delay_alu instid0(SALU_CYCLE_1)
	s_or_b32 s1, s1, s13
	s_mov_b32 s13, -1
	s_and_b32 vcc_lo, exec_lo, s1
	s_mov_b32 s1, s14
	s_cbranch_vccnz .LBB8_16
; %bb.15:                               ;   in Loop: Header=BB8_9 Depth=1
	s_add_i32 s1, s14, -1
	s_mov_b32 s13, 0
	s_mov_b32 s15, s0
.LBB8_16:                               ;   in Loop: Header=BB8_9 Depth=1
	v_lshl_add_u32 v9, s14, 13, v0
	s_load_b64 s[4:5], s[4:5], 0x0
	s_delay_alu instid0(VALU_DEP_1) | instskip(NEXT) | instid1(VALU_DEP_1)
	v_ashrrev_i32_e32 v10, 31, v9
	v_lshlrev_b64 v[9:10], 2, v[9:10]
	s_delay_alu instid0(VALU_DEP_1) | instskip(NEXT) | instid1(VALU_DEP_2)
	v_add_co_u32 v9, vcc_lo, s18, v9
	v_add_co_ci_u32_e32 v10, vcc_lo, s19, v10, vcc_lo
	s_waitcnt lgkmcnt(0)
	v_max_f32_e64 v11, s4, s4
	global_load_b32 v10, v[9:10], off
	v_max_f32_e32 v9, v8, v8
	s_delay_alu instid0(VALU_DEP_1) | instskip(NEXT) | instid1(VALU_DEP_1)
	v_max_f32_e32 v9, v9, v11
	v_sub_f32_e32 v12, v8, v9
	s_delay_alu instid0(VALU_DEP_1) | instskip(NEXT) | instid1(VALU_DEP_1)
	v_dual_mul_f32 v14, 0x3fb8aa3b, v12 :: v_dual_sub_f32 v11, s4, v9
	v_rndne_f32_e32 v18, v14
	s_delay_alu instid0(VALU_DEP_2) | instskip(SKIP_2) | instid1(VALU_DEP_4)
	v_mul_f32_e32 v13, 0x3fb8aa3b, v11
	v_fma_f32 v17, 0x3fb8aa3b, v12, -v14
	v_cmp_ngt_f32_e32 vcc_lo, 0xc2ce8ed0, v11
	v_sub_f32_e32 v14, v14, v18
	s_delay_alu instid0(VALU_DEP_4) | instskip(SKIP_2) | instid1(VALU_DEP_3)
	v_fma_f32 v15, 0x3fb8aa3b, v11, -v13
	v_rndne_f32_e32 v16, v13
	v_fmac_f32_e32 v17, 0x32a5705f, v12
	v_fmac_f32_e32 v15, 0x32a5705f, v11
	s_delay_alu instid0(VALU_DEP_2) | instskip(NEXT) | instid1(VALU_DEP_1)
	v_dual_sub_f32 v13, v13, v16 :: v_dual_add_f32 v14, v14, v17
	v_add_f32_e32 v13, v13, v15
	s_delay_alu instid0(VALU_DEP_2) | instskip(SKIP_2) | instid1(VALU_DEP_3)
	v_exp_f32_e32 v14, v14
	v_cvt_i32_f32_e32 v15, v16
	v_cvt_i32_f32_e32 v16, v18
	v_exp_f32_e32 v13, v13
	s_waitcnt_depctr 0xfff
	v_ldexp_f32 v14, v14, v16
	v_ldexp_f32 v13, v13, v15
	s_delay_alu instid0(VALU_DEP_1) | instskip(SKIP_1) | instid1(VALU_DEP_4)
	v_cndmask_b32_e32 v13, 0, v13, vcc_lo
	v_cmp_ngt_f32_e32 vcc_lo, 0xc2ce8ed0, v12
	v_cndmask_b32_e32 v14, 0, v14, vcc_lo
	v_cmp_nlt_f32_e32 vcc_lo, 0x42b17218, v11
	s_delay_alu instid0(VALU_DEP_4) | instskip(SKIP_1) | instid1(VALU_DEP_4)
	v_cndmask_b32_e32 v13, 0x7f800000, v13, vcc_lo
	v_cmp_nlt_f32_e32 vcc_lo, 0x42b17218, v12
	v_cndmask_b32_e32 v14, 0x7f800000, v14, vcc_lo
	v_cmp_le_f32_e32 vcc_lo, 0xc1a00000, v11
	s_delay_alu instid0(VALU_DEP_4) | instskip(SKIP_1) | instid1(VALU_DEP_4)
	v_cndmask_b32_e32 v11, 0, v13, vcc_lo
	v_cmp_le_f32_e32 vcc_lo, 0xc1a00000, v12
	v_cndmask_b32_e32 v12, 0, v14, vcc_lo
	s_waitcnt vmcnt(0)
	s_delay_alu instid0(VALU_DEP_3) | instskip(NEXT) | instid1(VALU_DEP_1)
	v_mul_f32_e32 v10, v10, v11
	v_dual_mul_f32 v11, s5, v11 :: v_dual_fmac_f32 v10, v3, v12
	s_delay_alu instid0(VALU_DEP_1)
	v_fmac_f32_e32 v11, v7, v12
	s_cbranch_execz .LBB8_18
	s_branch .LBB8_19
.LBB8_17:                               ;   in Loop: Header=BB8_9 Depth=1
                                        ; implicit-def: $sgpr13
                                        ; implicit-def: $vgpr10
                                        ; implicit-def: $vgpr9
                                        ; implicit-def: $vgpr11
                                        ; implicit-def: $sgpr1
                                        ; implicit-def: $sgpr15
.LBB8_18:                               ;   in Loop: Header=BB8_9 Depth=1
	v_mov_b32_e32 v11, v7
	s_waitcnt vmcnt(0)
	v_dual_mov_b32 v9, v8 :: v_dual_mov_b32 v10, v3
	s_add_i32 s1, s14, -1
	s_mov_b32 s13, 0
	s_mov_b32 s15, s16
.LBB8_19:                               ;   in Loop: Header=BB8_9 Depth=1
	s_and_not1_b32 vcc_lo, exec_lo, s13
	s_cbranch_vccz .LBB8_23
; %bb.20:                               ;   in Loop: Header=BB8_9 Depth=1
	v_dual_mov_b32 v7, v11 :: v_dual_mov_b32 v8, v9
	s_waitcnt vmcnt(0)
	v_mov_b32_e32 v3, v10
	s_mov_b32 s16, s15
	s_mov_b32 s14, s1
	s_branch .LBB8_9
.LBB8_21:
                                        ; implicit-def: $sgpr16_sgpr17
	s_load_b128 s[8:11], s[0:1], 0x44
	s_branch .LBB8_2
.LBB8_22:
                                        ; implicit-def: $sgpr18_sgpr19
	s_branch .LBB8_5
.LBB8_23:
	v_div_scale_f32 v0, null, v11, v11, v10
	s_waitcnt vmcnt(0)
	s_delay_alu instid0(VALU_DEP_1) | instskip(SKIP_2) | instid1(VALU_DEP_1)
	v_rcp_f32_e32 v3, v0
	s_waitcnt_depctr 0xfff
	v_fma_f32 v4, -v0, v3, 1.0
	v_fmac_f32_e32 v3, v4, v3
	v_div_scale_f32 v4, vcc_lo, v10, v11, v10
	s_delay_alu instid0(VALU_DEP_1) | instskip(NEXT) | instid1(VALU_DEP_1)
	v_mul_f32_e32 v5, v4, v3
	v_fma_f32 v6, -v0, v5, v4
	s_delay_alu instid0(VALU_DEP_1) | instskip(NEXT) | instid1(VALU_DEP_1)
	v_fmac_f32_e32 v5, v6, v3
	v_fma_f32 v0, -v0, v5, v4
	s_delay_alu instid0(VALU_DEP_1) | instskip(NEXT) | instid1(VALU_DEP_1)
	v_div_fmas_f32 v0, v0, v3, v5
	v_div_fixup_f32 v0, v0, v11, v10
	global_store_b32 v[1:2], v0, off
.LBB8_24:
	s_nop 0
	s_sendmsg sendmsg(MSG_DEALLOC_VGPRS)
	s_endpgm
	.section	.rodata,"a",@progbits
	.p2align	6, 0x0
	.amdhsa_kernel _ZL33flash_attn_stream_k_fixup_generalILi512ELi2ELi8EEvPfPK15HIP_vector_typeIfLj2EEiiiiS1_IjLj3EES5_S5_S5_
		.amdhsa_group_segment_fixed_size 0
		.amdhsa_private_segment_fixed_size 0
		.amdhsa_kernarg_size 336
		.amdhsa_user_sgpr_count 13
		.amdhsa_user_sgpr_dispatch_ptr 0
		.amdhsa_user_sgpr_queue_ptr 0
		.amdhsa_user_sgpr_kernarg_segment_ptr 1
		.amdhsa_user_sgpr_dispatch_id 0
		.amdhsa_user_sgpr_private_segment_size 0
		.amdhsa_wavefront_size32 1
		.amdhsa_uses_dynamic_stack 0
		.amdhsa_enable_private_segment 0
		.amdhsa_system_sgpr_workgroup_id_x 1
		.amdhsa_system_sgpr_workgroup_id_y 1
		.amdhsa_system_sgpr_workgroup_id_z 1
		.amdhsa_system_sgpr_workgroup_info 0
		.amdhsa_system_vgpr_workitem_id 0
		.amdhsa_next_free_vgpr 19
		.amdhsa_next_free_sgpr 32
		.amdhsa_reserve_vcc 1
		.amdhsa_float_round_mode_32 0
		.amdhsa_float_round_mode_16_64 0
		.amdhsa_float_denorm_mode_32 3
		.amdhsa_float_denorm_mode_16_64 3
		.amdhsa_dx10_clamp 1
		.amdhsa_ieee_mode 1
		.amdhsa_fp16_overflow 0
		.amdhsa_workgroup_processor_mode 1
		.amdhsa_memory_ordered 1
		.amdhsa_forward_progress 0
		.amdhsa_shared_vgpr_count 0
		.amdhsa_exception_fp_ieee_invalid_op 0
		.amdhsa_exception_fp_denorm_src 0
		.amdhsa_exception_fp_ieee_div_zero 0
		.amdhsa_exception_fp_ieee_overflow 0
		.amdhsa_exception_fp_ieee_underflow 0
		.amdhsa_exception_fp_ieee_inexact 0
		.amdhsa_exception_int_div_zero 0
	.end_amdhsa_kernel
	.section	.text._ZL33flash_attn_stream_k_fixup_generalILi512ELi2ELi8EEvPfPK15HIP_vector_typeIfLj2EEiiiiS1_IjLj3EES5_S5_S5_,"axG",@progbits,_ZL33flash_attn_stream_k_fixup_generalILi512ELi2ELi8EEvPfPK15HIP_vector_typeIfLj2EEiiiiS1_IjLj3EES5_S5_S5_,comdat
.Lfunc_end8:
	.size	_ZL33flash_attn_stream_k_fixup_generalILi512ELi2ELi8EEvPfPK15HIP_vector_typeIfLj2EEiiiiS1_IjLj3EES5_S5_S5_, .Lfunc_end8-_ZL33flash_attn_stream_k_fixup_generalILi512ELi2ELi8EEvPfPK15HIP_vector_typeIfLj2EEiiiiS1_IjLj3EES5_S5_S5_
                                        ; -- End function
	.section	.AMDGPU.csdata,"",@progbits
; Kernel info:
; codeLenInByte = 3224
; NumSgprs: 34
; NumVgprs: 19
; ScratchSize: 0
; MemoryBound: 0
; FloatMode: 240
; IeeeMode: 1
; LDSByteSize: 0 bytes/workgroup (compile time only)
; SGPRBlocks: 4
; VGPRBlocks: 2
; NumSGPRsForWavesPerEU: 34
; NumVGPRsForWavesPerEU: 19
; Occupancy: 16
; WaveLimiterHint : 0
; COMPUTE_PGM_RSRC2:SCRATCH_EN: 0
; COMPUTE_PGM_RSRC2:USER_SGPR: 13
; COMPUTE_PGM_RSRC2:TRAP_HANDLER: 0
; COMPUTE_PGM_RSRC2:TGID_X_EN: 1
; COMPUTE_PGM_RSRC2:TGID_Y_EN: 1
; COMPUTE_PGM_RSRC2:TGID_Z_EN: 1
; COMPUTE_PGM_RSRC2:TIDIG_COMP_CNT: 0
	.section	.text._ZL15flash_attn_tileILi512ELi512ELi1ELi8ELb0EEvPKcS1_S1_S1_S1_PKiPfP15HIP_vector_typeIfLj2EEffffjfiS5_IjLj3EEiiiiiiiiiiiliiliiiiil,"axG",@progbits,_ZL15flash_attn_tileILi512ELi512ELi1ELi8ELb0EEvPKcS1_S1_S1_S1_PKiPfP15HIP_vector_typeIfLj2EEffffjfiS5_IjLj3EEiiiiiiiiiiiliiliiiiil,comdat
	.globl	_ZL15flash_attn_tileILi512ELi512ELi1ELi8ELb0EEvPKcS1_S1_S1_S1_PKiPfP15HIP_vector_typeIfLj2EEffffjfiS5_IjLj3EEiiiiiiiiiiiliiliiiiil ; -- Begin function _ZL15flash_attn_tileILi512ELi512ELi1ELi8ELb0EEvPKcS1_S1_S1_S1_PKiPfP15HIP_vector_typeIfLj2EEffffjfiS5_IjLj3EEiiiiiiiiiiiliiliiiiil
	.p2align	8
	.type	_ZL15flash_attn_tileILi512ELi512ELi1ELi8ELb0EEvPKcS1_S1_S1_S1_PKiPfP15HIP_vector_typeIfLj2EEffffjfiS5_IjLj3EEiiiiiiiiiiiliiliiiiil,@function
_ZL15flash_attn_tileILi512ELi512ELi1ELi8ELb0EEvPKcS1_S1_S1_S1_PKiPfP15HIP_vector_typeIfLj2EEffffjfiS5_IjLj3EEiiiiiiiiiiiliiliiiiil: ; @_ZL15flash_attn_tileILi512ELi512ELi1ELi8ELb0EEvPKcS1_S1_S1_S1_PKiPfP15HIP_vector_typeIfLj2EEffffjfiS5_IjLj3EEiiiiiiiiiiiliiliiiiil
; %bb.0:
	s_clause 0x1
	s_load_b128 s[4:7], s[0:1], 0x5c
	s_load_b64 s[34:35], s[0:1], 0x80
	s_mov_b64 s[36:37], 0
	s_waitcnt lgkmcnt(0)
	s_ashr_i32 s2, s7, 31
	s_delay_alu instid0(SALU_CYCLE_1) | instskip(NEXT) | instid1(SALU_CYCLE_1)
	s_lshr_b32 s2, s2, 29
	s_add_i32 s2, s7, s2
	s_delay_alu instid0(SALU_CYCLE_1) | instskip(NEXT) | instid1(SALU_CYCLE_1)
	s_ashr_i32 s2, s2, 3
	v_cvt_f32_u32_e32 v1, s2
	s_sub_i32 s8, 0, s2
	s_delay_alu instid0(VALU_DEP_1) | instskip(SKIP_2) | instid1(VALU_DEP_1)
	v_rcp_iflag_f32_e32 v1, v1
	s_waitcnt_depctr 0xfff
	v_mul_f32_e32 v1, 0x4f7ffffe, v1
	v_cvt_u32_f32_e32 v1, v1
	s_delay_alu instid0(VALU_DEP_1) | instskip(NEXT) | instid1(VALU_DEP_1)
	v_readfirstlane_b32 s3, v1
	s_mul_i32 s8, s8, s3
	s_delay_alu instid0(SALU_CYCLE_1) | instskip(NEXT) | instid1(SALU_CYCLE_1)
	s_mul_hi_u32 s8, s3, s8
	s_add_i32 s3, s3, s8
	s_delay_alu instid0(SALU_CYCLE_1) | instskip(NEXT) | instid1(SALU_CYCLE_1)
	s_mul_hi_u32 s3, s15, s3
	s_mul_i32 s8, s3, s2
	s_add_i32 s9, s3, 1
	s_sub_i32 s8, s15, s8
	s_delay_alu instid0(SALU_CYCLE_1)
	s_sub_i32 s10, s8, s2
	s_cmp_ge_u32 s8, s2
	s_cselect_b32 s3, s9, s3
	s_cselect_b32 s8, s10, s8
	s_add_i32 s9, s3, 1
	s_cmp_ge_u32 s8, s2
	s_cselect_b32 s12, s9, s3
	s_abs_i32 s2, s35
	s_abs_i32 s11, s7
	v_cvt_f32_u32_e32 v1, s2
	s_sub_i32 s8, 0, s2
	s_lshl_b32 s9, s15, 3
	s_mul_i32 s10, s12, s7
	s_delay_alu instid0(VALU_DEP_1) | instskip(SKIP_3) | instid1(VALU_DEP_1)
	v_rcp_iflag_f32_e32 v1, v1
	s_sub_i32 s15, s9, s10
	s_waitcnt_depctr 0xfff
	v_mul_f32_e32 v1, 0x4f7ffffe, v1
	v_cvt_u32_f32_e32 v1, v1
	s_delay_alu instid0(VALU_DEP_1) | instskip(NEXT) | instid1(VALU_DEP_1)
	v_readfirstlane_b32 s3, v1
	s_mul_i32 s8, s8, s3
	s_delay_alu instid0(SALU_CYCLE_1) | instskip(NEXT) | instid1(SALU_CYCLE_1)
	s_mul_hi_u32 s8, s3, s8
	s_add_i32 s3, s3, s8
	s_xor_b32 s8, s7, s35
	s_mul_hi_u32 s3, s11, s3
	s_ashr_i32 s8, s8, 31
	s_mul_i32 s9, s3, s2
	s_add_i32 s10, s3, 1
	s_sub_i32 s9, s11, s9
	s_delay_alu instid0(SALU_CYCLE_1)
	s_sub_i32 s11, s9, s2
	s_cmp_ge_u32 s9, s2
	s_cselect_b32 s3, s10, s3
	s_cselect_b32 s9, s11, s9
	s_add_i32 s10, s3, 1
	s_cmp_ge_u32 s9, s2
	s_cselect_b32 s2, s10, s3
	s_delay_alu instid0(SALU_CYCLE_1) | instskip(NEXT) | instid1(SALU_CYCLE_1)
	s_xor_b32 s2, s2, s8
	s_sub_i32 s35, s2, s8
	s_clause 0x1
	s_load_b512 s[16:31], s[0:1], 0x0
	s_load_b64 s[2:3], s[0:1], 0xb8
	s_abs_i32 s33, s35
	s_delay_alu instid0(SALU_CYCLE_1) | instskip(NEXT) | instid1(VALU_DEP_1)
	v_cvt_f32_u32_e32 v1, s33
	v_rcp_iflag_f32_e32 v1, v1
	s_waitcnt_depctr 0xfff
	v_mul_f32_e32 v1, 0x4f7ffffe, v1
	s_waitcnt lgkmcnt(0)
	s_cmp_eq_u64 s[22:23], 0
	s_delay_alu instid0(VALU_DEP_1) | instskip(NEXT) | instid1(VALU_DEP_1)
	v_cvt_u32_f32_e32 v1, v1
	v_readfirstlane_b32 s38, v1
	s_cbranch_scc1 .LBB9_2
; %bb.1:
	s_abs_i32 s2, s2
	s_abs_i32 s10, s12
	v_cvt_f32_u32_e32 v1, s2
	s_sub_i32 s9, 0, s2
	s_delay_alu instid0(VALU_DEP_1) | instskip(SKIP_2) | instid1(VALU_DEP_1)
	v_rcp_iflag_f32_e32 v1, v1
	s_waitcnt_depctr 0xfff
	v_mul_f32_e32 v1, 0x4f7ffffe, v1
	v_cvt_u32_f32_e32 v1, v1
	s_delay_alu instid0(VALU_DEP_1) | instskip(NEXT) | instid1(VALU_DEP_1)
	v_readfirstlane_b32 s8, v1
	s_mul_i32 s9, s9, s8
	s_delay_alu instid0(SALU_CYCLE_1) | instskip(NEXT) | instid1(SALU_CYCLE_1)
	s_mul_hi_u32 s9, s8, s9
	s_add_i32 s11, s8, s9
	s_load_b64 s[8:9], s[0:1], 0xc8
	s_mul_hi_u32 s11, s10, s11
	s_delay_alu instid0(SALU_CYCLE_1) | instskip(NEXT) | instid1(SALU_CYCLE_1)
	s_mul_i32 s11, s11, s2
	s_sub_i32 s10, s10, s11
	s_ashr_i32 s11, s12, 31
	s_sub_i32 s36, s10, s2
	s_cmp_ge_u32 s10, s2
	s_cselect_b32 s10, s36, s10
	s_delay_alu instid0(SALU_CYCLE_1) | instskip(SKIP_2) | instid1(SALU_CYCLE_1)
	s_sub_i32 s36, s10, s2
	s_cmp_ge_u32 s10, s2
	s_cselect_b32 s2, s36, s10
	s_xor_b32 s2, s2, s11
	s_delay_alu instid0(SALU_CYCLE_1)
	s_sub_i32 s2, s2, s11
	s_waitcnt lgkmcnt(0)
	s_mul_i32 s9, s2, s9
	s_mul_hi_u32 s10, s2, s8
	s_ashr_i32 s11, s2, 31
	s_add_i32 s9, s10, s9
	s_mul_i32 s11, s11, s8
	s_mul_i32 s2, s2, s8
	s_add_i32 s9, s9, s11
	s_add_u32 s36, s22, s2
	s_addc_u32 s37, s23, s9
.LBB9_2:
	v_bfe_u32 v2, v0, 10, 10
	s_load_b128 s[8:11], s[0:1], 0x70
	v_and_b32_e32 v0, 0x3ff, v0
	s_delay_alu instid0(VALU_DEP_2) | instskip(SKIP_1) | instid1(VALU_DEP_3)
	v_lshrrev_b32_e32 v1, 3, v2
	v_and_b32_e32 v25, 7, v2
	v_lshlrev_b32_e32 v21, 1, v0
	s_delay_alu instid0(VALU_DEP_3) | instskip(NEXT) | instid1(VALU_DEP_1)
	v_add_nc_u32_e32 v1, s13, v1
	v_mul_hi_u32 v3, s4, v1
	s_waitcnt lgkmcnt(0)
	s_mul_i32 s2, s12, s10
	s_mul_i32 s4, s15, s9
	s_delay_alu instid0(VALU_DEP_1) | instskip(NEXT) | instid1(VALU_DEP_1)
	v_add_nc_u32_e32 v3, v1, v3
	v_lshrrev_b32_e32 v3, s5, v3
	s_ashr_i32 s5, s2, 31
	s_add_u32 s2, s16, s2
	s_addc_u32 s5, s17, s5
	s_ashr_i32 s10, s4, 31
	v_mul_lo_u32 v3, v3, s6
	s_add_u32 s2, s2, s4
	s_addc_u32 s4, s5, s10
	s_ashr_i32 s5, s9, 31
	s_ashr_i32 s10, s8, 31
	v_alignbit_b32 v7, s5, s9, 2
	v_alignbit_b32 v9, s10, s8, 2
	s_lshr_b32 s5, s5, 2
	v_sub_nc_u32_e32 v4, v1, v3
	s_delay_alu instid0(VALU_DEP_3) | instskip(NEXT) | instid1(VALU_DEP_2)
	v_mad_u64_u32 v[5:6], null, v7, v25, 0
	v_mad_u64_u32 v[7:8], null, v9, v4, 0
	s_delay_alu instid0(VALU_DEP_1) | instskip(NEXT) | instid1(VALU_DEP_1)
	v_dual_mov_b32 v3, v6 :: v_dual_mov_b32 v6, v8
	v_mad_u64_u32 v[8:9], null, s5, v25, v[3:4]
	s_lshr_b32 s5, s10, 2
	s_cmp_eq_u64 s[26:27], 0
	s_delay_alu instid0(VALU_DEP_2) | instskip(SKIP_1) | instid1(VALU_DEP_2)
	v_mad_u64_u32 v[9:10], null, s5, v4, v[6:7]
	s_mov_b32 s5, 0
	v_mov_b32_e32 v6, v8
	s_delay_alu instid0(VALU_DEP_2) | instskip(NEXT) | instid1(VALU_DEP_2)
	v_mov_b32_e32 v8, v9
	v_lshlrev_b64 v[5:6], 2, v[5:6]
	s_delay_alu instid0(VALU_DEP_2) | instskip(NEXT) | instid1(VALU_DEP_2)
	v_lshlrev_b64 v[7:8], 2, v[7:8]
	v_add_co_u32 v3, vcc_lo, s2, v5
	s_delay_alu instid0(VALU_DEP_3) | instskip(SKIP_1) | instid1(VALU_DEP_3)
	v_add_co_ci_u32_e32 v5, vcc_lo, s4, v6, vcc_lo
	v_lshlrev_b32_e32 v6, 4, v0
	v_add_co_u32 v3, vcc_lo, v3, v7
	s_delay_alu instid0(VALU_DEP_3) | instskip(SKIP_1) | instid1(VALU_DEP_2)
	v_add_co_ci_u32_e32 v5, vcc_lo, v5, v8, vcc_lo
	s_load_b32 s2, s[0:1], 0x40
	v_add_co_u32 v17, vcc_lo, v3, v6
	s_delay_alu instid0(VALU_DEP_2)
	v_add_co_ci_u32_e32 v18, vcc_lo, 0, v5, vcc_lo
	v_lshlrev_b32_e32 v3, 8, v2
	s_clause 0x3
	global_load_b128 v[5:8], v[17:18], off
	global_load_b128 v[9:12], v[17:18], off offset:512
	global_load_b128 v[13:16], v[17:18], off offset:1024
	;; [unrolled: 1-line block ×3, first 2 shown]
	v_add_lshl_u32 v3, v21, v3, 2
	s_delay_alu instid0(VALU_DEP_1)
	v_add_nc_u32_e32 v3, 0x2000, v3
	s_waitcnt vmcnt(3) lgkmcnt(0)
	v_fma_mixlo_f16 v21, v5, s2, 0
	v_fma_mixlo_f16 v22, v7, s2, 0
	s_waitcnt vmcnt(2)
	v_fma_mixlo_f16 v23, v9, s2, 0
	v_fma_mixlo_f16 v24, v11, s2, 0
	s_waitcnt vmcnt(1)
	;; [unrolled: 3-line block ×3, first 2 shown]
	v_fma_mixlo_f16 v28, v17, s2, 0
	v_fma_mixlo_f16 v29, v19, s2, 0
	v_fma_mixhi_f16 v22, v8, s2, 0
	v_fma_mixhi_f16 v21, v6, s2, 0
	;; [unrolled: 1-line block ×8, first 2 shown]
	ds_store_2addr_b64 v3, v[21:22], v[23:24] offset0:128 offset1:160
	ds_store_2addr_b64 v3, v[26:27], v[28:29] offset0:192 offset1:224
	s_waitcnt lgkmcnt(0)
	s_barrier
	buffer_gl0_inv
	s_cbranch_scc1 .LBB9_4
; %bb.3:
	s_load_b32 s2, s[0:1], 0xd0
	s_waitcnt lgkmcnt(0)
	s_mul_i32 s2, s2, s12
	s_delay_alu instid0(SALU_CYCLE_1) | instskip(NEXT) | instid1(SALU_CYCLE_1)
	s_add_i32 s4, s2, s13
	s_lshl_b64 s[4:5], s[4:5], 2
	s_delay_alu instid0(SALU_CYCLE_1)
	s_add_u32 s4, s26, s4
	s_addc_u32 s5, s27, s5
	s_load_b32 s34, s[4:5], 0x0
.LBB9_4:
	v_lshlrev_b32_e32 v24, 2, v0
	v_mbcnt_lo_u32_b32 v26, -1, 0
	s_lshl_b32 s13, s14, 6
	s_waitcnt lgkmcnt(0)
	s_cmp_lt_i32 s13, s34
	s_cbranch_scc1 .LBB9_6
; %bb.5:
	v_mbcnt_lo_u32_b32 v5, -1, 0
	v_mov_b32_e32 v3, 32
	s_mov_b32 s2, 0
	s_mov_b32 s4, 0xfeffffff
	s_delay_alu instid0(VALU_DEP_2)
	v_xor_b32_e32 v31, 16, v5
	v_xor_b32_e32 v30, 8, v5
	;; [unrolled: 1-line block ×5, first 2 shown]
	s_branch .LBB9_7
.LBB9_6:
	s_mov_b32 s2, -1
                                        ; implicit-def: $sgpr4
                                        ; implicit-def: $vgpr5
                                        ; implicit-def: $vgpr3
                                        ; implicit-def: $vgpr31
                                        ; implicit-def: $vgpr30
                                        ; implicit-def: $vgpr29
                                        ; implicit-def: $vgpr28
                                        ; implicit-def: $vgpr27
.LBB9_7:
	s_delay_alu instid0(SALU_CYCLE_1) | instskip(SKIP_2) | instid1(VALU_DEP_3)
	v_cndmask_b32_e64 v6, 0, 1, s2
	v_dual_mov_b32 v52, s2 :: v_dual_mov_b32 v7, s4
	v_dual_mov_b32 v32, s2 :: v_dual_mov_b32 v53, s2
	v_cmp_ne_u32_e32 vcc_lo, 1, v6
	v_dual_mov_b32 v54, s2 :: v_dual_mov_b32 v55, s2
	v_dual_mov_b32 v50, s2 :: v_dual_mov_b32 v51, s2
	;; [unrolled: 1-line block ×3, first 2 shown]
	s_cbranch_vccnz .LBB9_11
; %bb.8:
	s_clause 0x1
	s_load_b128 s[8:11], s[0:1], 0x98
	s_load_b64 s[4:5], s[0:1], 0x8c
	s_sub_i32 s2, 0, s33
	s_abs_i32 s17, s15
	s_mul_i32 s2, s2, s38
	s_ashr_i32 s27, s35, 31
	s_mul_hi_u32 s2, s38, s2
	s_ashr_i32 s35, s12, 31
	s_add_i32 s38, s38, s2
	s_ashr_i32 s2, s3, 1
	s_mul_hi_u32 s3, s17, s38
	s_ashr_i32 s26, s15, 31
	s_load_b64 s[22:23], s[0:1], 0xa8
	s_mul_i32 s38, s3, s33
	v_lshrrev_b32_e32 v3, 3, v0
	v_dual_mov_b32 v48, 0 :: v_dual_and_b32 v11, 28, v24
	v_dual_mov_b32 v49, 0 :: v_dual_lshlrev_b32 v12, 10, v2
	s_delay_alu instid0(VALU_DEP_3)
	v_lshl_add_u32 v3, v2, 2, v3
	s_waitcnt lgkmcnt(0)
	s_mul_i32 s39, s35, s8
	s_ashr_i32 s16, s4, 2
	s_mul_i32 s4, s12, s9
	s_mul_hi_u32 s9, s12, s8
	s_mul_i32 s8, s12, s8
	s_add_i32 s4, s9, s4
	s_ashr_i32 s10, s10, 2
	s_add_i32 s4, s4, s39
	s_add_u32 s8, s18, s8
	s_addc_u32 s4, s19, s4
	s_sub_i32 s17, s17, s38
	s_xor_b32 s9, s26, s27
	s_add_i32 s18, s3, 1
	s_sub_i32 s19, s17, s33
	s_cmp_ge_u32 s17, s33
	v_mul_lo_u32 v7, s10, v2
	s_cselect_b32 s3, s18, s3
	s_cselect_b32 s17, s19, s17
	s_add_i32 s18, s3, 1
	s_cmp_ge_u32 s17, s33
	v_mul_lo_u32 v5, s16, v3
	s_cselect_b32 s3, s18, s3
	s_mul_i32 s19, s12, s23
	s_xor_b32 s3, s3, s9
	v_ashrrev_i32_e32 v8, 31, v7
	s_sub_i32 s3, s3, s9
	s_mul_hi_u32 s9, s12, s22
	s_mul_i32 s5, s3, s5
	s_mul_i32 s35, s35, s22
	s_ashr_i32 s18, s5, 31
	s_add_u32 s17, s8, s5
	s_addc_u32 s18, s4, s18
	s_add_i32 s4, s9, s19
	s_mul_i32 s5, s12, s22
	v_lshlrev_b32_e32 v6, 2, v11
	v_lshlrev_b64 v[7:8], 2, v[7:8]
	s_add_i32 s4, s4, s35
	s_mul_i32 s3, s3, s11
	s_add_u32 s5, s20, s5
	s_addc_u32 s4, s21, s4
	s_ashr_i32 s8, s3, 31
	v_lshl_add_u32 v9, s16, 5, v5
	s_add_u32 s3, s5, s3
	v_dual_mov_b32 v54, 0 :: v_dual_lshlrev_b32 v13, 2, v24
	v_mad_u32_u24 v33, 0x90, v3, v6
	v_lshl_add_u32 v37, v2, 7, 0x4400
	v_mad_u64_u32 v[2:3], null, v4, s2, v[0:1]
	s_addc_u32 s4, s4, s8
	v_add_co_u32 v3, vcc_lo, s3, v7
	v_ashrrev_i32_e32 v6, 31, v5
	v_ashrrev_i32_e32 v10, 31, v9
	v_add_co_ci_u32_e32 v4, vcc_lo, s4, v8, vcc_lo
	v_dual_mov_b32 v52, 0 :: v_dual_add_nc_u32 v39, v12, v13
	v_dual_mov_b32 v32, 0 :: v_dual_lshlrev_b32 v41, 3, v0
	v_add_co_u32 v42, vcc_lo, v3, v13
	s_delay_alu instid0(VALU_DEP_4)
	v_add_co_ci_u32_e32 v43, vcc_lo, 0, v4, vcc_lo
	v_lshlrev_b64 v[3:4], 2, v[5:6]
	v_lshlrev_b64 v[5:6], 2, v[9:10]
	v_dual_mov_b32 v51, 0 :: v_dual_add_nc_u32 v34, 0x1200, v33
	v_dual_mov_b32 v50, 0 :: v_dual_add_nc_u32 v35, 0x2400, v12
	v_mul_u32_u24_e32 v36, 0x90, v0
	v_lshl_add_u32 v38, v0, 1, v37
	v_dual_mov_b32 v55, 0 :: v_dual_add_nc_u32 v40, 0x200, v39
	v_dual_mov_b32 v7, 0xfeffffff :: v_dual_lshlrev_b32 v44, 2, v11
	v_mov_b32_e32 v53, 0
	v_xor_b32_e32 v31, 16, v26
	v_xor_b32_e32 v30, 8, v26
	;; [unrolled: 1-line block ×5, first 2 shown]
	v_add_nc_u32_e32 v45, 0x800, v41
	v_add_nc_u32_e32 v46, 0x1000, v41
	;; [unrolled: 1-line block ×3, first 2 shown]
	s_add_u32 s4, s0, 0xd0
	s_addc_u32 s5, s1, 0
.LBB9_9:                                ; =>This Inner Loop Header: Depth=1
	v_cmp_gt_i32_e32 vcc_lo, 32, v31
	s_mul_hi_i32 s3, s13, s16
	s_mul_i32 s2, s13, s16
	s_mul_hi_i32 s9, s13, s10
	s_lshl_b64 s[2:3], s[2:3], 2
	v_cndmask_b32_e32 v9, v26, v31, vcc_lo
	v_cmp_gt_i32_e32 vcc_lo, 32, v30
	s_add_u32 s2, s17, s2
	s_mul_i32 s8, s13, s10
	s_addc_u32 s3, s18, s3
	s_or_b32 s11, s13, 8
	v_cndmask_b32_e32 v10, v26, v30, vcc_lo
	v_cmp_gt_i32_e32 vcc_lo, 32, v29
	s_lshl_b64 s[8:9], s[8:9], 2
	s_or_b32 s19, s13, 16
	v_dual_mov_b32 v56, v7 :: v_dual_mov_b32 v57, 0
	v_cndmask_b32_e32 v11, v26, v29, vcc_lo
	v_cmp_gt_i32_e32 vcc_lo, 32, v28
	v_lshlrev_b32_e32 v62, 2, v10
	v_dual_mov_b32 v58, 0 :: v_dual_lshlrev_b32 v63, 2, v9
	v_dual_cndmask_b32 v12, v26, v28 :: v_dual_add_nc_u32 v7, s13, v2
	v_cmp_gt_i32_e32 vcc_lo, 32, v27
	s_or_b32 s20, s13, 24
	s_or_b32 s22, s13, 32
	s_mul_hi_i32 s21, s20, s10
	s_mul_i32 s20, s20, s10
	v_cndmask_b32_e32 v13, v26, v27, vcc_lo
	v_add_co_u32 v9, vcc_lo, s2, v5
	v_add_co_u32 v21, s2, s2, v3
	s_delay_alu instid0(VALU_DEP_1)
	v_add_co_ci_u32_e64 v23, s2, s3, v4, s2
	v_add_co_ci_u32_e32 v64, vcc_lo, s3, v6, vcc_lo
	s_mul_hi_i32 s3, s11, s10
	s_mul_i32 s2, s11, s10
	v_add_co_u32 v16, vcc_lo, v42, s8
	s_lshl_b64 s[2:3], s[2:3], 2
	v_add_co_ci_u32_e32 v17, vcc_lo, s9, v43, vcc_lo
	s_mul_hi_i32 s9, s19, s10
	s_mul_i32 s8, s19, s10
	v_add_co_u32 v14, s2, v42, s2
	s_lshl_b64 s[8:9], s[8:9], 2
	v_add_co_ci_u32_e64 v15, s2, s3, v43, s2
	v_lshlrev_b32_e32 v60, 2, v12
	v_add_co_u32 v12, s2, v42, s8
	v_ashrrev_i32_e32 v8, 31, v7
	s_lshl_b64 s[20:21], s[20:21], 2
	v_lshlrev_b32_e32 v59, 2, v13
	s_mul_hi_i32 s23, s22, s10
	s_mul_i32 s22, s22, s10
	v_add_co_ci_u32_e64 v13, s2, s9, v43, s2
	v_add_co_u32 v10, s2, v42, s20
	s_lshl_b64 s[22:23], s[22:23], 2
	v_lshlrev_b32_e32 v61, 2, v11
	v_add_co_ci_u32_e64 v11, s2, s21, v43, s2
	v_lshlrev_b64 v[18:19], 1, v[7:8]
	v_add_co_u32 v8, s2, v42, s22
	v_add_co_u32 v20, vcc_lo, v9, v44
	v_add_co_ci_u32_e64 v9, s2, s23, v43, s2
	v_add_co_u32 v22, s2, v21, v44
	s_delay_alu instid0(VALU_DEP_1)
	v_add_co_ci_u32_e64 v23, s2, 0, v23, s2
	v_add_co_ci_u32_e32 v21, vcc_lo, 0, v64, vcc_lo
	s_clause 0x1
	global_load_b128 v[64:67], v[22:23], off
	global_load_b128 v[68:71], v[20:21], off
	v_add_co_u32 v18, vcc_lo, s36, v18
	v_add_co_ci_u32_e32 v19, vcc_lo, s37, v19, vcc_lo
	s_waitcnt vmcnt(1)
	ds_store_b128 v33, v[64:67]
	s_waitcnt vmcnt(0)
	ds_store_b128 v34, v[68:71]
	s_waitcnt lgkmcnt(0)
	s_barrier
	buffer_gl0_inv
	ds_load_b128 v[64:67], v36
	ds_load_b128 v[68:71], v35
	ds_load_b128 v[72:75], v36 offset:4608
	s_waitcnt lgkmcnt(1)
	;;#ASMSTART
	v_dot2_f32_f16 v57, v64, v68, v57
	;;#ASMEND
	;;#ASMSTART
	v_dot2_f32_f16 v57, v65, v69, v57
	;;#ASMEND
	;;#ASMSTART
	v_dot2_f32_f16 v57, v66, v70, v57
	;;#ASMEND
	;;#ASMSTART
	v_dot2_f32_f16 v57, v67, v71, v57
	;;#ASMEND
	s_waitcnt lgkmcnt(0)
	;;#ASMSTART
	v_dot2_f32_f16 v58, v72, v68, v58
	;;#ASMEND
	;;#ASMSTART
	v_dot2_f32_f16 v58, v73, v69, v58
	;;#ASMEND
	;;#ASMSTART
	v_dot2_f32_f16 v58, v74, v70, v58
	;;#ASMEND
	;;#ASMSTART
	v_dot2_f32_f16 v58, v75, v71, v58
	;;#ASMEND
	ds_load_b128 v[64:67], v36 offset:16
	ds_load_b128 v[68:71], v35 offset:16
	ds_load_b128 v[72:75], v36 offset:4624
	s_waitcnt lgkmcnt(1)
	;;#ASMSTART
	v_dot2_f32_f16 v57, v64, v68, v57
	;;#ASMEND
	;;#ASMSTART
	v_dot2_f32_f16 v57, v65, v69, v57
	;;#ASMEND
	;;#ASMSTART
	v_dot2_f32_f16 v57, v66, v70, v57
	;;#ASMEND
	;;#ASMSTART
	v_dot2_f32_f16 v57, v67, v71, v57
	;;#ASMEND
	s_waitcnt lgkmcnt(0)
	;;#ASMSTART
	v_dot2_f32_f16 v58, v72, v68, v58
	;;#ASMEND
	;;#ASMSTART
	v_dot2_f32_f16 v58, v73, v69, v58
	;;#ASMEND
	;;#ASMSTART
	v_dot2_f32_f16 v58, v74, v70, v58
	;;#ASMEND
	;;#ASMSTART
	v_dot2_f32_f16 v58, v75, v71, v58
	;;#ASMEND
	ds_load_b128 v[64:67], v36 offset:32
	ds_load_b128 v[68:71], v35 offset:32
	;; [unrolled: 29-line block ×7, first 2 shown]
	ds_load_b128 v[72:75], v36 offset:4720
	s_waitcnt lgkmcnt(1)
	;;#ASMSTART
	v_dot2_f32_f16 v57, v64, v68, v57
	;;#ASMEND
	;;#ASMSTART
	v_dot2_f32_f16 v57, v65, v69, v57
	;;#ASMEND
	;; [unrolled: 3-line block ×4, first 2 shown]
	s_waitcnt lgkmcnt(0)
	;;#ASMSTART
	v_dot2_f32_f16 v58, v72, v68, v58
	;;#ASMEND
	;;#ASMSTART
	v_dot2_f32_f16 v58, v73, v69, v58
	;;#ASMEND
	;; [unrolled: 3-line block ×4, first 2 shown]
	s_barrier
	buffer_gl0_inv
	s_clause 0x1
	global_load_b128 v[64:67], v[22:23], off offset:128
	global_load_b128 v[68:71], v[20:21], off offset:128
	s_waitcnt vmcnt(1)
	ds_store_b128 v33, v[64:67]
	s_waitcnt vmcnt(0)
	ds_store_b128 v34, v[68:71]
	s_waitcnt lgkmcnt(0)
	s_barrier
	buffer_gl0_inv
	ds_load_b128 v[64:67], v36
	ds_load_b128 v[68:71], v35 offset:128
	ds_load_b128 v[72:75], v36 offset:4608
	s_waitcnt lgkmcnt(1)
	;;#ASMSTART
	v_dot2_f32_f16 v57, v64, v68, v57
	;;#ASMEND
	;;#ASMSTART
	v_dot2_f32_f16 v57, v65, v69, v57
	;;#ASMEND
	;;#ASMSTART
	v_dot2_f32_f16 v57, v66, v70, v57
	;;#ASMEND
	;;#ASMSTART
	v_dot2_f32_f16 v57, v67, v71, v57
	;;#ASMEND
	s_waitcnt lgkmcnt(0)
	;;#ASMSTART
	v_dot2_f32_f16 v58, v72, v68, v58
	;;#ASMEND
	;;#ASMSTART
	v_dot2_f32_f16 v58, v73, v69, v58
	;;#ASMEND
	;;#ASMSTART
	v_dot2_f32_f16 v58, v74, v70, v58
	;;#ASMEND
	;;#ASMSTART
	v_dot2_f32_f16 v58, v75, v71, v58
	;;#ASMEND
	ds_load_b128 v[64:67], v36 offset:16
	ds_load_b128 v[68:71], v35 offset:144
	ds_load_b128 v[72:75], v36 offset:4624
	s_waitcnt lgkmcnt(1)
	;;#ASMSTART
	v_dot2_f32_f16 v57, v64, v68, v57
	;;#ASMEND
	;;#ASMSTART
	v_dot2_f32_f16 v57, v65, v69, v57
	;;#ASMEND
	;;#ASMSTART
	v_dot2_f32_f16 v57, v66, v70, v57
	;;#ASMEND
	;;#ASMSTART
	v_dot2_f32_f16 v57, v67, v71, v57
	;;#ASMEND
	s_waitcnt lgkmcnt(0)
	;;#ASMSTART
	v_dot2_f32_f16 v58, v72, v68, v58
	;;#ASMEND
	;;#ASMSTART
	v_dot2_f32_f16 v58, v73, v69, v58
	;;#ASMEND
	;;#ASMSTART
	v_dot2_f32_f16 v58, v74, v70, v58
	;;#ASMEND
	;;#ASMSTART
	v_dot2_f32_f16 v58, v75, v71, v58
	;;#ASMEND
	ds_load_b128 v[64:67], v36 offset:32
	;; [unrolled: 29-line block ×7, first 2 shown]
	ds_load_b128 v[68:71], v35 offset:240
	ds_load_b128 v[72:75], v36 offset:4720
	s_waitcnt lgkmcnt(1)
	;;#ASMSTART
	v_dot2_f32_f16 v57, v64, v68, v57
	;;#ASMEND
	;;#ASMSTART
	v_dot2_f32_f16 v57, v65, v69, v57
	;;#ASMEND
	;; [unrolled: 3-line block ×4, first 2 shown]
	s_waitcnt lgkmcnt(0)
	;;#ASMSTART
	v_dot2_f32_f16 v58, v72, v68, v58
	;;#ASMEND
	;;#ASMSTART
	v_dot2_f32_f16 v58, v73, v69, v58
	;;#ASMEND
	;; [unrolled: 3-line block ×4, first 2 shown]
	s_barrier
	buffer_gl0_inv
	s_clause 0x1
	global_load_b128 v[64:67], v[22:23], off offset:256
	global_load_b128 v[68:71], v[20:21], off offset:256
	s_waitcnt vmcnt(1)
	ds_store_b128 v33, v[64:67]
	s_waitcnt vmcnt(0)
	ds_store_b128 v34, v[68:71]
	s_waitcnt lgkmcnt(0)
	s_barrier
	buffer_gl0_inv
	ds_load_b128 v[64:67], v36
	ds_load_b128 v[68:71], v35 offset:256
	ds_load_b128 v[72:75], v36 offset:4608
	s_waitcnt lgkmcnt(1)
	;;#ASMSTART
	v_dot2_f32_f16 v57, v64, v68, v57
	;;#ASMEND
	;;#ASMSTART
	v_dot2_f32_f16 v57, v65, v69, v57
	;;#ASMEND
	;;#ASMSTART
	v_dot2_f32_f16 v57, v66, v70, v57
	;;#ASMEND
	;;#ASMSTART
	v_dot2_f32_f16 v57, v67, v71, v57
	;;#ASMEND
	s_waitcnt lgkmcnt(0)
	;;#ASMSTART
	v_dot2_f32_f16 v58, v72, v68, v58
	;;#ASMEND
	;;#ASMSTART
	v_dot2_f32_f16 v58, v73, v69, v58
	;;#ASMEND
	;;#ASMSTART
	v_dot2_f32_f16 v58, v74, v70, v58
	;;#ASMEND
	;;#ASMSTART
	v_dot2_f32_f16 v58, v75, v71, v58
	;;#ASMEND
	ds_load_b128 v[64:67], v36 offset:16
	ds_load_b128 v[68:71], v35 offset:272
	ds_load_b128 v[72:75], v36 offset:4624
	s_waitcnt lgkmcnt(1)
	;;#ASMSTART
	v_dot2_f32_f16 v57, v64, v68, v57
	;;#ASMEND
	;;#ASMSTART
	v_dot2_f32_f16 v57, v65, v69, v57
	;;#ASMEND
	;;#ASMSTART
	v_dot2_f32_f16 v57, v66, v70, v57
	;;#ASMEND
	;;#ASMSTART
	v_dot2_f32_f16 v57, v67, v71, v57
	;;#ASMEND
	s_waitcnt lgkmcnt(0)
	;;#ASMSTART
	v_dot2_f32_f16 v58, v72, v68, v58
	;;#ASMEND
	;;#ASMSTART
	v_dot2_f32_f16 v58, v73, v69, v58
	;;#ASMEND
	;;#ASMSTART
	v_dot2_f32_f16 v58, v74, v70, v58
	;;#ASMEND
	;;#ASMSTART
	v_dot2_f32_f16 v58, v75, v71, v58
	;;#ASMEND
	ds_load_b128 v[64:67], v36 offset:32
	ds_load_b128 v[68:71], v35 offset:288
	ds_load_b128 v[72:75], v36 offset:4640
	s_waitcnt lgkmcnt(1)
	;;#ASMSTART
	v_dot2_f32_f16 v57, v64, v68, v57
	;;#ASMEND
	;;#ASMSTART
	v_dot2_f32_f16 v57, v65, v69, v57
	;;#ASMEND
	;;#ASMSTART
	v_dot2_f32_f16 v57, v66, v70, v57
	;;#ASMEND
	;;#ASMSTART
	v_dot2_f32_f16 v57, v67, v71, v57
	;;#ASMEND
	s_waitcnt lgkmcnt(0)
	;;#ASMSTART
	v_dot2_f32_f16 v58, v72, v68, v58
	;;#ASMEND
	;;#ASMSTART
	v_dot2_f32_f16 v58, v73, v69, v58
	;;#ASMEND
	;;#ASMSTART
	v_dot2_f32_f16 v58, v74, v70, v58
	;;#ASMEND
	;;#ASMSTART
	v_dot2_f32_f16 v58, v75, v71, v58
	;;#ASMEND
	ds_load_b128 v[64:67], v36 offset:48
	ds_load_b128 v[68:71], v35 offset:304
	ds_load_b128 v[72:75], v36 offset:4656
	s_waitcnt lgkmcnt(1)
	;;#ASMSTART
	v_dot2_f32_f16 v57, v64, v68, v57
	;;#ASMEND
	;;#ASMSTART
	v_dot2_f32_f16 v57, v65, v69, v57
	;;#ASMEND
	;;#ASMSTART
	v_dot2_f32_f16 v57, v66, v70, v57
	;;#ASMEND
	;;#ASMSTART
	v_dot2_f32_f16 v57, v67, v71, v57
	;;#ASMEND
	s_waitcnt lgkmcnt(0)
	;;#ASMSTART
	v_dot2_f32_f16 v58, v72, v68, v58
	;;#ASMEND
	;;#ASMSTART
	v_dot2_f32_f16 v58, v73, v69, v58
	;;#ASMEND
	;;#ASMSTART
	v_dot2_f32_f16 v58, v74, v70, v58
	;;#ASMEND
	;;#ASMSTART
	v_dot2_f32_f16 v58, v75, v71, v58
	;;#ASMEND
	ds_load_b128 v[64:67], v36 offset:64
	ds_load_b128 v[68:71], v35 offset:320
	ds_load_b128 v[72:75], v36 offset:4672
	s_waitcnt lgkmcnt(1)
	;;#ASMSTART
	v_dot2_f32_f16 v57, v64, v68, v57
	;;#ASMEND
	;;#ASMSTART
	v_dot2_f32_f16 v57, v65, v69, v57
	;;#ASMEND
	;;#ASMSTART
	v_dot2_f32_f16 v57, v66, v70, v57
	;;#ASMEND
	;;#ASMSTART
	v_dot2_f32_f16 v57, v67, v71, v57
	;;#ASMEND
	s_waitcnt lgkmcnt(0)
	;;#ASMSTART
	v_dot2_f32_f16 v58, v72, v68, v58
	;;#ASMEND
	;;#ASMSTART
	v_dot2_f32_f16 v58, v73, v69, v58
	;;#ASMEND
	;;#ASMSTART
	v_dot2_f32_f16 v58, v74, v70, v58
	;;#ASMEND
	;;#ASMSTART
	v_dot2_f32_f16 v58, v75, v71, v58
	;;#ASMEND
	ds_load_b128 v[64:67], v36 offset:80
	ds_load_b128 v[68:71], v35 offset:336
	ds_load_b128 v[72:75], v36 offset:4688
	s_waitcnt lgkmcnt(1)
	;;#ASMSTART
	v_dot2_f32_f16 v57, v64, v68, v57
	;;#ASMEND
	;;#ASMSTART
	v_dot2_f32_f16 v57, v65, v69, v57
	;;#ASMEND
	;;#ASMSTART
	v_dot2_f32_f16 v57, v66, v70, v57
	;;#ASMEND
	;;#ASMSTART
	v_dot2_f32_f16 v57, v67, v71, v57
	;;#ASMEND
	s_waitcnt lgkmcnt(0)
	;;#ASMSTART
	v_dot2_f32_f16 v58, v72, v68, v58
	;;#ASMEND
	;;#ASMSTART
	v_dot2_f32_f16 v58, v73, v69, v58
	;;#ASMEND
	;;#ASMSTART
	v_dot2_f32_f16 v58, v74, v70, v58
	;;#ASMEND
	;;#ASMSTART
	v_dot2_f32_f16 v58, v75, v71, v58
	;;#ASMEND
	ds_load_b128 v[64:67], v36 offset:96
	ds_load_b128 v[68:71], v35 offset:352
	ds_load_b128 v[72:75], v36 offset:4704
	s_waitcnt lgkmcnt(1)
	;;#ASMSTART
	v_dot2_f32_f16 v57, v64, v68, v57
	;;#ASMEND
	;;#ASMSTART
	v_dot2_f32_f16 v57, v65, v69, v57
	;;#ASMEND
	;;#ASMSTART
	v_dot2_f32_f16 v57, v66, v70, v57
	;;#ASMEND
	;;#ASMSTART
	v_dot2_f32_f16 v57, v67, v71, v57
	;;#ASMEND
	s_waitcnt lgkmcnt(0)
	;;#ASMSTART
	v_dot2_f32_f16 v58, v72, v68, v58
	;;#ASMEND
	;;#ASMSTART
	v_dot2_f32_f16 v58, v73, v69, v58
	;;#ASMEND
	;;#ASMSTART
	v_dot2_f32_f16 v58, v74, v70, v58
	;;#ASMEND
	;;#ASMSTART
	v_dot2_f32_f16 v58, v75, v71, v58
	;;#ASMEND
	ds_load_b128 v[64:67], v36 offset:112
	ds_load_b128 v[68:71], v35 offset:368
	ds_load_b128 v[72:75], v36 offset:4720
	s_waitcnt lgkmcnt(1)
	;;#ASMSTART
	v_dot2_f32_f16 v57, v64, v68, v57
	;;#ASMEND
	;;#ASMSTART
	v_dot2_f32_f16 v57, v65, v69, v57
	;;#ASMEND
	;; [unrolled: 3-line block ×4, first 2 shown]
	s_waitcnt lgkmcnt(0)
	;;#ASMSTART
	v_dot2_f32_f16 v58, v72, v68, v58
	;;#ASMEND
	;;#ASMSTART
	v_dot2_f32_f16 v58, v73, v69, v58
	;;#ASMEND
	;;#ASMSTART
	v_dot2_f32_f16 v58, v74, v70, v58
	;;#ASMEND
	;;#ASMSTART
	v_dot2_f32_f16 v58, v75, v71, v58
	;;#ASMEND
	s_barrier
	buffer_gl0_inv
	s_clause 0x1
	global_load_b128 v[64:67], v[22:23], off offset:384
	global_load_b128 v[68:71], v[20:21], off offset:384
	s_waitcnt vmcnt(1)
	ds_store_b128 v33, v[64:67]
	s_waitcnt vmcnt(0)
	ds_store_b128 v34, v[68:71]
	s_waitcnt lgkmcnt(0)
	s_barrier
	buffer_gl0_inv
	ds_load_b128 v[64:67], v36
	ds_load_b128 v[68:71], v35 offset:384
	ds_load_b128 v[72:75], v36 offset:4608
	s_waitcnt lgkmcnt(1)
	;;#ASMSTART
	v_dot2_f32_f16 v57, v64, v68, v57
	;;#ASMEND
	;;#ASMSTART
	v_dot2_f32_f16 v57, v65, v69, v57
	;;#ASMEND
	;;#ASMSTART
	v_dot2_f32_f16 v57, v66, v70, v57
	;;#ASMEND
	;;#ASMSTART
	v_dot2_f32_f16 v57, v67, v71, v57
	;;#ASMEND
	s_waitcnt lgkmcnt(0)
	;;#ASMSTART
	v_dot2_f32_f16 v58, v72, v68, v58
	;;#ASMEND
	;;#ASMSTART
	v_dot2_f32_f16 v58, v73, v69, v58
	;;#ASMEND
	;;#ASMSTART
	v_dot2_f32_f16 v58, v74, v70, v58
	;;#ASMEND
	;;#ASMSTART
	v_dot2_f32_f16 v58, v75, v71, v58
	;;#ASMEND
	ds_load_b128 v[64:67], v36 offset:16
	ds_load_b128 v[68:71], v35 offset:400
	ds_load_b128 v[72:75], v36 offset:4624
	s_waitcnt lgkmcnt(1)
	;;#ASMSTART
	v_dot2_f32_f16 v57, v64, v68, v57
	;;#ASMEND
	;;#ASMSTART
	v_dot2_f32_f16 v57, v65, v69, v57
	;;#ASMEND
	;;#ASMSTART
	v_dot2_f32_f16 v57, v66, v70, v57
	;;#ASMEND
	;;#ASMSTART
	v_dot2_f32_f16 v57, v67, v71, v57
	;;#ASMEND
	s_waitcnt lgkmcnt(0)
	;;#ASMSTART
	v_dot2_f32_f16 v58, v72, v68, v58
	;;#ASMEND
	;;#ASMSTART
	v_dot2_f32_f16 v58, v73, v69, v58
	;;#ASMEND
	;;#ASMSTART
	v_dot2_f32_f16 v58, v74, v70, v58
	;;#ASMEND
	;;#ASMSTART
	v_dot2_f32_f16 v58, v75, v71, v58
	;;#ASMEND
	ds_load_b128 v[64:67], v36 offset:32
	;; [unrolled: 29-line block ×7, first 2 shown]
	ds_load_b128 v[68:71], v35 offset:496
	ds_load_b128 v[72:75], v36 offset:4720
	s_waitcnt lgkmcnt(1)
	;;#ASMSTART
	v_dot2_f32_f16 v57, v64, v68, v57
	;;#ASMEND
	;;#ASMSTART
	v_dot2_f32_f16 v57, v65, v69, v57
	;;#ASMEND
	;; [unrolled: 3-line block ×4, first 2 shown]
	s_waitcnt lgkmcnt(0)
	;;#ASMSTART
	v_dot2_f32_f16 v58, v72, v68, v58
	;;#ASMEND
	;;#ASMSTART
	v_dot2_f32_f16 v58, v73, v69, v58
	;;#ASMEND
	;; [unrolled: 3-line block ×4, first 2 shown]
	s_barrier
	buffer_gl0_inv
	s_clause 0x1
	global_load_b128 v[64:67], v[22:23], off offset:512
	global_load_b128 v[68:71], v[20:21], off offset:512
	s_waitcnt vmcnt(1)
	ds_store_b128 v33, v[64:67]
	s_waitcnt vmcnt(0)
	ds_store_b128 v34, v[68:71]
	s_waitcnt lgkmcnt(0)
	s_barrier
	buffer_gl0_inv
	ds_load_b128 v[64:67], v36
	ds_load_b128 v[68:71], v35 offset:512
	ds_load_b128 v[72:75], v36 offset:4608
	s_waitcnt lgkmcnt(1)
	;;#ASMSTART
	v_dot2_f32_f16 v57, v64, v68, v57
	;;#ASMEND
	;;#ASMSTART
	v_dot2_f32_f16 v57, v65, v69, v57
	;;#ASMEND
	;;#ASMSTART
	v_dot2_f32_f16 v57, v66, v70, v57
	;;#ASMEND
	;;#ASMSTART
	v_dot2_f32_f16 v57, v67, v71, v57
	;;#ASMEND
	s_waitcnt lgkmcnt(0)
	;;#ASMSTART
	v_dot2_f32_f16 v58, v72, v68, v58
	;;#ASMEND
	;;#ASMSTART
	v_dot2_f32_f16 v58, v73, v69, v58
	;;#ASMEND
	;;#ASMSTART
	v_dot2_f32_f16 v58, v74, v70, v58
	;;#ASMEND
	;;#ASMSTART
	v_dot2_f32_f16 v58, v75, v71, v58
	;;#ASMEND
	ds_load_b128 v[64:67], v36 offset:16
	ds_load_b128 v[68:71], v35 offset:528
	ds_load_b128 v[72:75], v36 offset:4624
	s_waitcnt lgkmcnt(1)
	;;#ASMSTART
	v_dot2_f32_f16 v57, v64, v68, v57
	;;#ASMEND
	;;#ASMSTART
	v_dot2_f32_f16 v57, v65, v69, v57
	;;#ASMEND
	;;#ASMSTART
	v_dot2_f32_f16 v57, v66, v70, v57
	;;#ASMEND
	;;#ASMSTART
	v_dot2_f32_f16 v57, v67, v71, v57
	;;#ASMEND
	s_waitcnt lgkmcnt(0)
	;;#ASMSTART
	v_dot2_f32_f16 v58, v72, v68, v58
	;;#ASMEND
	;;#ASMSTART
	v_dot2_f32_f16 v58, v73, v69, v58
	;;#ASMEND
	;;#ASMSTART
	v_dot2_f32_f16 v58, v74, v70, v58
	;;#ASMEND
	;;#ASMSTART
	v_dot2_f32_f16 v58, v75, v71, v58
	;;#ASMEND
	ds_load_b128 v[64:67], v36 offset:32
	;; [unrolled: 29-line block ×7, first 2 shown]
	ds_load_b128 v[68:71], v35 offset:624
	ds_load_b128 v[72:75], v36 offset:4720
	s_waitcnt lgkmcnt(1)
	;;#ASMSTART
	v_dot2_f32_f16 v57, v64, v68, v57
	;;#ASMEND
	;;#ASMSTART
	v_dot2_f32_f16 v57, v65, v69, v57
	;;#ASMEND
	;; [unrolled: 3-line block ×4, first 2 shown]
	s_waitcnt lgkmcnt(0)
	;;#ASMSTART
	v_dot2_f32_f16 v58, v72, v68, v58
	;;#ASMEND
	;;#ASMSTART
	v_dot2_f32_f16 v58, v73, v69, v58
	;;#ASMEND
	;; [unrolled: 3-line block ×4, first 2 shown]
	s_barrier
	buffer_gl0_inv
	s_clause 0x1
	global_load_b128 v[64:67], v[22:23], off offset:640
	global_load_b128 v[68:71], v[20:21], off offset:640
	s_waitcnt vmcnt(1)
	ds_store_b128 v33, v[64:67]
	s_waitcnt vmcnt(0)
	ds_store_b128 v34, v[68:71]
	s_waitcnt lgkmcnt(0)
	s_barrier
	buffer_gl0_inv
	ds_load_b128 v[64:67], v36
	ds_load_b128 v[68:71], v35 offset:640
	ds_load_b128 v[72:75], v36 offset:4608
	s_waitcnt lgkmcnt(1)
	;;#ASMSTART
	v_dot2_f32_f16 v57, v64, v68, v57
	;;#ASMEND
	;;#ASMSTART
	v_dot2_f32_f16 v57, v65, v69, v57
	;;#ASMEND
	;;#ASMSTART
	v_dot2_f32_f16 v57, v66, v70, v57
	;;#ASMEND
	;;#ASMSTART
	v_dot2_f32_f16 v57, v67, v71, v57
	;;#ASMEND
	s_waitcnt lgkmcnt(0)
	;;#ASMSTART
	v_dot2_f32_f16 v58, v72, v68, v58
	;;#ASMEND
	;;#ASMSTART
	v_dot2_f32_f16 v58, v73, v69, v58
	;;#ASMEND
	;;#ASMSTART
	v_dot2_f32_f16 v58, v74, v70, v58
	;;#ASMEND
	;;#ASMSTART
	v_dot2_f32_f16 v58, v75, v71, v58
	;;#ASMEND
	ds_load_b128 v[64:67], v36 offset:16
	ds_load_b128 v[68:71], v35 offset:656
	ds_load_b128 v[72:75], v36 offset:4624
	s_waitcnt lgkmcnt(1)
	;;#ASMSTART
	v_dot2_f32_f16 v57, v64, v68, v57
	;;#ASMEND
	;;#ASMSTART
	v_dot2_f32_f16 v57, v65, v69, v57
	;;#ASMEND
	;;#ASMSTART
	v_dot2_f32_f16 v57, v66, v70, v57
	;;#ASMEND
	;;#ASMSTART
	v_dot2_f32_f16 v57, v67, v71, v57
	;;#ASMEND
	s_waitcnt lgkmcnt(0)
	;;#ASMSTART
	v_dot2_f32_f16 v58, v72, v68, v58
	;;#ASMEND
	;;#ASMSTART
	v_dot2_f32_f16 v58, v73, v69, v58
	;;#ASMEND
	;;#ASMSTART
	v_dot2_f32_f16 v58, v74, v70, v58
	;;#ASMEND
	;;#ASMSTART
	v_dot2_f32_f16 v58, v75, v71, v58
	;;#ASMEND
	ds_load_b128 v[64:67], v36 offset:32
	;; [unrolled: 29-line block ×7, first 2 shown]
	ds_load_b128 v[68:71], v35 offset:752
	ds_load_b128 v[72:75], v36 offset:4720
	s_waitcnt lgkmcnt(1)
	;;#ASMSTART
	v_dot2_f32_f16 v57, v64, v68, v57
	;;#ASMEND
	;;#ASMSTART
	v_dot2_f32_f16 v57, v65, v69, v57
	;;#ASMEND
	;; [unrolled: 3-line block ×4, first 2 shown]
	s_waitcnt lgkmcnt(0)
	;;#ASMSTART
	v_dot2_f32_f16 v58, v72, v68, v58
	;;#ASMEND
	;;#ASMSTART
	v_dot2_f32_f16 v58, v73, v69, v58
	;;#ASMEND
	;;#ASMSTART
	v_dot2_f32_f16 v58, v74, v70, v58
	;;#ASMEND
	;;#ASMSTART
	v_dot2_f32_f16 v58, v75, v71, v58
	;;#ASMEND
	s_barrier
	buffer_gl0_inv
	s_clause 0x1
	global_load_b128 v[64:67], v[22:23], off offset:768
	global_load_b128 v[68:71], v[20:21], off offset:768
	s_waitcnt vmcnt(1)
	ds_store_b128 v33, v[64:67]
	s_waitcnt vmcnt(0)
	ds_store_b128 v34, v[68:71]
	s_waitcnt lgkmcnt(0)
	s_barrier
	buffer_gl0_inv
	ds_load_b128 v[64:67], v36
	ds_load_b128 v[68:71], v35 offset:768
	ds_load_b128 v[72:75], v36 offset:4608
	s_waitcnt lgkmcnt(1)
	;;#ASMSTART
	v_dot2_f32_f16 v57, v64, v68, v57
	;;#ASMEND
	;;#ASMSTART
	v_dot2_f32_f16 v57, v65, v69, v57
	;;#ASMEND
	;;#ASMSTART
	v_dot2_f32_f16 v57, v66, v70, v57
	;;#ASMEND
	;;#ASMSTART
	v_dot2_f32_f16 v57, v67, v71, v57
	;;#ASMEND
	s_waitcnt lgkmcnt(0)
	;;#ASMSTART
	v_dot2_f32_f16 v58, v72, v68, v58
	;;#ASMEND
	;;#ASMSTART
	v_dot2_f32_f16 v58, v73, v69, v58
	;;#ASMEND
	;;#ASMSTART
	v_dot2_f32_f16 v58, v74, v70, v58
	;;#ASMEND
	;;#ASMSTART
	v_dot2_f32_f16 v58, v75, v71, v58
	;;#ASMEND
	ds_load_b128 v[64:67], v36 offset:16
	ds_load_b128 v[68:71], v35 offset:784
	ds_load_b128 v[72:75], v36 offset:4624
	s_waitcnt lgkmcnt(1)
	;;#ASMSTART
	v_dot2_f32_f16 v57, v64, v68, v57
	;;#ASMEND
	;;#ASMSTART
	v_dot2_f32_f16 v57, v65, v69, v57
	;;#ASMEND
	;;#ASMSTART
	v_dot2_f32_f16 v57, v66, v70, v57
	;;#ASMEND
	;;#ASMSTART
	v_dot2_f32_f16 v57, v67, v71, v57
	;;#ASMEND
	s_waitcnt lgkmcnt(0)
	;;#ASMSTART
	v_dot2_f32_f16 v58, v72, v68, v58
	;;#ASMEND
	;;#ASMSTART
	v_dot2_f32_f16 v58, v73, v69, v58
	;;#ASMEND
	;;#ASMSTART
	v_dot2_f32_f16 v58, v74, v70, v58
	;;#ASMEND
	;;#ASMSTART
	v_dot2_f32_f16 v58, v75, v71, v58
	;;#ASMEND
	ds_load_b128 v[64:67], v36 offset:32
	;; [unrolled: 29-line block ×7, first 2 shown]
	ds_load_b128 v[68:71], v35 offset:880
	ds_load_b128 v[72:75], v36 offset:4720
	s_waitcnt lgkmcnt(1)
	;;#ASMSTART
	v_dot2_f32_f16 v57, v64, v68, v57
	;;#ASMEND
	;;#ASMSTART
	v_dot2_f32_f16 v57, v65, v69, v57
	;;#ASMEND
	;; [unrolled: 3-line block ×4, first 2 shown]
	s_waitcnt lgkmcnt(0)
	;;#ASMSTART
	v_dot2_f32_f16 v58, v72, v68, v58
	;;#ASMEND
	;;#ASMSTART
	v_dot2_f32_f16 v58, v73, v69, v58
	;;#ASMEND
	;; [unrolled: 3-line block ×4, first 2 shown]
	s_barrier
	buffer_gl0_inv
	s_clause 0x1
	global_load_b128 v[64:67], v[22:23], off offset:896
	global_load_b128 v[20:23], v[20:21], off offset:896
	s_waitcnt vmcnt(1)
	ds_store_b128 v33, v[64:67]
	s_waitcnt vmcnt(0)
	ds_store_b128 v34, v[20:23]
	s_waitcnt lgkmcnt(0)
	s_barrier
	buffer_gl0_inv
	ds_load_b128 v[20:23], v36
	ds_load_b128 v[64:67], v35 offset:896
	ds_load_b128 v[68:71], v36 offset:4608
	s_waitcnt lgkmcnt(1)
	;;#ASMSTART
	v_dot2_f32_f16 v57, v20, v64, v57
	;;#ASMEND
	;;#ASMSTART
	v_dot2_f32_f16 v57, v21, v65, v57
	;;#ASMEND
	;;#ASMSTART
	v_dot2_f32_f16 v57, v22, v66, v57
	;;#ASMEND
	;;#ASMSTART
	v_dot2_f32_f16 v57, v23, v67, v57
	;;#ASMEND
	s_waitcnt lgkmcnt(0)
	;;#ASMSTART
	v_dot2_f32_f16 v58, v68, v64, v58
	;;#ASMEND
	;;#ASMSTART
	v_dot2_f32_f16 v58, v69, v65, v58
	;;#ASMEND
	;;#ASMSTART
	v_dot2_f32_f16 v58, v70, v66, v58
	;;#ASMEND
	;;#ASMSTART
	v_dot2_f32_f16 v58, v71, v67, v58
	;;#ASMEND
	ds_load_b128 v[20:23], v36 offset:16
	ds_load_b128 v[64:67], v35 offset:912
	ds_load_b128 v[68:71], v36 offset:4624
	s_waitcnt lgkmcnt(1)
	;;#ASMSTART
	v_dot2_f32_f16 v57, v20, v64, v57
	;;#ASMEND
	;;#ASMSTART
	v_dot2_f32_f16 v57, v21, v65, v57
	;;#ASMEND
	;;#ASMSTART
	v_dot2_f32_f16 v57, v22, v66, v57
	;;#ASMEND
	;;#ASMSTART
	v_dot2_f32_f16 v57, v23, v67, v57
	;;#ASMEND
	s_waitcnt lgkmcnt(0)
	;;#ASMSTART
	v_dot2_f32_f16 v58, v68, v64, v58
	;;#ASMEND
	;;#ASMSTART
	v_dot2_f32_f16 v58, v69, v65, v58
	;;#ASMEND
	;;#ASMSTART
	v_dot2_f32_f16 v58, v70, v66, v58
	;;#ASMEND
	;;#ASMSTART
	v_dot2_f32_f16 v58, v71, v67, v58
	;;#ASMEND
	ds_load_b128 v[20:23], v36 offset:32
	;; [unrolled: 29-line block ×7, first 2 shown]
	ds_load_b128 v[64:67], v35 offset:1008
	ds_load_b128 v[68:71], v36 offset:4720
	s_waitcnt lgkmcnt(1)
	;;#ASMSTART
	v_dot2_f32_f16 v57, v20, v64, v57
	;;#ASMEND
	;;#ASMSTART
	v_dot2_f32_f16 v57, v21, v65, v57
	;;#ASMEND
	;; [unrolled: 3-line block ×4, first 2 shown]
	s_waitcnt lgkmcnt(0)
	;;#ASMSTART
	v_dot2_f32_f16 v58, v68, v64, v58
	;;#ASMEND
	;;#ASMSTART
	v_dot2_f32_f16 v58, v69, v65, v58
	;;#ASMEND
	;; [unrolled: 3-line block ×4, first 2 shown]
	s_clause 0x1
	flat_load_u16 v7, v[18:19]
	flat_load_u16 v18, v[18:19] offset:64
	s_waitcnt vmcnt(0) lgkmcnt(0)
	s_barrier
	buffer_gl0_inv
	s_clause 0x1
	global_load_b128 v[19:22], v[16:17], off
	global_load_b128 v[64:67], v[16:17], off offset:512
	v_cvt_f32_f16_e32 v7, v7
	v_cvt_f32_f16_e32 v16, v18
	s_delay_alu instid0(VALU_DEP_1) | instskip(NEXT) | instid1(VALU_DEP_1)
	v_dual_add_f32 v17, v57, v7 :: v_dual_add_f32 v16, v58, v16
	v_dual_add_f32 v7, 0x40051340, v17 :: v_dual_add_f32 v18, 0x40051340, v16
	s_delay_alu instid0(VALU_DEP_1) | instskip(SKIP_3) | instid1(VALU_DEP_1)
	v_max3_f32 v7, v56, v7, v18
	ds_bpermute_b32 v18, v63, v7
	s_waitcnt lgkmcnt(0)
	v_max_f32_e32 v18, v18, v18
	v_max_f32_e32 v7, v7, v18
	ds_bpermute_b32 v18, v62, v7
	s_waitcnt lgkmcnt(0)
	v_max_f32_e32 v18, v18, v18
	s_delay_alu instid0(VALU_DEP_1) | instskip(SKIP_3) | instid1(VALU_DEP_1)
	v_max_f32_e32 v7, v7, v18
	ds_bpermute_b32 v18, v61, v7
	s_waitcnt lgkmcnt(0)
	v_max_f32_e32 v18, v18, v18
	v_max_f32_e32 v7, v7, v18
	ds_bpermute_b32 v18, v60, v7
	s_waitcnt lgkmcnt(0)
	v_max_f32_e32 v18, v18, v18
	s_delay_alu instid0(VALU_DEP_1) | instskip(SKIP_3) | instid1(VALU_DEP_1)
	v_max_f32_e32 v7, v7, v18
	ds_bpermute_b32 v18, v59, v7
	s_waitcnt lgkmcnt(0)
	v_max_f32_e32 v18, v18, v18
	v_max_f32_e32 v7, v7, v18
	s_delay_alu instid0(VALU_DEP_1) | instskip(NEXT) | instid1(VALU_DEP_1)
	v_sub_f32_e32 v18, v56, v7
	v_dual_sub_f32 v16, v16, v7 :: v_dual_mul_f32 v57, 0x3fb8aa3b, v18
	s_delay_alu instid0(VALU_DEP_1) | instskip(SKIP_1) | instid1(VALU_DEP_3)
	v_mul_f32_e32 v56, 0x3fb8aa3b, v16
	v_cmp_ngt_f32_e32 vcc_lo, 0xc2ce8ed0, v16
	v_rndne_f32_e32 v63, v57
	s_delay_alu instid0(VALU_DEP_3) | instskip(SKIP_1) | instid1(VALU_DEP_2)
	v_fma_f32 v60, 0x3fb8aa3b, v16, -v56
	v_rndne_f32_e32 v61, v56
	v_fmac_f32_e32 v60, 0x32a5705f, v16
	s_delay_alu instid0(VALU_DEP_2) | instskip(SKIP_1) | instid1(VALU_DEP_2)
	v_sub_f32_e32 v56, v56, v61
	v_cvt_i32_f32_e32 v61, v61
	v_dual_add_f32 v56, v56, v60 :: v_dual_sub_f32 v17, v17, v7
	s_delay_alu instid0(VALU_DEP_1) | instskip(NEXT) | instid1(VALU_DEP_1)
	v_exp_f32_e32 v56, v56
	v_mul_f32_e32 v23, 0x3fb8aa3b, v17
	v_cmp_ngt_f32_e64 s3, 0xc2ce8ed0, v17
	s_delay_alu instid0(VALU_DEP_2)
	v_fma_f32 v58, 0x3fb8aa3b, v17, -v23
	v_rndne_f32_e32 v59, v23
	s_waitcnt_depctr 0xfff
	v_ldexp_f32 v56, v56, v61
	v_dual_fmac_f32 v58, 0x32a5705f, v17 :: v_dual_sub_f32 v23, v23, v59
	v_cvt_i32_f32_e32 v59, v59
	s_delay_alu instid0(VALU_DEP_3) | instskip(SKIP_1) | instid1(VALU_DEP_4)
	v_cndmask_b32_e32 v56, 0, v56, vcc_lo
	v_cmp_nlt_f32_e32 vcc_lo, 0x42b17218, v16
	v_add_f32_e32 v23, v23, v58
	v_fma_f32 v62, 0x3fb8aa3b, v18, -v57
	v_sub_f32_e32 v57, v57, v63
	v_cvt_i32_f32_e32 v63, v63
	v_cmp_ngt_f32_e64 s2, 0xc2ce8ed0, v18
	v_exp_f32_e32 v23, v23
	v_fmac_f32_e32 v62, 0x32a5705f, v18
	s_delay_alu instid0(VALU_DEP_1) | instskip(SKIP_3) | instid1(VALU_DEP_1)
	v_add_f32_e32 v57, v57, v62
	s_waitcnt_depctr 0xfff
	v_ldexp_f32 v23, v23, v59
	v_exp_f32_e32 v57, v57
	v_cndmask_b32_e64 v23, 0, v23, s3
	v_cmp_nlt_f32_e64 s3, 0x42b17218, v17
	s_waitcnt_depctr 0xfff
	v_ldexp_f32 v57, v57, v63
	v_cndmask_b32_e64 v17, 0x7f800000, v23, s3
	s_delay_alu instid0(VALU_DEP_2) | instskip(SKIP_2) | instid1(VALU_DEP_4)
	v_cndmask_b32_e64 v16, 0, v57, s2
	v_cmp_nlt_f32_e64 s2, 0x42b17218, v18
	v_cndmask_b32_e32 v18, 0x7f800000, v56, vcc_lo
	v_cvt_f16_f32_e32 v23, v17
	s_delay_alu instid0(VALU_DEP_3) | instskip(NEXT) | instid1(VALU_DEP_3)
	v_cndmask_b32_e64 v16, 0x7f800000, v16, s2
	v_cvt_f16_f32_e32 v56, v18
	ds_store_b16 v38, v23
	ds_store_b16 v38, v56 offset:64
	s_waitcnt vmcnt(1)
	ds_store_b128 v39, v[19:22]
	s_waitcnt vmcnt(0)
	ds_store_b128 v40, v[64:67]
	s_waitcnt lgkmcnt(0)
	s_barrier
	buffer_gl0_inv
	ds_load_2addr_b64 v[19:22], v41 offset1:32
	ds_load_b128 v[56:59], v37
	ds_load_2addr_b64 v[60:63], v41 offset0:64 offset1:96
	v_cvt_f16_f32_e32 v88, v16
	ds_load_2addr_b64 v[64:67], v41 offset0:192 offset1:224
	s_or_b32 s2, s13, 40
	s_delay_alu instid0(SALU_CYCLE_1)
	s_mul_hi_i32 s3, s2, s10
	v_pk_mul_f16 v23, v88, v53 op_sel_hi:[0,1]
	v_pk_mul_f16 v53, v88, v55 op_sel_hi:[0,1]
	;; [unrolled: 1-line block ×6, first 2 shown]
	ds_load_2addr_b64 v[48:51], v41 offset0:128 offset1:160
	ds_load_2addr_b64 v[68:71], v45 offset1:32
	ds_load_2addr_b64 v[72:75], v45 offset0:64 offset1:96
	ds_load_2addr_b64 v[76:79], v45 offset0:128 offset1:160
	;; [unrolled: 1-line block ×3, first 2 shown]
	ds_load_2addr_b64 v[84:87], v46 offset1:32
	s_mul_i32 s2, s2, s10
	s_delay_alu instid0(SALU_CYCLE_1)
	s_lshl_b64 s[2:3], s[2:3], 2
	s_waitcnt lgkmcnt(8)
	v_pk_mul_f16 v92, v19, v56 op_sel_hi:[1,0]
	v_pk_mul_f16 v93, v20, v56 op_sel_hi:[1,0]
	v_pk_fma_f16 v23, v21, v56, v23 op_sel_hi:[1,0,1]
	v_pk_fma_f16 v53, v22, v56, v53 op_sel_hi:[1,0,1]
	s_waitcnt lgkmcnt(7)
	v_pk_fma_f16 v55, v60, v56, v55 op_sel_hi:[1,0,1]
	v_pk_fma_f16 v89, v61, v56, v89 op_sel_hi:[1,0,1]
	;; [unrolled: 1-line block ×6, first 2 shown]
	s_waitcnt lgkmcnt(6)
	v_pk_fma_f16 v55, v64, v56, v55 op_sel:[0,1,0]
	v_pk_fma_f16 v89, v65, v56, v89 op_sel:[0,1,0]
	;; [unrolled: 1-line block ×4, first 2 shown]
	s_waitcnt lgkmcnt(5)
	v_pk_fma_f16 v23, v50, v56, v23 op_sel:[0,1,0]
	v_pk_fma_f16 v88, v51, v56, v53 op_sel:[0,1,0]
	;; [unrolled: 1-line block ×4, first 2 shown]
	s_waitcnt lgkmcnt(3)
	v_pk_fma_f16 v72, v72, v57, v55 op_sel_hi:[1,0,1]
	v_pk_fma_f16 v73, v73, v57, v89 op_sel_hi:[1,0,1]
	;; [unrolled: 1-line block ×8, first 2 shown]
	ds_load_2addr_b64 v[19:22], v46 offset0:64 offset1:96
	ds_load_2addr_b64 v[60:63], v46 offset0:128 offset1:160
	;; [unrolled: 1-line block ×3, first 2 shown]
	ds_load_2addr_b64 v[48:51], v47 offset1:32
	ds_load_2addr_b64 v[52:55], v47 offset0:64 offset1:96
	ds_load_2addr_b64 v[68:71], v47 offset0:128 offset1:160
	s_waitcnt lgkmcnt(7)
	v_pk_fma_f16 v90, v80, v57, v72 op_sel:[0,1,0]
	v_pk_fma_f16 v91, v81, v57, v73 op_sel:[0,1,0]
	;; [unrolled: 1-line block ×4, first 2 shown]
	ds_load_2addr_b64 v[72:75], v47 offset0:192 offset1:224
	s_waitcnt lgkmcnt(0)
	s_barrier
	buffer_gl0_inv
	v_pk_fma_f16 v23, v78, v57, v23 op_sel:[0,1,0]
	v_pk_fma_f16 v88, v79, v57, v88 op_sel:[0,1,0]
	;; [unrolled: 1-line block ×4, first 2 shown]
	s_clause 0x1
	global_load_b128 v[76:79], v[14:15], off
	global_load_b128 v[80:83], v[14:15], off offset:512
	v_pk_fma_f16 v14, v86, v58, v23 op_sel_hi:[1,0,1]
	v_pk_fma_f16 v15, v87, v58, v88 op_sel_hi:[1,0,1]
	;; [unrolled: 1-line block ×8, first 2 shown]
	v_pk_fma_f16 v14, v62, v58, v14 op_sel:[0,1,0]
	v_pk_fma_f16 v15, v63, v58, v15 op_sel:[0,1,0]
	;; [unrolled: 1-line block ×8, first 2 shown]
	v_pk_fma_f16 v14, v50, v59, v14 op_sel_hi:[1,0,1]
	v_pk_fma_f16 v15, v51, v59, v15 op_sel_hi:[1,0,1]
	;; [unrolled: 1-line block ×8, first 2 shown]
	v_pk_fma_f16 v14, v70, v59, v14 op_sel:[0,1,0]
	v_pk_fma_f16 v15, v71, v59, v15 op_sel:[0,1,0]
	;; [unrolled: 1-line block ×8, first 2 shown]
	s_waitcnt vmcnt(1)
	ds_store_b128 v39, v[76:79]
	s_waitcnt vmcnt(0)
	ds_store_b128 v40, v[80:83]
	s_waitcnt lgkmcnt(0)
	s_barrier
	buffer_gl0_inv
	ds_load_2addr_b64 v[19:22], v41 offset1:32
	ds_load_b128 v[48:51], v37 offset:16
	ds_load_2addr_b64 v[52:55], v41 offset0:64 offset1:96
	ds_load_2addr_b64 v[56:59], v41 offset0:128 offset1:160
	ds_load_2addr_b64 v[60:63], v41 offset0:192 offset1:224
	ds_load_2addr_b64 v[64:67], v45 offset1:32
	ds_load_2addr_b64 v[68:71], v45 offset0:64 offset1:96
	ds_load_2addr_b64 v[72:75], v45 offset0:128 offset1:160
	;; [unrolled: 1-line block ×3, first 2 shown]
	ds_load_2addr_b64 v[80:83], v46 offset1:32
	ds_load_2addr_b64 v[84:87], v46 offset0:64 offset1:96
	s_waitcnt lgkmcnt(9)
	v_pk_fma_f16 v23, v19, v48, v23 op_sel_hi:[1,0,1]
	v_pk_fma_f16 v92, v20, v48, v92 op_sel_hi:[1,0,1]
	;; [unrolled: 1-line block ×4, first 2 shown]
	s_waitcnt lgkmcnt(8)
	v_pk_fma_f16 v88, v52, v48, v88 op_sel_hi:[1,0,1]
	v_pk_fma_f16 v89, v53, v48, v89 op_sel_hi:[1,0,1]
	;; [unrolled: 1-line block ×4, first 2 shown]
	s_waitcnt lgkmcnt(7)
	v_pk_fma_f16 v23, v56, v48, v23 op_sel:[0,1,0]
	v_pk_fma_f16 v92, v57, v48, v92 op_sel:[0,1,0]
	;; [unrolled: 1-line block ×4, first 2 shown]
	s_waitcnt lgkmcnt(6)
	v_pk_fma_f16 v88, v60, v48, v88 op_sel:[0,1,0]
	v_pk_fma_f16 v89, v61, v48, v89 op_sel:[0,1,0]
	;; [unrolled: 1-line block ×4, first 2 shown]
	s_waitcnt lgkmcnt(5)
	v_pk_fma_f16 v23, v64, v49, v23 op_sel_hi:[1,0,1]
	v_pk_fma_f16 v91, v65, v49, v92 op_sel_hi:[1,0,1]
	;; [unrolled: 1-line block ×4, first 2 shown]
	ds_load_2addr_b64 v[19:22], v46 offset0:128 offset1:160
	ds_load_2addr_b64 v[52:55], v46 offset0:192 offset1:224
	ds_load_2addr_b64 v[56:59], v47 offset1:32
	ds_load_2addr_b64 v[60:63], v47 offset0:64 offset1:96
	ds_load_2addr_b64 v[64:67], v47 offset0:128 offset1:160
	s_waitcnt lgkmcnt(9)
	v_pk_fma_f16 v88, v68, v49, v88 op_sel_hi:[1,0,1]
	v_pk_fma_f16 v89, v69, v49, v89 op_sel_hi:[1,0,1]
	;; [unrolled: 1-line block ×4, first 2 shown]
	ds_load_2addr_b64 v[68:71], v47 offset0:192 offset1:224
	s_waitcnt lgkmcnt(0)
	s_barrier
	buffer_gl0_inv
	v_pk_fma_f16 v23, v72, v49, v23 op_sel:[0,1,0]
	v_pk_fma_f16 v91, v73, v49, v91 op_sel:[0,1,0]
	;; [unrolled: 1-line block ×4, first 2 shown]
	s_clause 0x1
	global_load_b128 v[72:75], v[12:13], off
	global_load_b128 v[12:15], v[12:13], off offset:512
	v_pk_fma_f16 v76, v76, v49, v88 op_sel:[0,1,0]
	v_pk_fma_f16 v77, v77, v49, v89 op_sel:[0,1,0]
	;; [unrolled: 1-line block ×4, first 2 shown]
	v_pk_fma_f16 v23, v80, v50, v23 op_sel_hi:[1,0,1]
	v_pk_fma_f16 v49, v81, v50, v91 op_sel_hi:[1,0,1]
	;; [unrolled: 1-line block ×8, first 2 shown]
	v_pk_fma_f16 v19, v19, v50, v23 op_sel:[0,1,0]
	v_pk_fma_f16 v20, v20, v50, v49 op_sel:[0,1,0]
	;; [unrolled: 1-line block ×8, first 2 shown]
	v_pk_fma_f16 v19, v56, v51, v19 op_sel_hi:[1,0,1]
	v_pk_fma_f16 v20, v57, v51, v20 op_sel_hi:[1,0,1]
	;; [unrolled: 1-line block ×8, first 2 shown]
	v_pk_fma_f16 v84, v64, v51, v19 op_sel:[0,1,0]
	v_pk_fma_f16 v85, v65, v51, v20 op_sel:[0,1,0]
	;; [unrolled: 1-line block ×8, first 2 shown]
	s_waitcnt vmcnt(1)
	ds_store_b128 v39, v[72:75]
	s_waitcnt vmcnt(0)
	ds_store_b128 v40, v[12:15]
	s_waitcnt lgkmcnt(0)
	s_barrier
	buffer_gl0_inv
	ds_load_2addr_b64 v[12:15], v41 offset1:32
	ds_load_b128 v[19:22], v37 offset:32
	ds_load_2addr_b64 v[48:51], v41 offset0:64 offset1:96
	ds_load_2addr_b64 v[52:55], v41 offset0:128 offset1:160
	;; [unrolled: 1-line block ×3, first 2 shown]
	ds_load_2addr_b64 v[60:63], v45 offset1:32
	ds_load_2addr_b64 v[64:67], v45 offset0:64 offset1:96
	ds_load_2addr_b64 v[68:71], v45 offset0:128 offset1:160
	;; [unrolled: 1-line block ×3, first 2 shown]
	ds_load_2addr_b64 v[76:79], v46 offset1:32
	ds_load_2addr_b64 v[80:83], v46 offset0:64 offset1:96
	s_waitcnt lgkmcnt(9)
	v_pk_fma_f16 v84, v12, v19, v84 op_sel_hi:[1,0,1]
	v_pk_fma_f16 v85, v13, v19, v85 op_sel_hi:[1,0,1]
	;; [unrolled: 1-line block ×4, first 2 shown]
	s_waitcnt lgkmcnt(8)
	v_pk_fma_f16 v23, v48, v19, v23 op_sel_hi:[1,0,1]
	v_pk_fma_f16 v88, v49, v19, v88 op_sel_hi:[1,0,1]
	;; [unrolled: 1-line block ×4, first 2 shown]
	s_waitcnt lgkmcnt(7)
	v_pk_fma_f16 v84, v52, v19, v84 op_sel:[0,1,0]
	v_pk_fma_f16 v85, v53, v19, v85 op_sel:[0,1,0]
	;; [unrolled: 1-line block ×4, first 2 shown]
	s_waitcnt lgkmcnt(6)
	v_pk_fma_f16 v23, v56, v19, v23 op_sel:[0,1,0]
	v_pk_fma_f16 v88, v57, v19, v88 op_sel:[0,1,0]
	;; [unrolled: 1-line block ×4, first 2 shown]
	s_waitcnt lgkmcnt(5)
	v_pk_fma_f16 v84, v60, v20, v84 op_sel_hi:[1,0,1]
	v_pk_fma_f16 v85, v61, v20, v85 op_sel_hi:[1,0,1]
	;; [unrolled: 1-line block ×4, first 2 shown]
	ds_load_2addr_b64 v[12:15], v46 offset0:128 offset1:160
	ds_load_2addr_b64 v[48:51], v46 offset0:192 offset1:224
	ds_load_2addr_b64 v[52:55], v47 offset1:32
	ds_load_2addr_b64 v[56:59], v47 offset0:64 offset1:96
	ds_load_2addr_b64 v[60:63], v47 offset0:128 offset1:160
	s_waitcnt lgkmcnt(9)
	v_pk_fma_f16 v23, v64, v20, v23 op_sel_hi:[1,0,1]
	v_pk_fma_f16 v88, v65, v20, v88 op_sel_hi:[1,0,1]
	v_pk_fma_f16 v89, v66, v20, v89 op_sel_hi:[1,0,1]
	v_pk_fma_f16 v19, v67, v20, v19 op_sel_hi:[1,0,1]
	ds_load_2addr_b64 v[64:67], v47 offset0:192 offset1:224
	s_waitcnt lgkmcnt(0)
	s_barrier
	buffer_gl0_inv
	v_pk_fma_f16 v90, v68, v20, v84 op_sel:[0,1,0]
	v_pk_fma_f16 v91, v69, v20, v85 op_sel:[0,1,0]
	;; [unrolled: 1-line block ×4, first 2 shown]
	s_clause 0x1
	global_load_b128 v[68:71], v[10:11], off
	global_load_b128 v[84:87], v[10:11], off offset:512
	v_pk_fma_f16 v10, v72, v20, v23 op_sel:[0,1,0]
	v_pk_fma_f16 v11, v73, v20, v88 op_sel:[0,1,0]
	;; [unrolled: 1-line block ×4, first 2 shown]
	v_pk_fma_f16 v20, v76, v21, v90 op_sel_hi:[1,0,1]
	v_pk_fma_f16 v72, v77, v21, v91 op_sel_hi:[1,0,1]
	;; [unrolled: 1-line block ×8, first 2 shown]
	v_pk_fma_f16 v12, v12, v21, v20 op_sel:[0,1,0]
	v_pk_fma_f16 v13, v13, v21, v72 op_sel:[0,1,0]
	v_pk_fma_f16 v14, v14, v21, v73 op_sel:[0,1,0]
	v_pk_fma_f16 v15, v15, v21, v74 op_sel:[0,1,0]
	v_pk_fma_f16 v10, v48, v21, v10 op_sel:[0,1,0]
	v_pk_fma_f16 v11, v49, v21, v11 op_sel:[0,1,0]
	v_pk_fma_f16 v20, v50, v21, v23 op_sel:[0,1,0]
	v_pk_fma_f16 v19, v51, v21, v19 op_sel:[0,1,0]
	v_pk_fma_f16 v12, v52, v22, v12 op_sel_hi:[1,0,1]
	v_pk_fma_f16 v13, v53, v22, v13 op_sel_hi:[1,0,1]
	;; [unrolled: 1-line block ×8, first 2 shown]
	v_pk_fma_f16 v23, v60, v22, v12 op_sel:[0,1,0]
	v_pk_fma_f16 v88, v61, v22, v13 op_sel:[0,1,0]
	v_pk_fma_f16 v14, v62, v22, v14 op_sel:[0,1,0]
	v_pk_fma_f16 v15, v63, v22, v15 op_sel:[0,1,0]
	v_pk_fma_f16 v89, v64, v22, v10 op_sel:[0,1,0]
	v_pk_fma_f16 v90, v65, v22, v11 op_sel:[0,1,0]
	v_pk_fma_f16 v91, v66, v22, v20 op_sel:[0,1,0]
	v_pk_fma_f16 v92, v67, v22, v19 op_sel:[0,1,0]
	s_waitcnt vmcnt(1)
	ds_store_b128 v39, v[68:71]
	s_waitcnt vmcnt(0)
	ds_store_b128 v40, v[84:87]
	s_waitcnt lgkmcnt(0)
	s_barrier
	buffer_gl0_inv
	ds_load_2addr_b64 v[10:13], v41 offset1:32
	ds_load_b128 v[19:22], v37 offset:48
	ds_load_2addr_b64 v[48:51], v41 offset0:64 offset1:96
	ds_load_2addr_b64 v[52:55], v41 offset0:128 offset1:160
	;; [unrolled: 1-line block ×3, first 2 shown]
	ds_load_2addr_b64 v[60:63], v45 offset1:32
	ds_load_2addr_b64 v[64:67], v45 offset0:64 offset1:96
	ds_load_2addr_b64 v[68:71], v45 offset0:128 offset1:160
	;; [unrolled: 1-line block ×3, first 2 shown]
	ds_load_2addr_b64 v[76:79], v46 offset1:32
	ds_load_2addr_b64 v[80:83], v46 offset0:64 offset1:96
	ds_load_2addr_b64 v[84:87], v46 offset0:128 offset1:160
	s_waitcnt lgkmcnt(10)
	v_pk_fma_f16 v23, v10, v19, v23 op_sel_hi:[1,0,1]
	v_pk_fma_f16 v88, v11, v19, v88 op_sel_hi:[1,0,1]
	;; [unrolled: 1-line block ×4, first 2 shown]
	s_waitcnt lgkmcnt(9)
	v_pk_fma_f16 v89, v48, v19, v89 op_sel_hi:[1,0,1]
	v_pk_fma_f16 v90, v49, v19, v90 op_sel_hi:[1,0,1]
	;; [unrolled: 1-line block ×4, first 2 shown]
	s_waitcnt lgkmcnt(8)
	v_pk_fma_f16 v23, v52, v19, v23 op_sel:[0,1,0]
	v_pk_fma_f16 v88, v53, v19, v88 op_sel:[0,1,0]
	;; [unrolled: 1-line block ×4, first 2 shown]
	s_waitcnt lgkmcnt(7)
	v_pk_fma_f16 v89, v56, v19, v89 op_sel:[0,1,0]
	v_pk_fma_f16 v90, v57, v19, v90 op_sel:[0,1,0]
	;; [unrolled: 1-line block ×4, first 2 shown]
	s_waitcnt lgkmcnt(6)
	v_pk_fma_f16 v23, v60, v20, v23 op_sel_hi:[1,0,1]
	v_pk_fma_f16 v88, v61, v20, v88 op_sel_hi:[1,0,1]
	;; [unrolled: 1-line block ×4, first 2 shown]
	ds_load_2addr_b64 v[10:13], v46 offset0:192 offset1:224
	ds_load_2addr_b64 v[48:51], v47 offset1:32
	ds_load_2addr_b64 v[52:55], v47 offset0:64 offset1:96
	ds_load_2addr_b64 v[56:59], v47 offset0:128 offset1:160
	;; [unrolled: 1-line block ×3, first 2 shown]
	s_waitcnt lgkmcnt(0)
	s_barrier
	buffer_gl0_inv
	v_pk_fma_f16 v92, v64, v20, v89 op_sel_hi:[1,0,1]
	v_pk_fma_f16 v90, v65, v20, v90 op_sel_hi:[1,0,1]
	;; [unrolled: 1-line block ×4, first 2 shown]
	global_load_b128 v[64:67], v[8:9], off
	v_pk_fma_f16 v23, v68, v20, v23 op_sel:[0,1,0]
	v_pk_fma_f16 v93, v69, v20, v88 op_sel:[0,1,0]
	;; [unrolled: 1-line block ×4, first 2 shown]
	global_load_b128 v[68:71], v[8:9], off offset:512
	v_pk_fma_f16 v8, v72, v20, v92 op_sel:[0,1,0]
	v_pk_fma_f16 v9, v73, v20, v90 op_sel:[0,1,0]
	;; [unrolled: 1-line block ×4, first 2 shown]
	v_pk_fma_f16 v20, v76, v21, v23 op_sel_hi:[1,0,1]
	v_pk_fma_f16 v23, v77, v21, v93 op_sel_hi:[1,0,1]
	v_pk_fma_f16 v14, v78, v21, v14 op_sel_hi:[1,0,1]
	v_pk_fma_f16 v15, v79, v21, v15 op_sel_hi:[1,0,1]
	v_pk_fma_f16 v8, v80, v21, v8 op_sel_hi:[1,0,1]
	v_pk_fma_f16 v9, v81, v21, v9 op_sel_hi:[1,0,1]
	v_pk_fma_f16 v72, v82, v21, v72 op_sel_hi:[1,0,1]
	v_pk_fma_f16 v19, v83, v21, v19 op_sel_hi:[1,0,1]
	v_pk_fma_f16 v20, v84, v21, v20 op_sel:[0,1,0]
	v_pk_fma_f16 v23, v85, v21, v23 op_sel:[0,1,0]
	;; [unrolled: 1-line block ×8, first 2 shown]
	v_pk_fma_f16 v12, v48, v22, v20 op_sel_hi:[1,0,1]
	v_pk_fma_f16 v13, v49, v22, v23 op_sel_hi:[1,0,1]
	;; [unrolled: 1-line block ×8, first 2 shown]
	v_pk_fma_f16 v23, v56, v22, v12 op_sel:[0,1,0]
	v_pk_fma_f16 v84, v57, v22, v13 op_sel:[0,1,0]
	;; [unrolled: 1-line block ×8, first 2 shown]
	s_waitcnt vmcnt(1)
	ds_store_b128 v39, v[64:67]
	s_waitcnt vmcnt(0)
	ds_store_b128 v40, v[68:71]
	s_waitcnt lgkmcnt(0)
	s_barrier
	buffer_gl0_inv
	ds_load_2addr_b64 v[8:11], v41 offset1:32
	ds_load_b128 v[12:15], v37 offset:64
	ds_load_2addr_b64 v[19:22], v41 offset0:64 offset1:96
	ds_load_2addr_b64 v[48:51], v41 offset0:128 offset1:160
	;; [unrolled: 1-line block ×3, first 2 shown]
	ds_load_2addr_b64 v[56:59], v45 offset1:32
	ds_load_2addr_b64 v[60:63], v45 offset0:64 offset1:96
	ds_load_2addr_b64 v[64:67], v45 offset0:128 offset1:160
	;; [unrolled: 1-line block ×3, first 2 shown]
	ds_load_2addr_b64 v[72:75], v46 offset1:32
	ds_load_2addr_b64 v[76:79], v46 offset0:64 offset1:96
	ds_load_2addr_b64 v[80:83], v46 offset0:128 offset1:160
	v_add_co_u32 v88, vcc_lo, v42, s2
	v_add_co_ci_u32_e32 v89, vcc_lo, s3, v43, vcc_lo
	s_or_b32 s2, s13, 48
	s_delay_alu instid0(SALU_CYCLE_1)
	s_mul_hi_i32 s3, s2, s10
	s_mul_i32 s2, s2, s10
	s_waitcnt lgkmcnt(10)
	v_pk_fma_f16 v23, v8, v12, v23 op_sel_hi:[1,0,1]
	v_pk_fma_f16 v84, v9, v12, v84 op_sel_hi:[1,0,1]
	;; [unrolled: 1-line block ×4, first 2 shown]
	s_waitcnt lgkmcnt(9)
	v_pk_fma_f16 v87, v19, v12, v87 op_sel_hi:[1,0,1]
	v_pk_fma_f16 v90, v20, v12, v90 op_sel_hi:[1,0,1]
	;; [unrolled: 1-line block ×4, first 2 shown]
	s_waitcnt lgkmcnt(8)
	v_pk_fma_f16 v23, v48, v12, v23 op_sel:[0,1,0]
	v_pk_fma_f16 v84, v49, v12, v84 op_sel:[0,1,0]
	v_pk_fma_f16 v85, v50, v12, v85 op_sel:[0,1,0]
	v_pk_fma_f16 v86, v51, v12, v86 op_sel:[0,1,0]
	s_waitcnt lgkmcnt(7)
	v_pk_fma_f16 v87, v52, v12, v87 op_sel:[0,1,0]
	v_pk_fma_f16 v90, v53, v12, v90 op_sel:[0,1,0]
	;; [unrolled: 1-line block ×4, first 2 shown]
	s_waitcnt lgkmcnt(6)
	v_pk_fma_f16 v23, v56, v13, v23 op_sel_hi:[1,0,1]
	v_pk_fma_f16 v84, v57, v13, v84 op_sel_hi:[1,0,1]
	v_pk_fma_f16 v85, v58, v13, v85 op_sel_hi:[1,0,1]
	v_pk_fma_f16 v86, v59, v13, v86 op_sel_hi:[1,0,1]
	ds_load_2addr_b64 v[8:11], v46 offset0:192 offset1:224
	ds_load_2addr_b64 v[19:22], v47 offset1:32
	ds_load_2addr_b64 v[48:51], v47 offset0:64 offset1:96
	ds_load_2addr_b64 v[52:55], v47 offset0:128 offset1:160
	;; [unrolled: 1-line block ×3, first 2 shown]
	s_waitcnt lgkmcnt(0)
	s_barrier
	buffer_gl0_inv
	v_pk_fma_f16 v87, v60, v13, v87 op_sel_hi:[1,0,1]
	v_pk_fma_f16 v90, v61, v13, v90 op_sel_hi:[1,0,1]
	;; [unrolled: 1-line block ×4, first 2 shown]
	global_load_b128 v[60:63], v[88:89], off
	v_pk_fma_f16 v23, v64, v13, v23 op_sel:[0,1,0]
	v_pk_fma_f16 v92, v65, v13, v84 op_sel:[0,1,0]
	;; [unrolled: 1-line block ×4, first 2 shown]
	global_load_b128 v[64:67], v[88:89], off offset:512
	v_pk_fma_f16 v68, v68, v13, v87 op_sel:[0,1,0]
	v_pk_fma_f16 v69, v69, v13, v90 op_sel:[0,1,0]
	;; [unrolled: 1-line block ×4, first 2 shown]
	v_pk_fma_f16 v13, v72, v14, v23 op_sel_hi:[1,0,1]
	v_pk_fma_f16 v23, v73, v14, v92 op_sel_hi:[1,0,1]
	;; [unrolled: 1-line block ×8, first 2 shown]
	v_pk_fma_f16 v13, v80, v14, v13 op_sel:[0,1,0]
	v_pk_fma_f16 v23, v81, v14, v23 op_sel:[0,1,0]
	;; [unrolled: 1-line block ×8, first 2 shown]
	v_pk_fma_f16 v12, v19, v15, v13 op_sel_hi:[1,0,1]
	v_pk_fma_f16 v13, v20, v15, v23 op_sel_hi:[1,0,1]
	;; [unrolled: 1-line block ×8, first 2 shown]
	v_pk_fma_f16 v23, v52, v15, v12 op_sel:[0,1,0]
	v_pk_fma_f16 v86, v53, v15, v13 op_sel:[0,1,0]
	;; [unrolled: 1-line block ×8, first 2 shown]
	s_waitcnt vmcnt(1)
	ds_store_b128 v39, v[60:63]
	s_waitcnt vmcnt(0)
	ds_store_b128 v40, v[64:67]
	s_waitcnt lgkmcnt(0)
	s_barrier
	buffer_gl0_inv
	ds_load_2addr_b64 v[8:11], v41 offset1:32
	ds_load_b128 v[12:15], v37 offset:80
	ds_load_2addr_b64 v[19:22], v41 offset0:64 offset1:96
	ds_load_2addr_b64 v[48:51], v41 offset0:128 offset1:160
	;; [unrolled: 1-line block ×3, first 2 shown]
	ds_load_2addr_b64 v[56:59], v45 offset1:32
	ds_load_2addr_b64 v[60:63], v45 offset0:64 offset1:96
	ds_load_2addr_b64 v[64:67], v45 offset0:128 offset1:160
	ds_load_2addr_b64 v[68:71], v45 offset0:192 offset1:224
	ds_load_2addr_b64 v[72:75], v46 offset1:32
	ds_load_2addr_b64 v[76:79], v46 offset0:64 offset1:96
	ds_load_2addr_b64 v[80:83], v46 offset0:128 offset1:160
	s_lshl_b64 s[2:3], s[2:3], 2
	v_mov_b32_e32 v93, v32
	v_add_co_u32 v84, vcc_lo, v42, s2
	v_add_co_ci_u32_e32 v85, vcc_lo, s3, v43, vcc_lo
	s_or_b32 s2, s13, 56
	s_delay_alu instid0(SALU_CYCLE_1)
	s_mul_hi_i32 s3, s2, s10
	s_waitcnt lgkmcnt(10)
	v_pk_fma_f16 v23, v8, v12, v23 op_sel_hi:[1,0,1]
	v_pk_fma_f16 v86, v9, v12, v86 op_sel_hi:[1,0,1]
	;; [unrolled: 1-line block ×4, first 2 shown]
	s_waitcnt lgkmcnt(9)
	v_pk_fma_f16 v89, v19, v12, v89 op_sel_hi:[1,0,1]
	v_pk_fma_f16 v90, v20, v12, v90 op_sel_hi:[1,0,1]
	;; [unrolled: 1-line block ×4, first 2 shown]
	s_waitcnt lgkmcnt(8)
	v_pk_fma_f16 v23, v48, v12, v23 op_sel:[0,1,0]
	v_pk_fma_f16 v86, v49, v12, v86 op_sel:[0,1,0]
	;; [unrolled: 1-line block ×4, first 2 shown]
	s_waitcnt lgkmcnt(7)
	v_pk_fma_f16 v89, v52, v12, v89 op_sel:[0,1,0]
	v_pk_fma_f16 v90, v53, v12, v90 op_sel:[0,1,0]
	;; [unrolled: 1-line block ×4, first 2 shown]
	s_waitcnt lgkmcnt(6)
	v_pk_fma_f16 v23, v56, v13, v23 op_sel_hi:[1,0,1]
	v_pk_fma_f16 v86, v57, v13, v86 op_sel_hi:[1,0,1]
	;; [unrolled: 1-line block ×4, first 2 shown]
	ds_load_2addr_b64 v[8:11], v46 offset0:192 offset1:224
	ds_load_2addr_b64 v[19:22], v47 offset1:32
	ds_load_2addr_b64 v[48:51], v47 offset0:64 offset1:96
	ds_load_2addr_b64 v[52:55], v47 offset0:128 offset1:160
	ds_load_2addr_b64 v[56:59], v47 offset0:192 offset1:224
	s_waitcnt lgkmcnt(0)
	s_barrier
	buffer_gl0_inv
	v_pk_fma_f16 v89, v60, v13, v89 op_sel_hi:[1,0,1]
	v_pk_fma_f16 v90, v61, v13, v90 op_sel_hi:[1,0,1]
	;; [unrolled: 1-line block ×4, first 2 shown]
	global_load_b128 v[60:63], v[84:85], off
	v_pk_fma_f16 v23, v64, v13, v23 op_sel:[0,1,0]
	v_pk_fma_f16 v86, v65, v13, v86 op_sel:[0,1,0]
	;; [unrolled: 1-line block ×4, first 2 shown]
	global_load_b128 v[64:67], v[84:85], off offset:512
	v_add_f32_e32 v92, v17, v18
	v_pk_fma_f16 v17, v68, v13, v89 op_sel:[0,1,0]
	v_pk_fma_f16 v18, v69, v13, v90 op_sel:[0,1,0]
	v_pk_fma_f16 v68, v70, v13, v91 op_sel:[0,1,0]
	v_pk_fma_f16 v12, v71, v13, v12 op_sel:[0,1,0]
	v_pk_fma_f16 v13, v72, v14, v23 op_sel_hi:[1,0,1]
	v_pk_fma_f16 v23, v73, v14, v86 op_sel_hi:[1,0,1]
	;; [unrolled: 1-line block ×8, first 2 shown]
	v_pk_fma_f16 v13, v80, v14, v13 op_sel:[0,1,0]
	v_pk_fma_f16 v23, v81, v14, v23 op_sel:[0,1,0]
	;; [unrolled: 1-line block ×8, first 2 shown]
	v_pk_fma_f16 v12, v19, v15, v13 op_sel_hi:[1,0,1]
	v_pk_fma_f16 v13, v20, v15, v23 op_sel_hi:[1,0,1]
	;; [unrolled: 1-line block ×8, first 2 shown]
	v_pk_fma_f16 v21, v52, v15, v12 op_sel:[0,1,0]
	v_pk_fma_f16 v22, v53, v15, v13 op_sel:[0,1,0]
	;; [unrolled: 1-line block ×8, first 2 shown]
	s_waitcnt vmcnt(1)
	ds_store_b128 v39, v[60:63]
	s_waitcnt vmcnt(0)
	ds_store_b128 v40, v[64:67]
	s_waitcnt lgkmcnt(0)
	s_barrier
	buffer_gl0_inv
	ds_load_2addr_b64 v[8:11], v41 offset1:32
	ds_load_b128 v[12:15], v37 offset:96
	ds_load_2addr_b64 v[17:20], v41 offset0:64 offset1:96
	ds_load_2addr_b64 v[48:51], v41 offset0:128 offset1:160
	ds_load_2addr_b64 v[52:55], v41 offset0:192 offset1:224
	ds_load_2addr_b64 v[56:59], v45 offset1:32
	ds_load_2addr_b64 v[60:63], v45 offset0:64 offset1:96
	ds_load_2addr_b64 v[64:67], v45 offset0:128 offset1:160
	;; [unrolled: 1-line block ×3, first 2 shown]
	ds_load_2addr_b64 v[72:75], v46 offset1:32
	ds_load_2addr_b64 v[76:79], v46 offset0:64 offset1:96
	ds_load_2addr_b64 v[80:83], v46 offset0:128 offset1:160
	s_mul_i32 s2, s2, s10
	v_mov_b32_e32 v32, v92
	s_lshl_b64 s[2:3], s[2:3], 2
	s_delay_alu instid0(SALU_CYCLE_1) | instskip(SKIP_1) | instid1(VALU_DEP_3)
	v_add_co_u32 v84, vcc_lo, v42, s2
	v_add_co_ci_u32_e32 v85, vcc_lo, s3, v43, vcc_lo
	v_fmac_f32_e32 v32, v93, v16
	s_waitcnt lgkmcnt(10)
	v_pk_fma_f16 v21, v8, v12, v21 op_sel_hi:[1,0,1]
	v_pk_fma_f16 v22, v9, v12, v22 op_sel_hi:[1,0,1]
	;; [unrolled: 1-line block ×4, first 2 shown]
	s_waitcnt lgkmcnt(9)
	v_pk_fma_f16 v87, v17, v12, v87 op_sel_hi:[1,0,1]
	v_pk_fma_f16 v88, v18, v12, v88 op_sel_hi:[1,0,1]
	;; [unrolled: 1-line block ×4, first 2 shown]
	s_waitcnt lgkmcnt(8)
	v_pk_fma_f16 v21, v48, v12, v21 op_sel:[0,1,0]
	v_pk_fma_f16 v22, v49, v12, v22 op_sel:[0,1,0]
	;; [unrolled: 1-line block ×4, first 2 shown]
	s_waitcnt lgkmcnt(7)
	v_pk_fma_f16 v87, v52, v12, v87 op_sel:[0,1,0]
	v_pk_fma_f16 v88, v53, v12, v88 op_sel:[0,1,0]
	;; [unrolled: 1-line block ×4, first 2 shown]
	ds_load_2addr_b64 v[8:11], v46 offset0:192 offset1:224
	ds_load_2addr_b64 v[17:20], v47 offset1:32
	ds_load_2addr_b64 v[48:51], v47 offset0:64 offset1:96
	ds_load_2addr_b64 v[52:55], v47 offset0:128 offset1:160
	s_waitcnt lgkmcnt(10)
	v_pk_fma_f16 v21, v56, v13, v21 op_sel_hi:[1,0,1]
	v_pk_fma_f16 v22, v57, v13, v22 op_sel_hi:[1,0,1]
	;; [unrolled: 1-line block ×4, first 2 shown]
	ds_load_2addr_b64 v[56:59], v47 offset0:192 offset1:224
	s_waitcnt lgkmcnt(0)
	s_barrier
	buffer_gl0_inv
	v_pk_fma_f16 v91, v60, v13, v87 op_sel_hi:[1,0,1]
	v_pk_fma_f16 v88, v61, v13, v88 op_sel_hi:[1,0,1]
	;; [unrolled: 1-line block ×4, first 2 shown]
	s_clause 0x1
	global_load_b128 v[60:63], v[84:85], off
	global_load_b128 v[84:87], v[84:85], off offset:512
	v_pk_fma_f16 v16, v64, v13, v21 op_sel:[0,1,0]
	v_pk_fma_f16 v21, v65, v13, v22 op_sel:[0,1,0]
	;; [unrolled: 1-line block ×8, first 2 shown]
	v_pk_fma_f16 v13, v72, v14, v16 op_sel_hi:[1,0,1]
	v_pk_fma_f16 v16, v73, v14, v21 op_sel_hi:[1,0,1]
	;; [unrolled: 1-line block ×8, first 2 shown]
	v_pk_fma_f16 v13, v80, v14, v13 op_sel:[0,1,0]
	v_pk_fma_f16 v16, v81, v14, v16 op_sel:[0,1,0]
	;; [unrolled: 1-line block ×8, first 2 shown]
	v_pk_fma_f16 v12, v17, v15, v13 op_sel_hi:[1,0,1]
	v_pk_fma_f16 v13, v18, v15, v16 op_sel_hi:[1,0,1]
	;; [unrolled: 1-line block ×8, first 2 shown]
	v_pk_fma_f16 v88, v52, v15, v12 op_sel:[0,1,0]
	v_pk_fma_f16 v89, v53, v15, v13 op_sel:[0,1,0]
	;; [unrolled: 1-line block ×8, first 2 shown]
	s_waitcnt vmcnt(1)
	ds_store_b128 v39, v[60:63]
	s_waitcnt vmcnt(0)
	ds_store_b128 v40, v[84:87]
	s_waitcnt lgkmcnt(0)
	s_barrier
	buffer_gl0_inv
	ds_load_2addr_b64 v[8:11], v41 offset1:32
	ds_load_b128 v[12:15], v37 offset:112
	ds_load_2addr_b64 v[16:19], v41 offset0:64 offset1:96
	ds_load_2addr_b64 v[20:23], v41 offset0:128 offset1:160
	;; [unrolled: 1-line block ×3, first 2 shown]
	ds_load_2addr_b64 v[52:55], v45 offset1:32
	ds_load_2addr_b64 v[56:59], v45 offset0:64 offset1:96
	ds_load_2addr_b64 v[60:63], v45 offset0:128 offset1:160
	;; [unrolled: 1-line block ×3, first 2 shown]
	ds_load_2addr_b64 v[68:71], v46 offset1:32
	ds_load_2addr_b64 v[72:75], v46 offset0:64 offset1:96
	ds_load_2addr_b64 v[76:79], v46 offset0:128 offset1:160
	;; [unrolled: 1-line block ×3, first 2 shown]
	s_waitcnt lgkmcnt(11)
	v_pk_fma_f16 v84, v8, v12, v88 op_sel_hi:[1,0,1]
	v_pk_fma_f16 v85, v9, v12, v89 op_sel_hi:[1,0,1]
	;; [unrolled: 1-line block ×4, first 2 shown]
	s_waitcnt lgkmcnt(10)
	v_pk_fma_f16 v88, v16, v12, v92 op_sel_hi:[1,0,1]
	v_pk_fma_f16 v89, v17, v12, v93 op_sel_hi:[1,0,1]
	;; [unrolled: 1-line block ×4, first 2 shown]
	s_waitcnt lgkmcnt(9)
	v_pk_fma_f16 v92, v20, v12, v84 op_sel:[0,1,0]
	v_pk_fma_f16 v93, v21, v12, v85 op_sel:[0,1,0]
	;; [unrolled: 1-line block ×4, first 2 shown]
	s_waitcnt lgkmcnt(8)
	v_pk_fma_f16 v48, v48, v12, v88 op_sel:[0,1,0]
	v_pk_fma_f16 v49, v49, v12, v89 op_sel:[0,1,0]
	;; [unrolled: 1-line block ×4, first 2 shown]
	ds_load_2addr_b64 v[8:11], v47 offset1:32
	ds_load_2addr_b64 v[16:19], v47 offset0:64 offset1:96
	s_waitcnt lgkmcnt(9)
	v_pk_fma_f16 v51, v52, v13, v92 op_sel_hi:[1,0,1]
	v_pk_fma_f16 v52, v53, v13, v93 op_sel_hi:[1,0,1]
	;; [unrolled: 1-line block ×4, first 2 shown]
	s_waitcnt lgkmcnt(8)
	v_pk_fma_f16 v48, v56, v13, v48 op_sel_hi:[1,0,1]
	v_pk_fma_f16 v49, v57, v13, v49 op_sel_hi:[1,0,1]
	;; [unrolled: 1-line block ×4, first 2 shown]
	ds_load_2addr_b64 v[20:23], v47 offset0:128 offset1:160
	ds_load_2addr_b64 v[84:87], v47 offset0:192 offset1:224
	s_waitcnt lgkmcnt(0)
	s_barrier
	buffer_gl0_inv
	s_load_b32 s2, s[4:5], 0x4
	v_pk_fma_f16 v51, v60, v13, v51 op_sel:[0,1,0]
	v_pk_fma_f16 v52, v61, v13, v52 op_sel:[0,1,0]
	;; [unrolled: 1-line block ×8, first 2 shown]
	v_pk_fma_f16 v13, v68, v14, v51 op_sel_hi:[1,0,1]
	v_pk_fma_f16 v51, v69, v14, v52 op_sel_hi:[1,0,1]
	;; [unrolled: 1-line block ×8, first 2 shown]
	v_pk_fma_f16 v13, v76, v14, v13 op_sel:[0,1,0]
	v_pk_fma_f16 v51, v77, v14, v51 op_sel:[0,1,0]
	;; [unrolled: 1-line block ×8, first 2 shown]
	v_pk_fma_f16 v8, v8, v15, v13 op_sel_hi:[1,0,1]
	v_pk_fma_f16 v9, v9, v15, v51 op_sel_hi:[1,0,1]
	;; [unrolled: 1-line block ×8, first 2 shown]
	s_waitcnt lgkmcnt(0)
	s_lshl_b32 s2, s2, 6
	v_pk_fma_f16 v52, v20, v15, v8 op_sel:[0,1,0]
	v_pk_fma_f16 v54, v21, v15, v9 op_sel:[0,1,0]
	;; [unrolled: 1-line block ×8, first 2 shown]
	s_add_i32 s13, s2, s13
	s_delay_alu instid0(SALU_CYCLE_1)
	s_cmp_lt_i32 s13, s34
	s_cbranch_scc1 .LBB9_9
; %bb.10:
	v_mov_b32_e32 v3, 32
	v_mov_b32_e32 v5, v26
.LBB9_11:
	s_delay_alu instid0(VALU_DEP_2)
	v_cmp_lt_i32_e32 vcc_lo, v31, v3
	s_cmp_eq_u64 s[24:25], 0
	s_cselect_b32 s2, -1, 0
	s_cmp_lg_u32 s14, 0
	v_cndmask_b32_e32 v2, v5, v31, vcc_lo
	v_cmp_lt_i32_e32 vcc_lo, v30, v3
	s_cselect_b32 s3, -1, 0
	s_delay_alu instid0(SALU_CYCLE_1) | instskip(NEXT) | instid1(VALU_DEP_2)
	s_or_b32 s2, s3, s2
	v_lshlrev_b32_e32 v2, 2, v2
	v_cndmask_b32_e32 v4, v5, v30, vcc_lo
	v_cmp_lt_i32_e32 vcc_lo, v29, v3
	ds_bpermute_b32 v2, v2, v32
	v_lshlrev_b32_e32 v4, 2, v4
	v_cndmask_b32_e32 v6, v5, v29, vcc_lo
	v_cmp_lt_i32_e32 vcc_lo, v28, v3
	s_delay_alu instid0(VALU_DEP_2)
	v_lshlrev_b32_e32 v6, 2, v6
	s_waitcnt lgkmcnt(0)
	v_add_f32_e32 v2, v32, v2
	ds_bpermute_b32 v4, v4, v2
	s_waitcnt lgkmcnt(0)
	v_add_f32_e32 v2, v2, v4
	ds_bpermute_b32 v4, v6, v2
	v_cndmask_b32_e32 v6, v5, v28, vcc_lo
	v_cmp_lt_i32_e32 vcc_lo, v27, v3
	s_delay_alu instid0(VALU_DEP_2) | instskip(SKIP_2) | instid1(VALU_DEP_1)
	v_dual_cndmask_b32 v3, v5, v27 :: v_dual_lshlrev_b32 v6, 2, v6
	s_and_b32 vcc_lo, exec_lo, s2
	s_waitcnt lgkmcnt(0)
	v_dual_add_f32 v2, v2, v4 :: v_dual_lshlrev_b32 v3, 2, v3
	ds_bpermute_b32 v4, v6, v2
	s_waitcnt lgkmcnt(0)
	v_add_f32_e32 v4, v2, v4
	v_add_nc_u32_e32 v2, s15, v25
	ds_bpermute_b32 v3, v3, v4
	s_waitcnt lgkmcnt(0)
	v_add_f32_e32 v8, v4, v3
	s_cbranch_vccnz .LBB9_13
; %bb.12:
	v_ashrrev_i32_e32 v3, 31, v2
	s_delay_alu instid0(VALU_DEP_1) | instskip(NEXT) | instid1(VALU_DEP_1)
	v_lshlrev_b64 v[3:4], 2, v[2:3]
	v_add_co_u32 v3, vcc_lo, s24, v3
	s_delay_alu instid0(VALU_DEP_2) | instskip(SKIP_4) | instid1(VALU_DEP_1)
	v_add_co_ci_u32_e32 v4, vcc_lo, s25, v4, vcc_lo
	global_load_b32 v3, v[3:4], off
	v_max_f32_e32 v4, v7, v7
	s_waitcnt vmcnt(0)
	v_max_f32_e32 v5, v3, v3
	v_max_f32_e32 v4, v4, v5
	s_delay_alu instid0(VALU_DEP_1) | instskip(NEXT) | instid1(VALU_DEP_1)
	v_sub_f32_e32 v5, v7, v4
	v_dual_sub_f32 v3, v3, v4 :: v_dual_mul_f32 v6, 0x3fb8aa3b, v5
	s_delay_alu instid0(VALU_DEP_1) | instskip(NEXT) | instid1(VALU_DEP_2)
	v_mul_f32_e32 v7, 0x3fb8aa3b, v3
	v_fma_f32 v9, 0x3fb8aa3b, v5, -v6
	v_rndne_f32_e32 v10, v6
	s_delay_alu instid0(VALU_DEP_3) | instskip(SKIP_1) | instid1(VALU_DEP_3)
	v_fma_f32 v11, 0x3fb8aa3b, v3, -v7
	v_rndne_f32_e32 v12, v7
	v_dual_fmac_f32 v9, 0x32a5705f, v5 :: v_dual_sub_f32 v6, v6, v10
	s_delay_alu instid0(VALU_DEP_1) | instskip(SKIP_3) | instid1(VALU_DEP_4)
	v_dual_sub_f32 v7, v7, v12 :: v_dual_add_f32 v6, v6, v9
	v_cvt_i32_f32_e32 v9, v10
	v_cmp_ngt_f32_e32 vcc_lo, 0xc2ce8ed0, v5
	v_cvt_i32_f32_e32 v10, v12
	v_exp_f32_e32 v6, v6
	s_waitcnt_depctr 0xfff
	v_ldexp_f32 v6, v6, v9
	s_delay_alu instid0(VALU_DEP_1) | instskip(NEXT) | instid1(VALU_DEP_1)
	v_dual_fmac_f32 v11, 0x32a5705f, v3 :: v_dual_cndmask_b32 v6, 0, v6
	v_add_f32_e32 v7, v7, v11
	v_cmp_ngt_f32_e32 vcc_lo, 0xc2ce8ed0, v3
	s_delay_alu instid0(VALU_DEP_2) | instskip(SKIP_2) | instid1(VALU_DEP_1)
	v_exp_f32_e32 v7, v7
	s_waitcnt_depctr 0xfff
	v_ldexp_f32 v7, v7, v10
	v_cndmask_b32_e32 v7, 0, v7, vcc_lo
	v_cmp_nlt_f32_e32 vcc_lo, 0x42b17218, v5
	v_cndmask_b32_e32 v5, 0x7f800000, v6, vcc_lo
	v_cmp_nlt_f32_e32 vcc_lo, 0x42b17218, v3
	s_delay_alu instid0(VALU_DEP_2) | instskip(SKIP_2) | instid1(VALU_DEP_3)
	v_cvt_f16_f32_e32 v6, v5
	v_cndmask_b32_e32 v3, 0x7f800000, v7, vcc_lo
	v_mov_b32_e32 v7, v4
	v_pk_mul_f16 v52, v6, v52 op_sel_hi:[0,1]
	s_delay_alu instid0(VALU_DEP_3)
	v_fmac_f32_e32 v3, v8, v5
	v_pk_mul_f16 v54, v6, v54 op_sel_hi:[0,1]
	v_pk_mul_f16 v53, v6, v53 op_sel_hi:[0,1]
	v_pk_mul_f16 v55, v6, v55 op_sel_hi:[0,1]
	v_pk_mul_f16 v50, v6, v50 op_sel_hi:[0,1]
	v_mov_b32_e32 v8, v3
	v_pk_mul_f16 v51, v6, v51 op_sel_hi:[0,1]
	v_pk_mul_f16 v49, v6, v49 op_sel_hi:[0,1]
	;; [unrolled: 1-line block ×3, first 2 shown]
.LBB9_13:
	s_delay_alu instid0(VALU_DEP_1) | instskip(SKIP_2) | instid1(VALU_DEP_2)
	v_div_scale_f32 v6, null, v8, v8, 1.0
	s_load_b32 s0, s[0:1], 0xd4
	v_mad_u64_u32 v[3:4], null, s12, s6, v[1:2]
	v_rcp_f32_e32 v9, v6
	v_div_scale_f32 v10, vcc_lo, 1.0, v8, 1.0
	v_lshrrev_b32_e32 v13, 16, v52
	v_cvt_f32_f16_e32 v12, v54
	v_cvt_f32_f16_e32 v14, v52
	v_mad_u64_u32 v[4:5], null, v3, s7, v[2:3]
	v_lshrrev_b32_e32 v3, 16, v55
	v_lshrrev_b32_e32 v16, 16, v53
	s_delay_alu instid0(TRANS32_DEP_1)
	v_fma_f32 v1, -v6, v9, 1.0
	v_lshrrev_b32_e32 v20, 16, v51
	v_cvt_f32_f16_e32 v13, v13
	v_cvt_f32_f16_e32 v26, v3
	;; [unrolled: 1-line block ×3, first 2 shown]
	v_dual_fmac_f32 v9, v1, v9 :: v_dual_mov_b32 v18, 0
	s_waitcnt lgkmcnt(0)
	v_mad_u64_u32 v[1:2], null, s0, v4, s[14:15]
	s_cmp_lg_u32 s0, 1
	s_delay_alu instid0(VALU_DEP_2)
	v_mul_f32_e32 v5, v10, v9
	s_cselect_b32 s1, -1, 0
	v_cvt_f32_f16_e32 v16, v16
	v_cvt_f32_f16_e32 v20, v20
	v_lshrrev_b32_e32 v25, 16, v50
	v_fma_f32 v2, -v6, v5, v10
	v_lshl_add_u32 v17, v1, 9, v24
	v_mov_b32_e32 v3, v18
	v_lshrrev_b32_e32 v11, 16, v54
	v_cvt_f32_f16_e32 v25, v25
	v_fmac_f32_e32 v5, v2, v9
	v_add_nc_u32_e32 v2, 0x80, v17
	v_lshrrev_b32_e32 v27, 16, v48
	v_lshrrev_b32_e32 v28, 16, v49
	v_cvt_f32_f16_e32 v15, v55
	v_fma_f32 v4, -v6, v5, v10
	v_lshlrev_b64 v[2:3], 2, v[2:3]
	v_cvt_f32_f16_e32 v11, v11
	v_cvt_f32_f16_e32 v30, v28
	v_cvt_f32_f16_e32 v29, v48
	v_div_fmas_f32 v6, v4, v9, v5
	v_lshlrev_b64 v[4:5], 2, v[17:18]
	v_cvt_f32_f16_e32 v31, v49
	s_delay_alu instid0(VALU_DEP_3) | instskip(NEXT) | instid1(VALU_DEP_3)
	v_div_fixup_f32 v6, v6, v8, 1.0
	v_add_co_u32 v21, vcc_lo, s28, v4
	s_delay_alu instid0(VALU_DEP_4) | instskip(NEXT) | instid1(VALU_DEP_3)
	v_add_co_ci_u32_e32 v22, vcc_lo, s29, v5, vcc_lo
	v_cndmask_b32_e64 v6, v6, 1.0, s1
	v_add_co_u32 v23, vcc_lo, s28, v2
	v_add_co_ci_u32_e32 v24, vcc_lo, s29, v3, vcc_lo
	s_delay_alu instid0(VALU_DEP_3)
	v_mul_f32_e32 v4, v6, v12
	v_mul_f32_e32 v3, v6, v13
	v_dual_mul_f32 v2, v6, v14 :: v_dual_add_nc_u32 v13, 0x100, v17
	v_dual_mov_b32 v14, v18 :: v_dual_add_nc_u32 v17, 0x180, v17
	v_mul_f32_e32 v10, v6, v16
	v_mul_f32_e32 v9, v6, v19
	;; [unrolled: 1-line block ×4, first 2 shown]
	v_lshlrev_b64 v[19:20], 2, v[13:14]
	v_cvt_f32_f16_e32 v26, v50
	v_mul_f32_e32 v14, v6, v25
	v_mul_f32_e32 v5, v6, v11
	v_mul_f32_e32 v11, v6, v15
	v_cvt_f32_f16_e32 v15, v51
	v_add_co_u32 v25, vcc_lo, s28, v19
	v_cvt_f32_f16_e32 v19, v27
	v_lshlrev_b64 v[27:28], 2, v[17:18]
	v_mul_f32_e32 v13, v6, v26
	v_add_co_ci_u32_e32 v26, vcc_lo, s29, v20, vcc_lo
	v_cmp_eq_u32_e32 vcc_lo, 0, v0
	v_mul_f32_e32 v15, v6, v15
	v_add_co_u32 v27, s0, s28, v27
	v_mul_f32_e32 v20, v6, v19
	v_mul_f32_e32 v19, v6, v29
	;; [unrolled: 1-line block ×4, first 2 shown]
	v_add_co_ci_u32_e64 v28, s0, s29, v28, s0
	s_and_b32 s0, vcc_lo, s1
	s_clause 0x3
	global_store_b128 v[21:22], v[2:5], off
	global_store_b128 v[23:24], v[9:12], off
	;; [unrolled: 1-line block ×4, first 2 shown]
	s_and_saveexec_b32 s1, s0
	s_cbranch_execz .LBB9_15
; %bb.14:
	v_ashrrev_i32_e32 v2, 31, v1
	s_delay_alu instid0(VALU_DEP_1) | instskip(NEXT) | instid1(VALU_DEP_1)
	v_lshlrev_b64 v[0:1], 3, v[1:2]
	v_add_co_u32 v0, vcc_lo, s30, v0
	s_delay_alu instid0(VALU_DEP_2)
	v_add_co_ci_u32_e32 v1, vcc_lo, s31, v1, vcc_lo
	global_store_b64 v[0:1], v[7:8], off
.LBB9_15:
	s_nop 0
	s_sendmsg sendmsg(MSG_DEALLOC_VGPRS)
	s_endpgm
	.section	.rodata,"a",@progbits
	.p2align	6, 0x0
	.amdhsa_kernel _ZL15flash_attn_tileILi512ELi512ELi1ELi8ELb0EEvPKcS1_S1_S1_S1_PKiPfP15HIP_vector_typeIfLj2EEffffjfiS5_IjLj3EEiiiiiiiiiiiliiliiiiil
		.amdhsa_group_segment_fixed_size 18432
		.amdhsa_private_segment_fixed_size 0
		.amdhsa_kernarg_size 464
		.amdhsa_user_sgpr_count 13
		.amdhsa_user_sgpr_dispatch_ptr 0
		.amdhsa_user_sgpr_queue_ptr 0
		.amdhsa_user_sgpr_kernarg_segment_ptr 1
		.amdhsa_user_sgpr_dispatch_id 0
		.amdhsa_user_sgpr_private_segment_size 0
		.amdhsa_wavefront_size32 1
		.amdhsa_uses_dynamic_stack 0
		.amdhsa_enable_private_segment 0
		.amdhsa_system_sgpr_workgroup_id_x 1
		.amdhsa_system_sgpr_workgroup_id_y 1
		.amdhsa_system_sgpr_workgroup_id_z 1
		.amdhsa_system_sgpr_workgroup_info 0
		.amdhsa_system_vgpr_workitem_id 1
		.amdhsa_next_free_vgpr 96
		.amdhsa_next_free_sgpr 40
		.amdhsa_reserve_vcc 1
		.amdhsa_float_round_mode_32 0
		.amdhsa_float_round_mode_16_64 0
		.amdhsa_float_denorm_mode_32 3
		.amdhsa_float_denorm_mode_16_64 3
		.amdhsa_dx10_clamp 1
		.amdhsa_ieee_mode 1
		.amdhsa_fp16_overflow 0
		.amdhsa_workgroup_processor_mode 1
		.amdhsa_memory_ordered 1
		.amdhsa_forward_progress 0
		.amdhsa_shared_vgpr_count 0
		.amdhsa_exception_fp_ieee_invalid_op 0
		.amdhsa_exception_fp_denorm_src 0
		.amdhsa_exception_fp_ieee_div_zero 0
		.amdhsa_exception_fp_ieee_overflow 0
		.amdhsa_exception_fp_ieee_underflow 0
		.amdhsa_exception_fp_ieee_inexact 0
		.amdhsa_exception_int_div_zero 0
	.end_amdhsa_kernel
	.section	.text._ZL15flash_attn_tileILi512ELi512ELi1ELi8ELb0EEvPKcS1_S1_S1_S1_PKiPfP15HIP_vector_typeIfLj2EEffffjfiS5_IjLj3EEiiiiiiiiiiiliiliiiiil,"axG",@progbits,_ZL15flash_attn_tileILi512ELi512ELi1ELi8ELb0EEvPKcS1_S1_S1_S1_PKiPfP15HIP_vector_typeIfLj2EEffffjfiS5_IjLj3EEiiiiiiiiiiiliiliiiiil,comdat
.Lfunc_end9:
	.size	_ZL15flash_attn_tileILi512ELi512ELi1ELi8ELb0EEvPKcS1_S1_S1_S1_PKiPfP15HIP_vector_typeIfLj2EEffffjfiS5_IjLj3EEiiiiiiiiiiiliiliiiiil, .Lfunc_end9-_ZL15flash_attn_tileILi512ELi512ELi1ELi8ELb0EEvPKcS1_S1_S1_S1_PKiPfP15HIP_vector_typeIfLj2EEffffjfiS5_IjLj3EEiiiiiiiiiiiliiliiiiil
                                        ; -- End function
	.section	.AMDGPU.csdata,"",@progbits
; Kernel info:
; codeLenInByte = 22824
; NumSgprs: 42
; NumVgprs: 96
; ScratchSize: 0
; MemoryBound: 0
; FloatMode: 240
; IeeeMode: 1
; LDSByteSize: 18432 bytes/workgroup (compile time only)
; SGPRBlocks: 5
; VGPRBlocks: 11
; NumSGPRsForWavesPerEU: 42
; NumVGPRsForWavesPerEU: 96
; Occupancy: 14
; WaveLimiterHint : 1
; COMPUTE_PGM_RSRC2:SCRATCH_EN: 0
; COMPUTE_PGM_RSRC2:USER_SGPR: 13
; COMPUTE_PGM_RSRC2:TRAP_HANDLER: 0
; COMPUTE_PGM_RSRC2:TGID_X_EN: 1
; COMPUTE_PGM_RSRC2:TGID_Y_EN: 1
; COMPUTE_PGM_RSRC2:TGID_Z_EN: 1
; COMPUTE_PGM_RSRC2:TIDIG_COMP_CNT: 1
	.section	.text._ZL25flash_attn_mask_to_KV_maxILi1EEvPK7__half2Piiii,"axG",@progbits,_ZL25flash_attn_mask_to_KV_maxILi1EEvPK7__half2Piiii,comdat
	.globl	_ZL25flash_attn_mask_to_KV_maxILi1EEvPK7__half2Piiii ; -- Begin function _ZL25flash_attn_mask_to_KV_maxILi1EEvPK7__half2Piiii
	.p2align	8
	.type	_ZL25flash_attn_mask_to_KV_maxILi1EEvPK7__half2Piiii,@function
_ZL25flash_attn_mask_to_KV_maxILi1EEvPK7__half2Piiii: ; @_ZL25flash_attn_mask_to_KV_maxILi1EEvPK7__half2Piiii
; %bb.0:
	s_load_b128 s[4:7], s[0:1], 0x0
	s_mov_b32 s2, exec_lo
	v_cmpx_gt_u32_e32 32, v0
	s_cbranch_execz .LBB10_2
; %bb.1:
	v_dual_mov_b32 v2, 1 :: v_dual_lshlrev_b32 v1, 2, v0
	ds_store_b32 v1, v2
.LBB10_2:
	s_or_b32 exec_lo, exec_lo, s2
	s_clause 0x1
	s_load_b128 s[8:11], s[0:1], 0x10
	s_load_b32 s1, s[0:1], 0x20
	v_dual_mov_b32 v2, 0 :: v_dual_and_b32 v1, 31, v0
	v_lshrrev_b32_e32 v3, 3, v0
	s_waitcnt lgkmcnt(0)
	s_barrier
	s_delay_alu instid0(VALU_DEP_2) | instskip(SKIP_3) | instid1(SALU_CYCLE_1)
	v_lshlrev_b32_e32 v4, 2, v1
	buffer_gl0_inv
	s_mul_i32 s0, s15, s10
	s_mul_i32 s2, s14, s9
	s_add_i32 s2, s0, s2
	v_cmp_eq_u32_e64 s0, 0, v1
	s_ashr_i32 s3, s2, 31
	s_delay_alu instid0(SALU_CYCLE_1) | instskip(NEXT) | instid1(SALU_CYCLE_1)
	s_lshl_b64 s[10:11], s[2:3], 2
	s_add_u32 s3, s4, s10
	s_addc_u32 s4, s5, s11
	s_lshl_b32 s5, s8, 8
	s_branch .LBB10_4
	.p2align	6
.LBB10_3:                               ;   in Loop: Header=BB10_4 Depth=1
	s_or_b32 exec_lo, exec_lo, s9
	s_waitcnt lgkmcnt(0)
	s_barrier
	buffer_gl0_inv
	ds_load_b32 v1, v4
	s_waitcnt lgkmcnt(0)
	s_barrier
	buffer_gl0_inv
	;;#ASMSTART
	;;#ASMEND
	v_cmp_ne_u32_e32 vcc_lo, 0, v1
	s_cmp_lg_u32 vcc_lo, exec_lo
	s_cselect_b32 s8, -1, 0
	s_delay_alu instid0(SALU_CYCLE_1)
	s_and_b32 vcc_lo, exec_lo, s8
	s_cbranch_vccnz .LBB10_8
.LBB10_4:                               ; =>This Inner Loop Header: Depth=1
	s_mov_b32 s2, s5
	s_addk_i32 s5, 0xff00
	s_delay_alu instid0(SALU_CYCLE_1)
	s_cmp_lt_i32 s5, 0
	s_cbranch_scc1 .LBB10_7
; %bb.5:                                ;   in Loop: Header=BB10_4 Depth=1
	s_lshr_b32 s9, s5, 1
	s_mov_b32 s8, exec_lo
	v_add_nc_u32_e32 v1, s9, v0
	s_delay_alu instid0(VALU_DEP_1) | instskip(NEXT) | instid1(VALU_DEP_1)
	v_lshlrev_b64 v[5:6], 2, v[1:2]
	v_add_co_u32 v5, vcc_lo, s3, v5
	s_delay_alu instid0(VALU_DEP_2) | instskip(SKIP_4) | instid1(VALU_DEP_2)
	v_add_co_ci_u32_e32 v6, vcc_lo, s4, v6, vcc_lo
	global_load_b32 v1, v[5:6], off
	s_waitcnt vmcnt(0)
	v_lshrrev_b32_e32 v5, 16, v1
	v_cmp_class_f16_e64 s9, v1, 0x204
	v_and_b32_e32 v5, 0x7fff, v5
	s_delay_alu instid0(VALU_DEP_1) | instskip(NEXT) | instid1(VALU_DEP_3)
	v_cmp_eq_f16_e32 vcc_lo, 0x7c00, v5
	s_and_b32 s9, s9, vcc_lo
	s_delay_alu instid0(SALU_CYCLE_1) | instskip(SKIP_1) | instid1(VALU_DEP_1)
	v_cndmask_b32_e64 v1, 0, 1, s9
	;;#ASMSTART
	;;#ASMEND
	v_cmp_ne_u32_e32 vcc_lo, 0, v1
	s_and_saveexec_b32 s9, s0
	s_cbranch_execz .LBB10_3
; %bb.6:                                ;   in Loop: Header=BB10_4 Depth=1
	s_cmp_eq_u32 vcc_lo, s8
	s_cselect_b32 s8, -1, 0
	s_delay_alu instid0(SALU_CYCLE_1)
	v_cndmask_b32_e64 v1, 0, 1, s8
	ds_store_b32 v3, v1
	s_branch .LBB10_3
.LBB10_7:                               ;   in Loop: Header=BB10_4 Depth=1
                                        ; implicit-def: $sgpr5
	s_cbranch_execz .LBB10_4
.LBB10_8:
	s_mov_b32 s0, exec_lo
	v_cmpx_eq_u32_e32 0, v0
	s_cbranch_execz .LBB10_10
; %bb.9:
	s_mul_i32 s0, s1, s15
	v_dual_mov_b32 v0, 0 :: v_dual_mov_b32 v1, s2
	s_add_i32 s0, s0, s14
	s_delay_alu instid0(SALU_CYCLE_1) | instskip(NEXT) | instid1(SALU_CYCLE_1)
	s_ashr_i32 s1, s0, 31
	s_lshl_b64 s[0:1], s[0:1], 2
	s_delay_alu instid0(SALU_CYCLE_1)
	s_add_u32 s0, s6, s0
	s_addc_u32 s1, s7, s1
	global_store_b32 v0, v1, s[0:1]
.LBB10_10:
	s_nop 0
	s_sendmsg sendmsg(MSG_DEALLOC_VGPRS)
	s_endpgm
	.section	.rodata,"a",@progbits
	.p2align	6, 0x0
	.amdhsa_kernel _ZL25flash_attn_mask_to_KV_maxILi1EEvPK7__half2Piiii
		.amdhsa_group_segment_fixed_size 128
		.amdhsa_private_segment_fixed_size 0
		.amdhsa_kernarg_size 288
		.amdhsa_user_sgpr_count 14
		.amdhsa_user_sgpr_dispatch_ptr 0
		.amdhsa_user_sgpr_queue_ptr 0
		.amdhsa_user_sgpr_kernarg_segment_ptr 1
		.amdhsa_user_sgpr_dispatch_id 0
		.amdhsa_user_sgpr_private_segment_size 0
		.amdhsa_wavefront_size32 1
		.amdhsa_uses_dynamic_stack 0
		.amdhsa_enable_private_segment 0
		.amdhsa_system_sgpr_workgroup_id_x 1
		.amdhsa_system_sgpr_workgroup_id_y 1
		.amdhsa_system_sgpr_workgroup_id_z 0
		.amdhsa_system_sgpr_workgroup_info 0
		.amdhsa_system_vgpr_workitem_id 0
		.amdhsa_next_free_vgpr 7
		.amdhsa_next_free_sgpr 16
		.amdhsa_reserve_vcc 1
		.amdhsa_float_round_mode_32 0
		.amdhsa_float_round_mode_16_64 0
		.amdhsa_float_denorm_mode_32 3
		.amdhsa_float_denorm_mode_16_64 3
		.amdhsa_dx10_clamp 1
		.amdhsa_ieee_mode 1
		.amdhsa_fp16_overflow 0
		.amdhsa_workgroup_processor_mode 1
		.amdhsa_memory_ordered 1
		.amdhsa_forward_progress 0
		.amdhsa_shared_vgpr_count 0
		.amdhsa_exception_fp_ieee_invalid_op 0
		.amdhsa_exception_fp_denorm_src 0
		.amdhsa_exception_fp_ieee_div_zero 0
		.amdhsa_exception_fp_ieee_overflow 0
		.amdhsa_exception_fp_ieee_underflow 0
		.amdhsa_exception_fp_ieee_inexact 0
		.amdhsa_exception_int_div_zero 0
	.end_amdhsa_kernel
	.section	.text._ZL25flash_attn_mask_to_KV_maxILi1EEvPK7__half2Piiii,"axG",@progbits,_ZL25flash_attn_mask_to_KV_maxILi1EEvPK7__half2Piiii,comdat
.Lfunc_end10:
	.size	_ZL25flash_attn_mask_to_KV_maxILi1EEvPK7__half2Piiii, .Lfunc_end10-_ZL25flash_attn_mask_to_KV_maxILi1EEvPK7__half2Piiii
                                        ; -- End function
	.section	.AMDGPU.csdata,"",@progbits
; Kernel info:
; codeLenInByte = 456
; NumSgprs: 18
; NumVgprs: 7
; ScratchSize: 0
; MemoryBound: 0
; FloatMode: 240
; IeeeMode: 1
; LDSByteSize: 128 bytes/workgroup (compile time only)
; SGPRBlocks: 2
; VGPRBlocks: 0
; NumSGPRsForWavesPerEU: 18
; NumVGPRsForWavesPerEU: 7
; Occupancy: 16
; WaveLimiterHint : 0
; COMPUTE_PGM_RSRC2:SCRATCH_EN: 0
; COMPUTE_PGM_RSRC2:USER_SGPR: 14
; COMPUTE_PGM_RSRC2:TRAP_HANDLER: 0
; COMPUTE_PGM_RSRC2:TGID_X_EN: 1
; COMPUTE_PGM_RSRC2:TGID_Y_EN: 1
; COMPUTE_PGM_RSRC2:TGID_Z_EN: 0
; COMPUTE_PGM_RSRC2:TIDIG_COMP_CNT: 0
	.section	.text._ZL33flash_attn_stream_k_fixup_uniformILi512ELi1ELi8EEvPfPK15HIP_vector_typeIfLj2EEiiiiiiS1_IjLj3EES5_S5_,"axG",@progbits,_ZL33flash_attn_stream_k_fixup_uniformILi512ELi1ELi8EEvPfPK15HIP_vector_typeIfLj2EEiiiiiiS1_IjLj3EES5_S5_,comdat
	.globl	_ZL33flash_attn_stream_k_fixup_uniformILi512ELi1ELi8EEvPfPK15HIP_vector_typeIfLj2EEiiiiiiS1_IjLj3EES5_S5_ ; -- Begin function _ZL33flash_attn_stream_k_fixup_uniformILi512ELi1ELi8EEvPfPK15HIP_vector_typeIfLj2EEiiiiiiS1_IjLj3EES5_S5_
	.p2align	8
	.type	_ZL33flash_attn_stream_k_fixup_uniformILi512ELi1ELi8EEvPfPK15HIP_vector_typeIfLj2EEiiiiiiS1_IjLj3EES5_S5_,@function
_ZL33flash_attn_stream_k_fixup_uniformILi512ELi1ELi8EEvPfPK15HIP_vector_typeIfLj2EEiiiiiiS1_IjLj3EES5_S5_: ; @_ZL33flash_attn_stream_k_fixup_uniformILi512ELi1ELi8EEvPfPK15HIP_vector_typeIfLj2EEiiiiiiS1_IjLj3EES5_S5_
; %bb.0:
	s_clause 0x1
	s_load_b256 s[4:11], s[0:1], 0x1c
	s_load_b128 s[16:19], s[0:1], 0x3c
	s_waitcnt lgkmcnt(0)
	s_mul_hi_u32 s2, s7, s13
	s_delay_alu instid0(SALU_CYCLE_1) | instskip(NEXT) | instid1(SALU_CYCLE_1)
	s_add_i32 s2, s13, s2
	s_lshr_b32 s7, s2, s8
	s_delay_alu instid0(SALU_CYCLE_1) | instskip(SKIP_2) | instid1(SALU_CYCLE_1)
	s_mul_i32 s2, s7, s9
	s_load_b64 s[8:9], s[0:1], 0x10
	s_sub_i32 s2, s13, s2
	s_mul_hi_u32 s3, s2, s10
	s_delay_alu instid0(SALU_CYCLE_1) | instskip(NEXT) | instid1(SALU_CYCLE_1)
	s_add_i32 s3, s2, s3
	s_lshr_b32 s10, s3, s11
	s_delay_alu instid0(SALU_CYCLE_1) | instskip(NEXT) | instid1(SALU_CYCLE_1)
	s_mul_i32 s3, s10, s16
	s_sub_i32 s2, s2, s3
	s_delay_alu instid0(SALU_CYCLE_1) | instskip(NEXT) | instid1(SALU_CYCLE_1)
	s_mul_hi_u32 s3, s2, s17
	s_add_i32 s3, s2, s3
	s_delay_alu instid0(SALU_CYCLE_1) | instskip(NEXT) | instid1(SALU_CYCLE_1)
	s_lshr_b32 s3, s3, s18
	s_mul_i32 s11, s3, s19
	s_lshl_b32 s12, s3, 3
	s_sub_i32 s11, s2, s11
	s_delay_alu instid0(SALU_CYCLE_1) | instskip(SKIP_4) | instid1(SALU_CYCLE_1)
	s_add_i32 s11, s11, s14
	s_waitcnt lgkmcnt(0)
	s_cmp_lt_i32 s11, s8
	s_cselect_b32 s2, -1, 0
	s_add_i32 s12, s12, s15
	s_cmp_lt_i32 s12, s5
	s_cselect_b32 s3, -1, 0
	s_delay_alu instid0(SALU_CYCLE_1) | instskip(NEXT) | instid1(SALU_CYCLE_1)
	s_and_b32 s2, s2, s3
	s_and_not1_b32 vcc_lo, exec_lo, s2
	s_cbranch_vccnz .LBB11_6
; %bb.1:
	s_mul_i32 s7, s7, s8
	s_mul_i32 s10, s10, s5
	s_add_i32 s5, s11, s7
	s_load_b128 s[0:3], s[0:1], 0x0
	s_add_i32 s7, s12, s10
	s_mul_i32 s5, s5, s9
	s_delay_alu instid0(SALU_CYCLE_1) | instskip(SKIP_3) | instid1(VALU_DEP_1)
	s_add_i32 s7, s7, s5
	s_mul_i32 s5, s13, s6
	v_lshl_or_b32 v1, s7, 9, v0
	s_add_i32 s9, s5, s6
	v_ashrrev_i32_e32 v2, 31, v1
	s_delay_alu instid0(VALU_DEP_1) | instskip(SKIP_1) | instid1(VALU_DEP_1)
	v_lshlrev_b64 v[1:2], 2, v[1:2]
	s_waitcnt lgkmcnt(0)
	v_add_co_u32 v1, vcc_lo, s0, v1
	s_delay_alu instid0(VALU_DEP_2) | instskip(SKIP_1) | instid1(SALU_CYCLE_1)
	v_add_co_ci_u32_e32 v2, vcc_lo, s1, v2, vcc_lo
	s_add_i32 s0, s14, s9
	s_lshl_b32 s0, s0, 3
	global_load_b32 v5, v[1:2], off
	s_add_i32 s0, s0, s15
	s_delay_alu instid0(SALU_CYCLE_1) | instskip(NEXT) | instid1(SALU_CYCLE_1)
	s_add_i32 s0, s0, -8
	s_ashr_i32 s1, s0, 31
	s_delay_alu instid0(SALU_CYCLE_1) | instskip(NEXT) | instid1(SALU_CYCLE_1)
	s_lshl_b64 s[0:1], s[0:1], 3
	s_add_u32 s0, s2, s0
	s_addc_u32 s1, s3, s1
	s_add_i32 s7, s9, -2
	s_load_b32 s10, s[0:1], 0x4
	s_cmp_lt_i32 s7, s5
	s_cbranch_scc1 .LBB11_4
; %bb.2:
	s_lshl_b32 s16, s4, 5
	s_load_b32 s11, s[0:1], 0x0
	s_ashr_i32 s17, s16, 31
	s_delay_alu instid0(SALU_CYCLE_1) | instskip(NEXT) | instid1(SALU_CYCLE_1)
	s_lshl_b64 s[0:1], s[16:17], 2
	s_add_u32 s7, s2, s0
	s_addc_u32 s8, s3, s1
	s_add_i32 s13, s13, 1
	s_lshl_b32 s0, s15, 9
	s_lshl_b32 s1, s14, 12
	s_mul_i32 s6, s6, s13
	s_add_i32 s0, s0, s1
	s_lshl_b32 s1, s6, 12
	s_delay_alu instid0(SALU_CYCLE_1)
	s_add_i32 s0, s0, s1
	s_add_i32 s1, s14, s4
	v_or_b32_e32 v0, s0, v0
	s_add_i32 s1, s1, s9
	s_waitcnt lgkmcnt(0)
	v_mov_b32_e32 v6, s10
	s_lshl_b32 s0, s1, 3
	s_add_i32 s4, s9, -1
	v_dual_mov_b32 v0, s11 :: v_dual_add_nc_u32 v3, 0xffffe000, v0
	s_add_i32 s0, s15, s0
	s_delay_alu instid0(SALU_CYCLE_1)
	s_add_i32 s0, s0, -16
.LBB11_3:                               ; =>This Inner Loop Header: Depth=1
	s_delay_alu instid0(VALU_DEP_1) | instskip(SKIP_1) | instid1(SALU_CYCLE_1)
	v_ashrrev_i32_e32 v4, 31, v3
	s_ashr_i32 s1, s0, 31
	s_lshl_b64 s[10:11], s[0:1], 3
	s_delay_alu instid0(SALU_CYCLE_1) | instskip(NEXT) | instid1(VALU_DEP_1)
	s_add_u32 s10, s2, s10
	v_lshlrev_b64 v[7:8], 2, v[3:4]
	s_addc_u32 s11, s3, s11
	s_add_i32 s4, s4, -1
	s_add_i32 s0, s0, -8
	s_cmp_le_i32 s4, s5
	s_load_b64 s[10:11], s[10:11], 0x0
	v_add_co_u32 v7, vcc_lo, s7, v7
	v_add_co_ci_u32_e32 v8, vcc_lo, s8, v8, vcc_lo
	global_load_b32 v4, v[7:8], off
	v_max_f32_e32 v7, v0, v0
	s_waitcnt lgkmcnt(0)
	v_max_f32_e64 v8, s10, s10
	s_delay_alu instid0(VALU_DEP_1) | instskip(NEXT) | instid1(VALU_DEP_1)
	v_max_f32_e32 v7, v7, v8
	v_sub_f32_e32 v8, s10, v7
	s_delay_alu instid0(VALU_DEP_1) | instskip(NEXT) | instid1(VALU_DEP_1)
	v_dual_sub_f32 v0, v0, v7 :: v_dual_mul_f32 v9, 0x3fb8aa3b, v8
	v_fma_f32 v10, 0x3fb8aa3b, v8, -v9
	v_rndne_f32_e32 v11, v9
	s_delay_alu instid0(VALU_DEP_3) | instskip(NEXT) | instid1(VALU_DEP_2)
	v_mul_f32_e32 v12, 0x3fb8aa3b, v0
	v_dual_fmac_f32 v10, 0x32a5705f, v8 :: v_dual_sub_f32 v9, v9, v11
	v_cvt_i32_f32_e32 v11, v11
	s_delay_alu instid0(VALU_DEP_3) | instskip(SKIP_1) | instid1(VALU_DEP_4)
	v_fma_f32 v13, 0x3fb8aa3b, v0, -v12
	v_rndne_f32_e32 v14, v12
	v_add_f32_e32 v9, v9, v10
	v_cmp_ngt_f32_e32 vcc_lo, 0xc2ce8ed0, v8
	s_delay_alu instid0(VALU_DEP_3) | instskip(NEXT) | instid1(VALU_DEP_3)
	v_sub_f32_e32 v10, v12, v14
	v_exp_f32_e32 v9, v9
	s_waitcnt_depctr 0xfff
	v_ldexp_f32 v9, v9, v11
	v_cvt_i32_f32_e32 v11, v14
	s_delay_alu instid0(VALU_DEP_2) | instskip(SKIP_1) | instid1(VALU_DEP_2)
	v_cndmask_b32_e32 v9, 0, v9, vcc_lo
	v_cmp_nlt_f32_e32 vcc_lo, 0x42b17218, v8
	v_cndmask_b32_e32 v9, 0x7f800000, v9, vcc_lo
	v_cmp_ngt_f32_e32 vcc_lo, 0xc2ce8ed0, v0
	v_fmac_f32_e32 v13, 0x32a5705f, v0
	s_delay_alu instid0(VALU_DEP_1) | instskip(NEXT) | instid1(VALU_DEP_1)
	v_add_f32_e32 v10, v10, v13
	v_exp_f32_e32 v10, v10
	s_waitcnt_depctr 0xfff
	v_ldexp_f32 v10, v10, v11
	s_delay_alu instid0(VALU_DEP_1)
	v_dual_mov_b32 v11, v6 :: v_dual_cndmask_b32 v10, 0, v10
	v_cmp_le_f32_e32 vcc_lo, 0xc1a00000, v8
	s_waitcnt vmcnt(1)
	v_dual_cndmask_b32 v8, 0, v9 :: v_dual_mov_b32 v9, v5
	v_cmp_nlt_f32_e32 vcc_lo, 0x42b17218, v0
	v_cndmask_b32_e32 v5, 0x7f800000, v10, vcc_lo
	s_delay_alu instid0(VALU_DEP_3) | instskip(SKIP_2) | instid1(VALU_DEP_3)
	v_mul_f32_e32 v10, s11, v8
	v_cmp_le_f32_e32 vcc_lo, 0xc1a00000, v0
	v_mov_b32_e32 v0, v7
	v_mov_b32_e32 v6, v10
	s_waitcnt vmcnt(0)
	v_dual_cndmask_b32 v12, 0, v5 :: v_dual_mul_f32 v5, v4, v8
	s_delay_alu instid0(VALU_DEP_1) | instskip(NEXT) | instid1(VALU_DEP_2)
	v_dual_fmac_f32 v6, v11, v12 :: v_dual_add_nc_u32 v3, 0xfffff000, v3
	v_fmac_f32_e32 v5, v9, v12
	s_cbranch_scc0 .LBB11_3
	s_branch .LBB11_5
.LBB11_4:
	s_waitcnt lgkmcnt(0)
	v_mov_b32_e32 v6, s10
.LBB11_5:
	s_waitcnt vmcnt(0)
	s_delay_alu instid0(VALU_DEP_1) | instskip(NEXT) | instid1(VALU_DEP_1)
	v_div_scale_f32 v0, null, v6, v6, v5
	v_rcp_f32_e32 v3, v0
	s_waitcnt_depctr 0xfff
	v_fma_f32 v4, -v0, v3, 1.0
	s_delay_alu instid0(VALU_DEP_1) | instskip(SKIP_1) | instid1(VALU_DEP_1)
	v_fmac_f32_e32 v3, v4, v3
	v_div_scale_f32 v4, vcc_lo, v5, v6, v5
	v_mul_f32_e32 v7, v4, v3
	s_delay_alu instid0(VALU_DEP_1) | instskip(NEXT) | instid1(VALU_DEP_1)
	v_fma_f32 v8, -v0, v7, v4
	v_fmac_f32_e32 v7, v8, v3
	s_delay_alu instid0(VALU_DEP_1) | instskip(NEXT) | instid1(VALU_DEP_1)
	v_fma_f32 v0, -v0, v7, v4
	v_div_fmas_f32 v0, v0, v3, v7
	s_delay_alu instid0(VALU_DEP_1)
	v_div_fixup_f32 v0, v0, v6, v5
	global_store_b32 v[1:2], v0, off
.LBB11_6:
	s_nop 0
	s_sendmsg sendmsg(MSG_DEALLOC_VGPRS)
	s_endpgm
	.section	.rodata,"a",@progbits
	.p2align	6, 0x0
	.amdhsa_kernel _ZL33flash_attn_stream_k_fixup_uniformILi512ELi1ELi8EEvPfPK15HIP_vector_typeIfLj2EEiiiiiiS1_IjLj3EES5_S5_
		.amdhsa_group_segment_fixed_size 0
		.amdhsa_private_segment_fixed_size 0
		.amdhsa_kernarg_size 76
		.amdhsa_user_sgpr_count 13
		.amdhsa_user_sgpr_dispatch_ptr 0
		.amdhsa_user_sgpr_queue_ptr 0
		.amdhsa_user_sgpr_kernarg_segment_ptr 1
		.amdhsa_user_sgpr_dispatch_id 0
		.amdhsa_user_sgpr_private_segment_size 0
		.amdhsa_wavefront_size32 1
		.amdhsa_uses_dynamic_stack 0
		.amdhsa_enable_private_segment 0
		.amdhsa_system_sgpr_workgroup_id_x 1
		.amdhsa_system_sgpr_workgroup_id_y 1
		.amdhsa_system_sgpr_workgroup_id_z 1
		.amdhsa_system_sgpr_workgroup_info 0
		.amdhsa_system_vgpr_workitem_id 0
		.amdhsa_next_free_vgpr 15
		.amdhsa_next_free_sgpr 20
		.amdhsa_reserve_vcc 1
		.amdhsa_float_round_mode_32 0
		.amdhsa_float_round_mode_16_64 0
		.amdhsa_float_denorm_mode_32 3
		.amdhsa_float_denorm_mode_16_64 3
		.amdhsa_dx10_clamp 1
		.amdhsa_ieee_mode 1
		.amdhsa_fp16_overflow 0
		.amdhsa_workgroup_processor_mode 1
		.amdhsa_memory_ordered 1
		.amdhsa_forward_progress 0
		.amdhsa_shared_vgpr_count 0
		.amdhsa_exception_fp_ieee_invalid_op 0
		.amdhsa_exception_fp_denorm_src 0
		.amdhsa_exception_fp_ieee_div_zero 0
		.amdhsa_exception_fp_ieee_overflow 0
		.amdhsa_exception_fp_ieee_underflow 0
		.amdhsa_exception_fp_ieee_inexact 0
		.amdhsa_exception_int_div_zero 0
	.end_amdhsa_kernel
	.section	.text._ZL33flash_attn_stream_k_fixup_uniformILi512ELi1ELi8EEvPfPK15HIP_vector_typeIfLj2EEiiiiiiS1_IjLj3EES5_S5_,"axG",@progbits,_ZL33flash_attn_stream_k_fixup_uniformILi512ELi1ELi8EEvPfPK15HIP_vector_typeIfLj2EEiiiiiiS1_IjLj3EES5_S5_,comdat
.Lfunc_end11:
	.size	_ZL33flash_attn_stream_k_fixup_uniformILi512ELi1ELi8EEvPfPK15HIP_vector_typeIfLj2EEiiiiiiS1_IjLj3EES5_S5_, .Lfunc_end11-_ZL33flash_attn_stream_k_fixup_uniformILi512ELi1ELi8EEvPfPK15HIP_vector_typeIfLj2EEiiiiiiS1_IjLj3EES5_S5_
                                        ; -- End function
	.section	.AMDGPU.csdata,"",@progbits
; Kernel info:
; codeLenInByte = 968
; NumSgprs: 22
; NumVgprs: 15
; ScratchSize: 0
; MemoryBound: 0
; FloatMode: 240
; IeeeMode: 1
; LDSByteSize: 0 bytes/workgroup (compile time only)
; SGPRBlocks: 2
; VGPRBlocks: 1
; NumSGPRsForWavesPerEU: 22
; NumVGPRsForWavesPerEU: 15
; Occupancy: 16
; WaveLimiterHint : 0
; COMPUTE_PGM_RSRC2:SCRATCH_EN: 0
; COMPUTE_PGM_RSRC2:USER_SGPR: 13
; COMPUTE_PGM_RSRC2:TRAP_HANDLER: 0
; COMPUTE_PGM_RSRC2:TGID_X_EN: 1
; COMPUTE_PGM_RSRC2:TGID_Y_EN: 1
; COMPUTE_PGM_RSRC2:TGID_Z_EN: 1
; COMPUTE_PGM_RSRC2:TIDIG_COMP_CNT: 0
	.section	.text._ZL33flash_attn_stream_k_fixup_generalILi512ELi1ELi8EEvPfPK15HIP_vector_typeIfLj2EEiiiiS1_IjLj3EES5_S5_S5_,"axG",@progbits,_ZL33flash_attn_stream_k_fixup_generalILi512ELi1ELi8EEvPfPK15HIP_vector_typeIfLj2EEiiiiS1_IjLj3EES5_S5_S5_,comdat
	.globl	_ZL33flash_attn_stream_k_fixup_generalILi512ELi1ELi8EEvPfPK15HIP_vector_typeIfLj2EEiiiiS1_IjLj3EES5_S5_S5_ ; -- Begin function _ZL33flash_attn_stream_k_fixup_generalILi512ELi1ELi8EEvPfPK15HIP_vector_typeIfLj2EEiiiiS1_IjLj3EES5_S5_S5_
	.p2align	8
	.type	_ZL33flash_attn_stream_k_fixup_generalILi512ELi1ELi8EEvPfPK15HIP_vector_typeIfLj2EEiiiiS1_IjLj3EES5_S5_S5_,@function
_ZL33flash_attn_stream_k_fixup_generalILi512ELi1ELi8EEvPfPK15HIP_vector_typeIfLj2EEiiiiS1_IjLj3EES5_S5_S5_: ; @_ZL33flash_attn_stream_k_fixup_generalILi512ELi1ELi8EEvPfPK15HIP_vector_typeIfLj2EEiiiiS1_IjLj3EES5_S5_S5_
; %bb.0:
	s_clause 0x1
	s_load_b128 s[4:7], s[0:1], 0x10
	s_load_b32 s20, s[0:1], 0x50
	s_mov_b32 s2, 0
	s_waitcnt lgkmcnt(0)
	s_mul_hi_i32 s3, s7, s13
	s_mul_i32 s12, s7, s13
	s_cmp_lg_u64 s[2:3], 0
	s_cbranch_scc0 .LBB12_21
; %bb.1:
	v_cvt_f32_ubyte0_e32 v1, 0
	v_cvt_f32_u32_e32 v2, s20
	s_sub_u32 s10, 0, s20
	s_subb_u32 s11, 0, 0
	s_delay_alu instid0(VALU_DEP_1) | instskip(NEXT) | instid1(VALU_DEP_1)
	v_fmamk_f32 v1, v1, 0x4f800000, v2
	v_rcp_f32_e32 v1, v1
	s_waitcnt_depctr 0xfff
	v_mul_f32_e32 v1, 0x5f7ffffc, v1
	s_delay_alu instid0(VALU_DEP_1) | instskip(NEXT) | instid1(VALU_DEP_1)
	v_mul_f32_e32 v2, 0x2f800000, v1
	v_trunc_f32_e32 v2, v2
	s_delay_alu instid0(VALU_DEP_1) | instskip(SKIP_1) | instid1(VALU_DEP_2)
	v_fmamk_f32 v1, v2, 0xcf800000, v1
	v_cvt_u32_f32_e32 v2, v2
	v_cvt_u32_f32_e32 v1, v1
	s_delay_alu instid0(VALU_DEP_2) | instskip(NEXT) | instid1(VALU_DEP_2)
	v_readfirstlane_b32 s8, v2
	v_readfirstlane_b32 s9, v1
	s_delay_alu instid0(VALU_DEP_2) | instskip(NEXT) | instid1(VALU_DEP_1)
	s_mul_i32 s16, s10, s8
	s_mul_hi_u32 s18, s10, s9
	s_mul_i32 s17, s11, s9
	s_add_i32 s16, s18, s16
	s_mul_i32 s19, s10, s9
	s_add_i32 s16, s16, s17
	s_mul_hi_u32 s18, s9, s19
	s_mul_hi_u32 s21, s8, s19
	s_mul_i32 s17, s8, s19
	s_mul_hi_u32 s19, s9, s16
	s_mul_i32 s9, s9, s16
	s_mul_hi_u32 s22, s8, s16
	s_add_u32 s9, s18, s9
	s_addc_u32 s18, 0, s19
	s_add_u32 s9, s9, s17
	s_mul_i32 s16, s8, s16
	s_addc_u32 s9, s18, s21
	s_addc_u32 s17, s22, 0
	s_add_u32 s9, s9, s16
	s_addc_u32 s16, 0, s17
	v_add_co_u32 v1, s9, v1, s9
	s_delay_alu instid0(VALU_DEP_1) | instskip(SKIP_1) | instid1(VALU_DEP_1)
	s_cmp_lg_u32 s9, 0
	s_addc_u32 s8, s8, s16
	v_readfirstlane_b32 s9, v1
	s_mul_i32 s16, s10, s8
	s_delay_alu instid0(VALU_DEP_1)
	s_mul_hi_u32 s17, s10, s9
	s_mul_i32 s11, s11, s9
	s_add_i32 s16, s17, s16
	s_mul_i32 s10, s10, s9
	s_add_i32 s16, s16, s11
	s_mul_hi_u32 s17, s8, s10
	s_mul_i32 s18, s8, s10
	s_mul_hi_u32 s10, s9, s10
	s_mul_hi_u32 s19, s9, s16
	s_mul_i32 s9, s9, s16
	s_mul_hi_u32 s11, s8, s16
	s_add_u32 s9, s10, s9
	s_addc_u32 s10, 0, s19
	s_add_u32 s9, s9, s18
	s_mul_i32 s16, s8, s16
	s_addc_u32 s9, s10, s17
	s_addc_u32 s10, s11, 0
	s_add_u32 s9, s9, s16
	s_addc_u32 s10, 0, s10
	v_add_co_u32 v1, s9, v1, s9
	s_delay_alu instid0(VALU_DEP_1) | instskip(SKIP_2) | instid1(SALU_CYCLE_1)
	s_cmp_lg_u32 s9, 0
	s_addc_u32 s16, s8, s10
	s_ashr_i32 s8, s3, 31
	s_add_u32 s10, s12, s8
	s_addc_u32 s11, s3, s8
	v_readfirstlane_b32 s3, v1
	s_mov_b32 s9, s8
	s_delay_alu instid0(SALU_CYCLE_1) | instskip(NEXT) | instid1(SALU_CYCLE_1)
	s_xor_b64 s[10:11], s[10:11], s[8:9]
	s_mul_i32 s18, s10, s16
	s_delay_alu instid0(VALU_DEP_1)
	s_mul_hi_u32 s19, s10, s3
	s_mul_hi_u32 s17, s10, s16
	;; [unrolled: 1-line block ×3, first 2 shown]
	s_mul_i32 s3, s11, s3
	s_add_u32 s18, s19, s18
	s_addc_u32 s17, 0, s17
	s_mul_hi_u32 s21, s11, s16
	s_add_u32 s3, s18, s3
	s_mul_i32 s16, s11, s16
	s_addc_u32 s3, s17, s22
	s_addc_u32 s17, s21, 0
	s_add_u32 s3, s3, s16
	s_addc_u32 s16, 0, s17
	s_mul_i32 s18, s20, s3
	s_add_u32 s17, s3, 1
	v_sub_co_u32 v1, s10, s10, s18
	s_mul_hi_u32 s18, s20, s3
	s_addc_u32 s19, s16, 0
	s_mul_i32 s21, s20, s16
	s_delay_alu instid0(VALU_DEP_1)
	v_sub_co_u32 v2, s22, v1, s20
	s_add_u32 s23, s3, 2
	s_addc_u32 s24, s16, 0
	s_add_i32 s18, s18, s21
	s_cmp_lg_u32 s10, 0
	v_readfirstlane_b32 s10, v2
	s_subb_u32 s11, s11, s18
	s_cmp_lg_u32 s22, 0
	s_subb_u32 s18, s11, 0
	s_delay_alu instid0(VALU_DEP_1) | instskip(SKIP_4) | instid1(SALU_CYCLE_1)
	s_cmp_ge_u32 s10, s20
	s_cselect_b32 s10, -1, 0
	s_cmp_eq_u32 s18, 0
	v_readfirstlane_b32 s18, v1
	s_cselect_b32 s10, s10, -1
	s_cmp_lg_u32 s10, 0
	s_cselect_b32 s10, s23, s17
	s_cselect_b32 s17, s24, s19
	s_cmp_ge_u32 s18, s20
	s_cselect_b32 s18, -1, 0
	s_cmp_eq_u32 s11, 0
	s_cselect_b32 s11, s18, -1
	s_delay_alu instid0(SALU_CYCLE_1) | instskip(SKIP_2) | instid1(SALU_CYCLE_1)
	s_cmp_lg_u32 s11, 0
	s_cselect_b32 s11, s17, s16
	s_cselect_b32 s10, s10, s3
	s_xor_b64 s[10:11], s[10:11], s[8:9]
	s_delay_alu instid0(SALU_CYCLE_1)
	s_sub_u32 s16, s10, s8
	s_load_b128 s[8:11], s[0:1], 0x44
	s_and_not1_b32 vcc_lo, exec_lo, s2
	s_cbranch_vccnz .LBB12_3
.LBB12_2:
	v_cvt_f32_u32_e32 v1, s20
	s_sub_i32 s3, 0, s20
	s_delay_alu instid0(VALU_DEP_1) | instskip(SKIP_2) | instid1(VALU_DEP_1)
	v_rcp_iflag_f32_e32 v1, v1
	s_waitcnt_depctr 0xfff
	v_mul_f32_e32 v1, 0x4f7ffffe, v1
	v_cvt_u32_f32_e32 v1, v1
	s_delay_alu instid0(VALU_DEP_1) | instskip(NEXT) | instid1(VALU_DEP_1)
	v_readfirstlane_b32 s2, v1
	s_mul_i32 s3, s3, s2
	s_delay_alu instid0(SALU_CYCLE_1) | instskip(NEXT) | instid1(SALU_CYCLE_1)
	s_mul_hi_u32 s3, s2, s3
	s_add_i32 s2, s2, s3
	s_delay_alu instid0(SALU_CYCLE_1) | instskip(NEXT) | instid1(SALU_CYCLE_1)
	s_mul_hi_u32 s2, s12, s2
	s_mul_i32 s3, s2, s20
	s_waitcnt lgkmcnt(0)
	s_add_i32 s11, s2, 1
	s_sub_i32 s3, s12, s3
	s_delay_alu instid0(SALU_CYCLE_1)
	s_sub_i32 s12, s3, s20
	s_cmp_ge_u32 s3, s20
	s_cselect_b32 s2, s11, s2
	s_cselect_b32 s3, s12, s3
	s_add_i32 s11, s2, 1
	s_cmp_ge_u32 s3, s20
	s_cselect_b32 s16, s11, s2
.LBB12_3:
	s_waitcnt lgkmcnt(0)
	s_add_i32 s11, s13, 1
	s_mov_b32 s2, 0
	s_mul_hi_i32 s3, s7, s11
	s_mul_i32 s11, s7, s11
	s_cmp_lg_u64 s[2:3], 0
	s_cbranch_scc0 .LBB12_22
; %bb.4:
	v_cvt_f32_ubyte0_e32 v1, 0
	v_cvt_f32_u32_e32 v2, s20
	s_sub_u32 s18, 0, s20
	s_subb_u32 s19, 0, 0
	s_delay_alu instid0(VALU_DEP_1) | instskip(NEXT) | instid1(VALU_DEP_1)
	v_fmamk_f32 v1, v1, 0x4f800000, v2
	v_rcp_f32_e32 v1, v1
	s_waitcnt_depctr 0xfff
	v_mul_f32_e32 v1, 0x5f7ffffc, v1
	s_delay_alu instid0(VALU_DEP_1) | instskip(NEXT) | instid1(VALU_DEP_1)
	v_mul_f32_e32 v2, 0x2f800000, v1
	v_trunc_f32_e32 v2, v2
	s_delay_alu instid0(VALU_DEP_1) | instskip(SKIP_1) | instid1(VALU_DEP_2)
	v_fmamk_f32 v1, v2, 0xcf800000, v1
	v_cvt_u32_f32_e32 v2, v2
	v_cvt_u32_f32_e32 v1, v1
	s_delay_alu instid0(VALU_DEP_2) | instskip(NEXT) | instid1(VALU_DEP_2)
	v_readfirstlane_b32 s12, v2
	v_readfirstlane_b32 s17, v1
	s_delay_alu instid0(VALU_DEP_2) | instskip(NEXT) | instid1(VALU_DEP_1)
	s_mul_i32 s21, s18, s12
	s_mul_hi_u32 s23, s18, s17
	s_mul_i32 s22, s19, s17
	s_add_i32 s21, s23, s21
	s_mul_i32 s24, s18, s17
	s_add_i32 s21, s21, s22
	s_mul_hi_u32 s23, s17, s24
	s_mul_hi_u32 s25, s12, s24
	s_mul_i32 s22, s12, s24
	s_mul_hi_u32 s24, s17, s21
	s_mul_i32 s17, s17, s21
	s_mul_hi_u32 s26, s12, s21
	s_add_u32 s17, s23, s17
	s_addc_u32 s23, 0, s24
	s_add_u32 s17, s17, s22
	s_mul_i32 s21, s12, s21
	s_addc_u32 s17, s23, s25
	s_addc_u32 s22, s26, 0
	s_add_u32 s17, s17, s21
	s_addc_u32 s21, 0, s22
	v_add_co_u32 v1, s17, v1, s17
	s_delay_alu instid0(VALU_DEP_1) | instskip(SKIP_1) | instid1(VALU_DEP_1)
	s_cmp_lg_u32 s17, 0
	s_addc_u32 s12, s12, s21
	v_readfirstlane_b32 s17, v1
	s_mul_i32 s21, s18, s12
	s_delay_alu instid0(VALU_DEP_1)
	s_mul_hi_u32 s22, s18, s17
	s_mul_i32 s19, s19, s17
	s_add_i32 s21, s22, s21
	s_mul_i32 s18, s18, s17
	s_add_i32 s21, s21, s19
	s_mul_hi_u32 s22, s12, s18
	s_mul_i32 s23, s12, s18
	s_mul_hi_u32 s18, s17, s18
	s_mul_hi_u32 s24, s17, s21
	s_mul_i32 s17, s17, s21
	s_mul_hi_u32 s19, s12, s21
	s_add_u32 s17, s18, s17
	s_addc_u32 s18, 0, s24
	s_add_u32 s17, s17, s23
	s_mul_i32 s21, s12, s21
	s_addc_u32 s17, s18, s22
	s_addc_u32 s18, s19, 0
	s_add_u32 s17, s17, s21
	s_addc_u32 s18, 0, s18
	v_add_co_u32 v1, s17, v1, s17
	s_delay_alu instid0(VALU_DEP_1) | instskip(SKIP_2) | instid1(SALU_CYCLE_1)
	s_cmp_lg_u32 s17, 0
	s_addc_u32 s12, s12, s18
	s_ashr_i32 s18, s3, 31
	s_add_u32 s22, s11, s18
	s_addc_u32 s23, s3, s18
	v_readfirstlane_b32 s3, v1
	s_mov_b32 s19, s18
	s_delay_alu instid0(SALU_CYCLE_1) | instskip(NEXT) | instid1(SALU_CYCLE_1)
	s_xor_b64 s[22:23], s[22:23], s[18:19]
	s_mul_i32 s21, s22, s12
	s_delay_alu instid0(VALU_DEP_1)
	s_mul_hi_u32 s24, s22, s3
	s_mul_hi_u32 s17, s22, s12
	s_mul_hi_u32 s26, s23, s3
	s_mul_i32 s3, s23, s3
	s_add_u32 s21, s24, s21
	s_addc_u32 s17, 0, s17
	s_mul_hi_u32 s25, s23, s12
	s_add_u32 s3, s21, s3
	s_mul_i32 s12, s23, s12
	s_addc_u32 s3, s17, s26
	s_addc_u32 s17, s25, 0
	s_add_u32 s3, s3, s12
	s_addc_u32 s12, 0, s17
	s_mul_i32 s21, s20, s3
	s_add_u32 s17, s3, 1
	v_sub_co_u32 v1, s21, s22, s21
	s_mul_hi_u32 s22, s20, s3
	s_addc_u32 s24, s12, 0
	s_mul_i32 s25, s20, s12
	s_delay_alu instid0(VALU_DEP_1)
	v_sub_co_u32 v2, s26, v1, s20
	s_add_u32 s27, s3, 2
	s_addc_u32 s28, s12, 0
	s_add_i32 s22, s22, s25
	s_cmp_lg_u32 s21, 0
	v_readfirstlane_b32 s21, v2
	s_subb_u32 s22, s23, s22
	s_cmp_lg_u32 s26, 0
	s_subb_u32 s23, s22, 0
	s_delay_alu instid0(VALU_DEP_1) | instskip(SKIP_4) | instid1(SALU_CYCLE_1)
	s_cmp_ge_u32 s21, s20
	s_cselect_b32 s21, -1, 0
	s_cmp_eq_u32 s23, 0
	v_readfirstlane_b32 s23, v1
	s_cselect_b32 s21, s21, -1
	s_cmp_lg_u32 s21, 0
	s_cselect_b32 s17, s27, s17
	s_cselect_b32 s21, s28, s24
	s_cmp_ge_u32 s23, s20
	s_cselect_b32 s23, -1, 0
	s_cmp_eq_u32 s22, 0
	s_cselect_b32 s22, s23, -1
	s_delay_alu instid0(SALU_CYCLE_1) | instskip(SKIP_2) | instid1(SALU_CYCLE_1)
	s_cmp_lg_u32 s22, 0
	s_cselect_b32 s23, s21, s12
	s_cselect_b32 s22, s17, s3
	s_xor_b64 s[22:23], s[22:23], s[18:19]
	s_delay_alu instid0(SALU_CYCLE_1)
	s_sub_u32 s18, s22, s18
	s_and_not1_b32 vcc_lo, exec_lo, s2
	s_cbranch_vccnz .LBB12_6
.LBB12_5:
	v_cvt_f32_u32_e32 v1, s20
	s_sub_i32 s3, 0, s20
	s_delay_alu instid0(VALU_DEP_1) | instskip(SKIP_2) | instid1(VALU_DEP_1)
	v_rcp_iflag_f32_e32 v1, v1
	s_waitcnt_depctr 0xfff
	v_mul_f32_e32 v1, 0x4f7ffffe, v1
	v_cvt_u32_f32_e32 v1, v1
	s_delay_alu instid0(VALU_DEP_1) | instskip(NEXT) | instid1(VALU_DEP_1)
	v_readfirstlane_b32 s2, v1
	s_mul_i32 s3, s3, s2
	s_delay_alu instid0(SALU_CYCLE_1) | instskip(NEXT) | instid1(SALU_CYCLE_1)
	s_mul_hi_u32 s3, s2, s3
	s_add_i32 s2, s2, s3
	s_delay_alu instid0(SALU_CYCLE_1) | instskip(NEXT) | instid1(SALU_CYCLE_1)
	s_mul_hi_u32 s2, s11, s2
	s_mul_i32 s3, s2, s20
	s_delay_alu instid0(SALU_CYCLE_1)
	s_sub_i32 s3, s11, s3
	s_add_i32 s11, s2, 1
	s_sub_i32 s12, s3, s20
	s_cmp_ge_u32 s3, s20
	s_cselect_b32 s2, s11, s2
	s_cselect_b32 s3, s12, s3
	s_add_i32 s11, s2, 1
	s_cmp_ge_u32 s3, s20
	s_cselect_b32 s18, s11, s2
.LBB12_6:
	s_delay_alu instid0(SALU_CYCLE_1) | instskip(SKIP_3) | instid1(SALU_CYCLE_1)
	s_cmp_eq_u32 s16, s18
	s_mul_hi_u32 s2, s16, s8
	s_cselect_b32 s3, -1, 0
	s_add_i32 s2, s2, s16
	s_lshr_b32 s11, s2, s9
	s_delay_alu instid0(SALU_CYCLE_1) | instskip(NEXT) | instid1(SALU_CYCLE_1)
	s_mul_i32 s2, s11, s10
	s_cmp_eq_u32 s2, s16
	s_mul_hi_u32 s2, s18, s8
	s_cselect_b32 s12, -1, 0
	s_add_i32 s2, s2, s18
	s_delay_alu instid0(SALU_CYCLE_1) | instskip(NEXT) | instid1(SALU_CYCLE_1)
	s_lshr_b32 s2, s2, s9
	s_cmp_eq_u32 s11, s2
	s_mul_i32 s2, s2, s10
	s_cselect_b32 s17, -1, 0
	s_cmp_lg_u32 s2, s18
	s_cselect_b32 s2, -1, 0
	s_or_b32 s3, s3, s12
	s_and_b32 s2, s17, s2
	s_delay_alu instid0(SALU_CYCLE_1) | instskip(NEXT) | instid1(SALU_CYCLE_1)
	s_or_b32 s2, s3, s2
	s_and_b32 vcc_lo, exec_lo, s2
	s_cbranch_vccnz .LBB12_24
; %bb.7:
	s_load_b256 s[24:31], s[0:1], 0x20
	s_waitcnt lgkmcnt(0)
	s_mul_hi_u32 s2, s16, s24
	s_delay_alu instid0(SALU_CYCLE_1) | instskip(NEXT) | instid1(SALU_CYCLE_1)
	s_add_i32 s2, s2, s16
	s_lshr_b32 s17, s2, s25
	s_load_b32 s2, s[0:1], 0x40
	s_mul_i32 s3, s17, s26
	s_delay_alu instid0(SALU_CYCLE_1) | instskip(NEXT) | instid1(SALU_CYCLE_1)
	s_sub_i32 s3, s16, s3
	s_mul_hi_u32 s12, s3, s27
	s_delay_alu instid0(SALU_CYCLE_1) | instskip(NEXT) | instid1(SALU_CYCLE_1)
	s_add_i32 s12, s3, s12
	s_lshr_b32 s18, s12, s28
	s_delay_alu instid0(SALU_CYCLE_1) | instskip(NEXT) | instid1(SALU_CYCLE_1)
	s_mul_i32 s12, s18, s29
	s_sub_i32 s3, s3, s12
	s_delay_alu instid0(SALU_CYCLE_1) | instskip(NEXT) | instid1(SALU_CYCLE_1)
	s_mul_hi_u32 s12, s3, s30
	s_add_i32 s12, s3, s12
	s_delay_alu instid0(SALU_CYCLE_1)
	s_lshr_b32 s12, s12, s31
	s_waitcnt lgkmcnt(0)
	s_mul_i32 s2, s12, s2
	s_lshl_b32 s21, s12, 3
	s_sub_i32 s2, s3, s2
	s_mov_b32 s12, 0
	s_mul_hi_u32 s3, s2, s8
	s_delay_alu instid0(SALU_CYCLE_1) | instskip(NEXT) | instid1(SALU_CYCLE_1)
	s_add_i32 s2, s2, s3
	s_lshr_b32 s19, s2, s9
	s_delay_alu instid0(SALU_CYCLE_1) | instskip(NEXT) | instid1(SALU_CYCLE_1)
	s_add_i32 s19, s19, s14
	s_cmp_lt_i32 s19, s4
	s_cselect_b32 s2, -1, 0
	s_add_i32 s21, s21, s15
	s_delay_alu instid0(SALU_CYCLE_1) | instskip(SKIP_1) | instid1(SALU_CYCLE_1)
	s_cmp_lt_i32 s21, s6
	s_cselect_b32 s3, -1, 0
	s_and_b32 s2, s2, s3
	s_delay_alu instid0(SALU_CYCLE_1)
	s_and_not1_b32 vcc_lo, exec_lo, s2
	s_cbranch_vccnz .LBB12_24
; %bb.8:
	s_load_b128 s[0:3], s[0:1], 0x0
	s_lshl_b32 s22, s20, 5
	s_mov_b32 s23, s12
	s_mul_i32 s4, s17, s4
	s_lshl_b64 s[22:23], s[22:23], 2
	s_mul_i32 s18, s18, s6
	v_cvt_f32_ubyte0_e32 v4, 0
	v_cvt_f32_u32_e32 v5, s20
	s_waitcnt lgkmcnt(0)
	s_add_u32 s6, s2, s22
	s_addc_u32 s17, s3, s23
	s_add_i32 s4, s19, s4
	s_add_i32 s18, s21, s18
	s_mul_i32 s4, s4, s5
	s_delay_alu instid0(SALU_CYCLE_1) | instskip(NEXT) | instid1(SALU_CYCLE_1)
	s_add_i32 s18, s18, s4
	v_lshl_or_b32 v1, s18, 9, v0
	v_lshl_or_b32 v0, s15, 9, v0
	s_delay_alu instid0(VALU_DEP_2) | instskip(NEXT) | instid1(VALU_DEP_1)
	v_ashrrev_i32_e32 v2, 31, v1
	v_lshlrev_b64 v[1:2], 2, v[1:2]
	s_delay_alu instid0(VALU_DEP_1) | instskip(NEXT) | instid1(VALU_DEP_2)
	v_add_co_u32 v1, vcc_lo, s0, v1
	v_add_co_ci_u32_e32 v2, vcc_lo, s1, v2, vcc_lo
	s_add_i32 s0, s14, s13
	s_delay_alu instid0(SALU_CYCLE_1) | instskip(SKIP_2) | instid1(SALU_CYCLE_1)
	s_lshl_b32 s0, s0, 3
	global_load_b32 v3, v[1:2], off
	s_add_i32 s0, s0, s15
	s_ashr_i32 s1, s0, 31
	s_delay_alu instid0(SALU_CYCLE_1) | instskip(NEXT) | instid1(SALU_CYCLE_1)
	s_lshl_b64 s[0:1], s[0:1], 3
	s_add_u32 s0, s2, s0
	s_addc_u32 s1, s3, s1
	s_add_i32 s19, s13, -1
	s_load_b64 s[0:1], s[0:1], 0x0
	v_fmac_f32_e32 v5, 0x4f800000, v4
	s_sub_i32 s18, 0, s20
	s_waitcnt lgkmcnt(0)
	v_mov_b32_e32 v8, s0
	s_delay_alu instid0(VALU_DEP_2) | instskip(SKIP_2) | instid1(VALU_DEP_2)
	v_rcp_f32_e32 v4, v5
	v_cvt_f32_u32_e32 v5, s20
	v_mov_b32_e32 v7, s1
	v_rcp_iflag_f32_e32 v5, v5
	s_waitcnt_depctr 0xfff
	v_mul_f32_e32 v4, 0x5f7ffffc, v4
	s_delay_alu instid0(VALU_DEP_1) | instskip(SKIP_1) | instid1(VALU_DEP_2)
	v_mul_f32_e32 v6, 0x2f800000, v4
	v_mul_f32_e32 v9, 0x4f7ffffe, v5
	v_trunc_f32_e32 v6, v6
	s_delay_alu instid0(VALU_DEP_1) | instskip(SKIP_1) | instid1(VALU_DEP_4)
	v_fmac_f32_e32 v4, 0xcf800000, v6
	v_cvt_u32_f32_e32 v5, v6
	v_cvt_u32_f32_e32 v6, v9
	s_delay_alu instid0(VALU_DEP_3)
	v_cvt_u32_f32_e32 v4, v4
.LBB12_9:                               ; =>This Inner Loop Header: Depth=1
	s_mul_hi_i32 s13, s19, s7
	s_mul_i32 s4, s19, s7
	s_cmp_lg_u64 s[12:13], 0
	s_mov_b32 s5, -1
                                        ; implicit-def: $sgpr0_sgpr1
	s_cbranch_scc0 .LBB12_11
; %bb.10:                               ;   in Loop: Header=BB12_9 Depth=1
	v_readfirstlane_b32 s0, v4
	v_readfirstlane_b32 s1, v5
	s_sub_u32 s5, 0, s20
	s_subb_u32 s21, 0, 0
	s_delay_alu instid0(VALU_DEP_2) | instskip(NEXT) | instid1(VALU_DEP_1)
	s_mul_hi_u32 s22, s5, s0
	s_mul_i32 s23, s5, s1
	s_mul_i32 s24, s21, s0
	s_add_i32 s22, s22, s23
	s_mul_i32 s23, s5, s0
	s_add_i32 s22, s22, s24
	s_mul_hi_u32 s24, s0, s23
	s_mul_i32 s25, s0, s22
	s_mul_hi_u32 s0, s0, s22
	s_add_u32 s24, s24, s25
	s_mul_i32 s26, s1, s23
	s_addc_u32 s0, 0, s0
	s_mul_hi_u32 s23, s1, s23
	s_mul_hi_u32 s25, s1, s22
	s_add_u32 s24, s24, s26
	s_addc_u32 s0, s0, s23
	s_mul_i32 s22, s1, s22
	s_addc_u32 s23, s25, 0
	s_add_u32 s0, s0, s22
	s_addc_u32 s22, 0, s23
	v_add_co_u32 v9, s0, v4, s0
	s_delay_alu instid0(VALU_DEP_1) | instskip(SKIP_1) | instid1(VALU_DEP_1)
	s_cmp_lg_u32 s0, 0
	s_addc_u32 s1, s1, s22
	v_readfirstlane_b32 s0, v9
	s_mul_i32 s22, s5, s1
	s_delay_alu instid0(VALU_DEP_1)
	s_mul_hi_u32 s23, s5, s0
	s_mul_i32 s21, s21, s0
	s_add_i32 s22, s23, s22
	s_mul_i32 s5, s5, s0
	s_add_i32 s22, s22, s21
	s_mul_hi_u32 s21, s1, s5
	s_mul_i32 s24, s1, s5
	s_mul_i32 s25, s0, s22
	s_mul_hi_u32 s5, s0, s5
	s_mul_hi_u32 s0, s0, s22
	s_add_u32 s5, s5, s25
	s_addc_u32 s0, 0, s0
	s_mul_hi_u32 s23, s1, s22
	s_add_u32 s5, s5, s24
	s_addc_u32 s0, s0, s21
	s_mul_i32 s5, s1, s22
	s_addc_u32 s21, s23, 0
	s_add_u32 s0, s0, s5
	s_addc_u32 s5, 0, s21
	v_add_co_u32 v9, s0, v9, s0
	s_delay_alu instid0(VALU_DEP_1) | instskip(SKIP_2) | instid1(SALU_CYCLE_1)
	s_cmp_lg_u32 s0, 0
	s_addc_u32 s5, s1, s5
	s_ashr_i32 s0, s13, 31
	s_add_u32 s22, s4, s0
	s_addc_u32 s23, s13, s0
	v_readfirstlane_b32 s13, v9
	s_mov_b32 s1, s0
	s_delay_alu instid0(SALU_CYCLE_1) | instskip(NEXT) | instid1(SALU_CYCLE_1)
	s_xor_b64 s[22:23], s[22:23], s[0:1]
	s_mul_i32 s21, s22, s5
	s_delay_alu instid0(VALU_DEP_1)
	s_mul_hi_u32 s24, s22, s13
	s_mul_hi_u32 s25, s22, s5
	s_add_u32 s21, s24, s21
	s_mul_i32 s26, s23, s13
	s_addc_u32 s24, 0, s25
	s_mul_hi_u32 s13, s23, s13
	s_mul_hi_u32 s25, s23, s5
	s_add_u32 s21, s21, s26
	s_addc_u32 s13, s24, s13
	s_mul_i32 s5, s23, s5
	s_addc_u32 s21, s25, 0
	s_add_u32 s5, s13, s5
	s_addc_u32 s13, 0, s21
	s_mul_i32 s24, s20, s5
	s_add_u32 s21, s5, 1
	v_sub_co_u32 v9, s22, s22, s24
	s_addc_u32 s24, s13, 0
	s_mul_i32 s26, s20, s13
	s_mul_hi_u32 s28, s20, s5
	s_delay_alu instid0(VALU_DEP_1)
	v_sub_co_u32 v10, s27, v9, s20
	s_add_u32 s25, s5, 2
	s_addc_u32 s29, s13, 0
	s_add_i32 s28, s28, s26
	s_cmp_lg_u32 s22, 0
	v_readfirstlane_b32 s22, v10
	s_subb_u32 s23, s23, s28
	s_cmp_lg_u32 s27, 0
	s_subb_u32 s26, s23, 0
	s_delay_alu instid0(VALU_DEP_1) | instskip(SKIP_4) | instid1(SALU_CYCLE_1)
	s_cmp_ge_u32 s22, s20
	s_cselect_b32 s22, -1, 0
	s_cmp_eq_u32 s26, 0
	v_readfirstlane_b32 s26, v9
	s_cselect_b32 s22, s22, -1
	s_cmp_lg_u32 s22, 0
	s_cselect_b32 s21, s25, s21
	s_cselect_b32 s22, s29, s24
	s_cmp_ge_u32 s26, s20
	s_cselect_b32 s24, -1, 0
	s_cmp_eq_u32 s23, 0
	s_cselect_b32 s23, s24, -1
	s_delay_alu instid0(SALU_CYCLE_1) | instskip(SKIP_4) | instid1(SALU_CYCLE_1)
	s_cmp_lg_u32 s23, 0
	s_cselect_b32 s23, s22, s13
	s_cselect_b32 s22, s21, s5
	s_mov_b32 s5, 0
	s_xor_b64 s[22:23], s[22:23], s[0:1]
	s_sub_u32 s0, s22, s0
.LBB12_11:                              ;   in Loop: Header=BB12_9 Depth=1
	s_and_not1_b32 vcc_lo, exec_lo, s5
	s_cbranch_vccnz .LBB12_13
; %bb.12:                               ;   in Loop: Header=BB12_9 Depth=1
	v_readfirstlane_b32 s0, v6
	s_delay_alu instid0(VALU_DEP_1) | instskip(NEXT) | instid1(SALU_CYCLE_1)
	s_mul_i32 s1, s18, s0
	s_mul_hi_u32 s1, s0, s1
	s_delay_alu instid0(SALU_CYCLE_1) | instskip(NEXT) | instid1(SALU_CYCLE_1)
	s_add_i32 s0, s0, s1
	s_mul_hi_u32 s0, s4, s0
	s_delay_alu instid0(SALU_CYCLE_1) | instskip(NEXT) | instid1(SALU_CYCLE_1)
	s_mul_i32 s1, s0, s20
	s_sub_i32 s1, s4, s1
	s_add_i32 s4, s0, 1
	s_sub_i32 s5, s1, s20
	s_cmp_ge_u32 s1, s20
	s_cselect_b32 s0, s4, s0
	s_cselect_b32 s1, s5, s1
	s_add_i32 s4, s0, 1
	s_cmp_ge_u32 s1, s20
	s_cselect_b32 s0, s4, s0
.LBB12_13:                              ;   in Loop: Header=BB12_9 Depth=1
	s_delay_alu instid0(SALU_CYCLE_1)
	s_cmp_lg_u32 s16, s0
	s_cbranch_scc0 .LBB12_17
; %bb.14:                               ;   in Loop: Header=BB12_9 Depth=1
	s_add_i32 s22, s19, s14
	s_mov_b32 s5, s12
	s_add_i32 s1, s22, s20
	s_mov_b32 s21, s16
	s_lshl_b32 s1, s1, 3
	s_delay_alu instid0(SALU_CYCLE_1) | instskip(SKIP_2) | instid1(SALU_CYCLE_1)
	s_add_i32 s4, s1, s15
	s_mul_hi_u32 s1, s0, s8
	s_lshl_b64 s[4:5], s[4:5], 3
	s_add_u32 s4, s2, s4
	s_addc_u32 s5, s3, s5
	s_add_i32 s1, s1, s0
	s_delay_alu instid0(SALU_CYCLE_1) | instskip(NEXT) | instid1(SALU_CYCLE_1)
	s_lshr_b32 s1, s1, s9
	s_mul_i32 s13, s1, s10
	s_delay_alu instid0(SALU_CYCLE_1) | instskip(SKIP_3) | instid1(SALU_CYCLE_1)
	s_cmp_eq_u32 s13, s0
	s_cselect_b32 s13, -1, 0
	s_cmp_lt_u32 s1, s11
	s_cselect_b32 s1, -1, 0
	s_or_b32 s1, s1, s13
	s_mov_b32 s13, -1
	s_and_b32 vcc_lo, exec_lo, s1
	s_mov_b32 s1, s19
	s_cbranch_vccnz .LBB12_16
; %bb.15:                               ;   in Loop: Header=BB12_9 Depth=1
	s_add_i32 s1, s19, -1
	s_mov_b32 s13, 0
	s_mov_b32 s21, s0
.LBB12_16:                              ;   in Loop: Header=BB12_9 Depth=1
	v_lshl_add_u32 v9, s22, 12, v0
	s_load_b64 s[4:5], s[4:5], 0x0
	s_delay_alu instid0(VALU_DEP_1) | instskip(NEXT) | instid1(VALU_DEP_1)
	v_ashrrev_i32_e32 v10, 31, v9
	v_lshlrev_b64 v[9:10], 2, v[9:10]
	s_delay_alu instid0(VALU_DEP_1) | instskip(NEXT) | instid1(VALU_DEP_2)
	v_add_co_u32 v9, vcc_lo, s6, v9
	v_add_co_ci_u32_e32 v10, vcc_lo, s17, v10, vcc_lo
	s_waitcnt lgkmcnt(0)
	v_max_f32_e64 v11, s4, s4
	global_load_b32 v10, v[9:10], off
	v_max_f32_e32 v9, v8, v8
	s_delay_alu instid0(VALU_DEP_1) | instskip(NEXT) | instid1(VALU_DEP_1)
	v_max_f32_e32 v9, v9, v11
	v_sub_f32_e32 v12, v8, v9
	s_delay_alu instid0(VALU_DEP_1) | instskip(NEXT) | instid1(VALU_DEP_1)
	v_dual_mul_f32 v14, 0x3fb8aa3b, v12 :: v_dual_sub_f32 v11, s4, v9
	v_rndne_f32_e32 v18, v14
	s_delay_alu instid0(VALU_DEP_2) | instskip(SKIP_2) | instid1(VALU_DEP_4)
	v_mul_f32_e32 v13, 0x3fb8aa3b, v11
	v_fma_f32 v17, 0x3fb8aa3b, v12, -v14
	v_cmp_ngt_f32_e32 vcc_lo, 0xc2ce8ed0, v11
	v_sub_f32_e32 v14, v14, v18
	s_delay_alu instid0(VALU_DEP_4) | instskip(SKIP_2) | instid1(VALU_DEP_3)
	v_fma_f32 v15, 0x3fb8aa3b, v11, -v13
	v_rndne_f32_e32 v16, v13
	v_fmac_f32_e32 v17, 0x32a5705f, v12
	v_fmac_f32_e32 v15, 0x32a5705f, v11
	s_delay_alu instid0(VALU_DEP_2) | instskip(NEXT) | instid1(VALU_DEP_1)
	v_dual_sub_f32 v13, v13, v16 :: v_dual_add_f32 v14, v14, v17
	v_add_f32_e32 v13, v13, v15
	s_delay_alu instid0(VALU_DEP_2) | instskip(SKIP_2) | instid1(VALU_DEP_3)
	v_exp_f32_e32 v14, v14
	v_cvt_i32_f32_e32 v15, v16
	v_cvt_i32_f32_e32 v16, v18
	v_exp_f32_e32 v13, v13
	s_waitcnt_depctr 0xfff
	v_ldexp_f32 v14, v14, v16
	v_ldexp_f32 v13, v13, v15
	s_delay_alu instid0(VALU_DEP_1) | instskip(SKIP_1) | instid1(VALU_DEP_4)
	v_cndmask_b32_e32 v13, 0, v13, vcc_lo
	v_cmp_ngt_f32_e32 vcc_lo, 0xc2ce8ed0, v12
	v_cndmask_b32_e32 v14, 0, v14, vcc_lo
	v_cmp_nlt_f32_e32 vcc_lo, 0x42b17218, v11
	s_delay_alu instid0(VALU_DEP_4) | instskip(SKIP_1) | instid1(VALU_DEP_4)
	v_cndmask_b32_e32 v13, 0x7f800000, v13, vcc_lo
	v_cmp_nlt_f32_e32 vcc_lo, 0x42b17218, v12
	v_cndmask_b32_e32 v14, 0x7f800000, v14, vcc_lo
	v_cmp_le_f32_e32 vcc_lo, 0xc1a00000, v11
	s_delay_alu instid0(VALU_DEP_4) | instskip(SKIP_1) | instid1(VALU_DEP_4)
	v_cndmask_b32_e32 v11, 0, v13, vcc_lo
	v_cmp_le_f32_e32 vcc_lo, 0xc1a00000, v12
	v_cndmask_b32_e32 v12, 0, v14, vcc_lo
	s_waitcnt vmcnt(0)
	s_delay_alu instid0(VALU_DEP_3) | instskip(NEXT) | instid1(VALU_DEP_1)
	v_mul_f32_e32 v10, v10, v11
	v_dual_mul_f32 v11, s5, v11 :: v_dual_fmac_f32 v10, v3, v12
	s_delay_alu instid0(VALU_DEP_1)
	v_fmac_f32_e32 v11, v7, v12
	s_cbranch_execz .LBB12_18
	s_branch .LBB12_19
.LBB12_17:                              ;   in Loop: Header=BB12_9 Depth=1
                                        ; implicit-def: $sgpr13
                                        ; implicit-def: $vgpr10
                                        ; implicit-def: $vgpr9
                                        ; implicit-def: $vgpr11
                                        ; implicit-def: $sgpr1
                                        ; implicit-def: $sgpr21
.LBB12_18:                              ;   in Loop: Header=BB12_9 Depth=1
	v_mov_b32_e32 v11, v7
	s_waitcnt vmcnt(0)
	v_dual_mov_b32 v9, v8 :: v_dual_mov_b32 v10, v3
	s_add_i32 s1, s19, -1
	s_mov_b32 s13, 0
	s_mov_b32 s21, s16
.LBB12_19:                              ;   in Loop: Header=BB12_9 Depth=1
	s_and_not1_b32 vcc_lo, exec_lo, s13
	s_cbranch_vccz .LBB12_23
; %bb.20:                               ;   in Loop: Header=BB12_9 Depth=1
	v_dual_mov_b32 v7, v11 :: v_dual_mov_b32 v8, v9
	s_waitcnt vmcnt(0)
	v_mov_b32_e32 v3, v10
	s_mov_b32 s16, s21
	s_mov_b32 s19, s1
	s_branch .LBB12_9
.LBB12_21:
                                        ; implicit-def: $sgpr16_sgpr17
	s_load_b128 s[8:11], s[0:1], 0x44
	s_branch .LBB12_2
.LBB12_22:
                                        ; implicit-def: $sgpr18_sgpr19
	s_branch .LBB12_5
.LBB12_23:
	v_div_scale_f32 v0, null, v11, v11, v10
	s_waitcnt vmcnt(0)
	s_delay_alu instid0(VALU_DEP_1) | instskip(SKIP_2) | instid1(VALU_DEP_1)
	v_rcp_f32_e32 v3, v0
	s_waitcnt_depctr 0xfff
	v_fma_f32 v4, -v0, v3, 1.0
	v_fmac_f32_e32 v3, v4, v3
	v_div_scale_f32 v4, vcc_lo, v10, v11, v10
	s_delay_alu instid0(VALU_DEP_1) | instskip(NEXT) | instid1(VALU_DEP_1)
	v_mul_f32_e32 v5, v4, v3
	v_fma_f32 v6, -v0, v5, v4
	s_delay_alu instid0(VALU_DEP_1) | instskip(NEXT) | instid1(VALU_DEP_1)
	v_fmac_f32_e32 v5, v6, v3
	v_fma_f32 v0, -v0, v5, v4
	s_delay_alu instid0(VALU_DEP_1) | instskip(NEXT) | instid1(VALU_DEP_1)
	v_div_fmas_f32 v0, v0, v3, v5
	v_div_fixup_f32 v0, v0, v11, v10
	global_store_b32 v[1:2], v0, off
.LBB12_24:
	s_nop 0
	s_sendmsg sendmsg(MSG_DEALLOC_VGPRS)
	s_endpgm
	.section	.rodata,"a",@progbits
	.p2align	6, 0x0
	.amdhsa_kernel _ZL33flash_attn_stream_k_fixup_generalILi512ELi1ELi8EEvPfPK15HIP_vector_typeIfLj2EEiiiiS1_IjLj3EES5_S5_S5_
		.amdhsa_group_segment_fixed_size 0
		.amdhsa_private_segment_fixed_size 0
		.amdhsa_kernarg_size 336
		.amdhsa_user_sgpr_count 13
		.amdhsa_user_sgpr_dispatch_ptr 0
		.amdhsa_user_sgpr_queue_ptr 0
		.amdhsa_user_sgpr_kernarg_segment_ptr 1
		.amdhsa_user_sgpr_dispatch_id 0
		.amdhsa_user_sgpr_private_segment_size 0
		.amdhsa_wavefront_size32 1
		.amdhsa_uses_dynamic_stack 0
		.amdhsa_enable_private_segment 0
		.amdhsa_system_sgpr_workgroup_id_x 1
		.amdhsa_system_sgpr_workgroup_id_y 1
		.amdhsa_system_sgpr_workgroup_id_z 1
		.amdhsa_system_sgpr_workgroup_info 0
		.amdhsa_system_vgpr_workitem_id 0
		.amdhsa_next_free_vgpr 19
		.amdhsa_next_free_sgpr 32
		.amdhsa_reserve_vcc 1
		.amdhsa_float_round_mode_32 0
		.amdhsa_float_round_mode_16_64 0
		.amdhsa_float_denorm_mode_32 3
		.amdhsa_float_denorm_mode_16_64 3
		.amdhsa_dx10_clamp 1
		.amdhsa_ieee_mode 1
		.amdhsa_fp16_overflow 0
		.amdhsa_workgroup_processor_mode 1
		.amdhsa_memory_ordered 1
		.amdhsa_forward_progress 0
		.amdhsa_shared_vgpr_count 0
		.amdhsa_exception_fp_ieee_invalid_op 0
		.amdhsa_exception_fp_denorm_src 0
		.amdhsa_exception_fp_ieee_div_zero 0
		.amdhsa_exception_fp_ieee_overflow 0
		.amdhsa_exception_fp_ieee_underflow 0
		.amdhsa_exception_fp_ieee_inexact 0
		.amdhsa_exception_int_div_zero 0
	.end_amdhsa_kernel
	.section	.text._ZL33flash_attn_stream_k_fixup_generalILi512ELi1ELi8EEvPfPK15HIP_vector_typeIfLj2EEiiiiS1_IjLj3EES5_S5_S5_,"axG",@progbits,_ZL33flash_attn_stream_k_fixup_generalILi512ELi1ELi8EEvPfPK15HIP_vector_typeIfLj2EEiiiiS1_IjLj3EES5_S5_S5_,comdat
.Lfunc_end12:
	.size	_ZL33flash_attn_stream_k_fixup_generalILi512ELi1ELi8EEvPfPK15HIP_vector_typeIfLj2EEiiiiS1_IjLj3EES5_S5_S5_, .Lfunc_end12-_ZL33flash_attn_stream_k_fixup_generalILi512ELi1ELi8EEvPfPK15HIP_vector_typeIfLj2EEiiiiS1_IjLj3EES5_S5_S5_
                                        ; -- End function
	.section	.AMDGPU.csdata,"",@progbits
; Kernel info:
; codeLenInByte = 3200
; NumSgprs: 34
; NumVgprs: 19
; ScratchSize: 0
; MemoryBound: 0
; FloatMode: 240
; IeeeMode: 1
; LDSByteSize: 0 bytes/workgroup (compile time only)
; SGPRBlocks: 4
; VGPRBlocks: 2
; NumSGPRsForWavesPerEU: 34
; NumVGPRsForWavesPerEU: 19
; Occupancy: 16
; WaveLimiterHint : 0
; COMPUTE_PGM_RSRC2:SCRATCH_EN: 0
; COMPUTE_PGM_RSRC2:USER_SGPR: 13
; COMPUTE_PGM_RSRC2:TRAP_HANDLER: 0
; COMPUTE_PGM_RSRC2:TGID_X_EN: 1
; COMPUTE_PGM_RSRC2:TGID_Y_EN: 1
; COMPUTE_PGM_RSRC2:TGID_Z_EN: 1
; COMPUTE_PGM_RSRC2:TIDIG_COMP_CNT: 0
	.section	.text._ZL15flash_attn_tileILi512ELi512ELi8ELi4ELb0EEvPKcS1_S1_S1_S1_PKiPfP15HIP_vector_typeIfLj2EEffffjfiS5_IjLj3EEiiiiiiiiiiiliiliiiiil,"axG",@progbits,_ZL15flash_attn_tileILi512ELi512ELi8ELi4ELb0EEvPKcS1_S1_S1_S1_PKiPfP15HIP_vector_typeIfLj2EEffffjfiS5_IjLj3EEiiiiiiiiiiiliiliiiiil,comdat
	.globl	_ZL15flash_attn_tileILi512ELi512ELi8ELi4ELb0EEvPKcS1_S1_S1_S1_PKiPfP15HIP_vector_typeIfLj2EEffffjfiS5_IjLj3EEiiiiiiiiiiiliiliiiiil ; -- Begin function _ZL15flash_attn_tileILi512ELi512ELi8ELi4ELb0EEvPKcS1_S1_S1_S1_PKiPfP15HIP_vector_typeIfLj2EEffffjfiS5_IjLj3EEiiiiiiiiiiiliiliiiiil
	.p2align	8
	.type	_ZL15flash_attn_tileILi512ELi512ELi8ELi4ELb0EEvPKcS1_S1_S1_S1_PKiPfP15HIP_vector_typeIfLj2EEffffjfiS5_IjLj3EEiiiiiiiiiiiliiliiiiil,@function
_ZL15flash_attn_tileILi512ELi512ELi8ELi4ELb0EEvPKcS1_S1_S1_S1_PKiPfP15HIP_vector_typeIfLj2EEffffjfiS5_IjLj3EEiiiiiiiiiiiliiliiiiil: ; @_ZL15flash_attn_tileILi512ELi512ELi8ELi4ELb0EEvPKcS1_S1_S1_S1_PKiPfP15HIP_vector_typeIfLj2EEffffjfiS5_IjLj3EEiiiiiiiiiiiliiliiiiil
; %bb.0:
	s_clause 0x3
	s_load_b128 s[4:7], s[0:1], 0x5c
	s_load_b64 s[34:35], s[0:1], 0x80
	s_load_b512 s[16:31], s[0:1], 0x0
	s_load_b64 s[38:39], s[0:1], 0xb8
	s_mov_b64 s[36:37], 0
	s_waitcnt lgkmcnt(0)
	s_ashr_i32 s2, s7, 31
	s_delay_alu instid0(SALU_CYCLE_1) | instskip(NEXT) | instid1(SALU_CYCLE_1)
	s_lshr_b32 s2, s2, 30
	s_add_i32 s2, s7, s2
	s_delay_alu instid0(SALU_CYCLE_1) | instskip(NEXT) | instid1(SALU_CYCLE_1)
	s_ashr_i32 s2, s2, 2
	v_cvt_f32_u32_e32 v1, s2
	s_sub_i32 s8, 0, s2
	s_delay_alu instid0(VALU_DEP_1) | instskip(SKIP_2) | instid1(VALU_DEP_1)
	v_rcp_iflag_f32_e32 v1, v1
	s_waitcnt_depctr 0xfff
	v_mul_f32_e32 v1, 0x4f7ffffe, v1
	v_cvt_u32_f32_e32 v1, v1
	s_delay_alu instid0(VALU_DEP_1) | instskip(NEXT) | instid1(VALU_DEP_1)
	v_readfirstlane_b32 s3, v1
	s_mul_i32 s8, s8, s3
	s_delay_alu instid0(SALU_CYCLE_1) | instskip(NEXT) | instid1(SALU_CYCLE_1)
	s_mul_hi_u32 s8, s3, s8
	s_add_i32 s3, s3, s8
	s_delay_alu instid0(SALU_CYCLE_1) | instskip(NEXT) | instid1(SALU_CYCLE_1)
	s_mul_hi_u32 s3, s15, s3
	s_mul_i32 s8, s3, s2
	s_add_i32 s9, s3, 1
	s_sub_i32 s8, s15, s8
	s_delay_alu instid0(SALU_CYCLE_1)
	s_sub_i32 s10, s8, s2
	s_cmp_ge_u32 s8, s2
	s_cselect_b32 s3, s9, s3
	s_cselect_b32 s8, s10, s8
	s_add_i32 s9, s3, 1
	s_cmp_ge_u32 s8, s2
	s_cselect_b32 s12, s9, s3
	s_abs_i32 s3, s35
	s_abs_i32 s11, s7
	v_cvt_f32_u32_e32 v1, s3
	s_sub_i32 s8, 0, s3
	s_lshl_b32 s9, s15, 2
	s_mul_i32 s10, s12, s7
	s_delay_alu instid0(VALU_DEP_1) | instskip(SKIP_2) | instid1(VALU_DEP_1)
	v_rcp_iflag_f32_e32 v1, v1
	s_waitcnt_depctr 0xfff
	v_mul_f32_e32 v1, 0x4f7ffffe, v1
	v_cvt_u32_f32_e32 v1, v1
	s_delay_alu instid0(VALU_DEP_1) | instskip(NEXT) | instid1(VALU_DEP_1)
	v_readfirstlane_b32 s2, v1
	s_mul_i32 s8, s8, s2
	s_delay_alu instid0(SALU_CYCLE_1) | instskip(NEXT) | instid1(SALU_CYCLE_1)
	s_mul_hi_u32 s8, s2, s8
	s_add_i32 s8, s2, s8
	s_sub_i32 s2, s9, s10
	s_mul_hi_u32 s8, s11, s8
	s_xor_b32 s9, s7, s35
	s_mul_i32 s10, s8, s3
	s_ashr_i32 s9, s9, 31
	s_sub_i32 s10, s11, s10
	s_add_i32 s11, s8, 1
	s_sub_i32 s15, s10, s3
	s_cmp_ge_u32 s10, s3
	s_cselect_b32 s8, s11, s8
	s_cselect_b32 s10, s15, s10
	s_add_i32 s11, s8, 1
	s_cmp_ge_u32 s10, s3
	s_cselect_b32 s3, s11, s8
	s_delay_alu instid0(SALU_CYCLE_1) | instskip(NEXT) | instid1(SALU_CYCLE_1)
	s_xor_b32 s3, s3, s9
	s_sub_i32 s33, s3, s9
	s_delay_alu instid0(SALU_CYCLE_1) | instskip(SKIP_2) | instid1(VALU_DEP_1)
	s_abs_i32 s15, s33
	s_cmp_eq_u64 s[22:23], 0
	v_cvt_f32_u32_e32 v1, s15
	v_rcp_iflag_f32_e32 v1, v1
	s_waitcnt_depctr 0xfff
	v_mul_f32_e32 v1, 0x4f7ffffe, v1
	s_delay_alu instid0(VALU_DEP_1) | instskip(NEXT) | instid1(VALU_DEP_1)
	v_cvt_u32_f32_e32 v1, v1
	v_readfirstlane_b32 s35, v1
	s_cbranch_scc1 .LBB13_2
; %bb.1:
	s_abs_i32 s3, s38
	s_abs_i32 s10, s12
	v_cvt_f32_u32_e32 v1, s3
	s_sub_i32 s9, 0, s3
	s_delay_alu instid0(VALU_DEP_1) | instskip(SKIP_2) | instid1(VALU_DEP_1)
	v_rcp_iflag_f32_e32 v1, v1
	s_waitcnt_depctr 0xfff
	v_mul_f32_e32 v1, 0x4f7ffffe, v1
	v_cvt_u32_f32_e32 v1, v1
	s_delay_alu instid0(VALU_DEP_1) | instskip(NEXT) | instid1(VALU_DEP_1)
	v_readfirstlane_b32 s8, v1
	s_mul_i32 s9, s9, s8
	s_delay_alu instid0(SALU_CYCLE_1) | instskip(NEXT) | instid1(SALU_CYCLE_1)
	s_mul_hi_u32 s9, s8, s9
	s_add_i32 s11, s8, s9
	s_load_b64 s[8:9], s[0:1], 0xc8
	s_mul_hi_u32 s11, s10, s11
	s_delay_alu instid0(SALU_CYCLE_1) | instskip(NEXT) | instid1(SALU_CYCLE_1)
	s_mul_i32 s11, s11, s3
	s_sub_i32 s10, s10, s11
	s_ashr_i32 s11, s12, 31
	s_sub_i32 s36, s10, s3
	s_cmp_ge_u32 s10, s3
	s_cselect_b32 s10, s36, s10
	s_delay_alu instid0(SALU_CYCLE_1) | instskip(SKIP_2) | instid1(SALU_CYCLE_1)
	s_sub_i32 s36, s10, s3
	s_cmp_ge_u32 s10, s3
	s_cselect_b32 s3, s36, s10
	s_xor_b32 s3, s3, s11
	s_delay_alu instid0(SALU_CYCLE_1)
	s_sub_i32 s3, s3, s11
	s_waitcnt lgkmcnt(0)
	s_mul_i32 s9, s3, s9
	s_mul_hi_u32 s10, s3, s8
	s_ashr_i32 s11, s3, 31
	s_add_i32 s9, s10, s9
	s_mul_i32 s11, s11, s8
	s_mul_i32 s3, s3, s8
	s_add_i32 s9, s9, s11
	s_add_u32 s36, s22, s3
	s_addc_u32 s37, s23, s9
.LBB13_2:
	v_bfe_u32 v4, v0, 10, 10
	s_load_b128 s[8:11], s[0:1], 0x70
	v_and_b32_e32 v17, 0x3ff, v0
	s_delay_alu instid0(VALU_DEP_2) | instskip(NEXT) | instid1(VALU_DEP_1)
	v_lshl_add_u32 v16, s13, 3, v4
	v_mul_hi_u32 v1, s4, v16
	s_delay_alu instid0(VALU_DEP_1) | instskip(SKIP_3) | instid1(VALU_DEP_1)
	v_add_nc_u32_e32 v1, v16, v1
	s_waitcnt lgkmcnt(0)
	s_mul_i32 s3, s12, s10
	s_mul_i32 s4, s2, s9
	v_lshrrev_b32_e32 v1, s5, v1
	s_ashr_i32 s5, s3, 31
	s_add_u32 s3, s16, s3
	s_addc_u32 s5, s17, s5
	s_ashr_i32 s10, s4, 31
	v_mul_lo_u32 v1, v1, s6
	s_add_u32 s3, s3, s4
	s_addc_u32 s4, s5, s10
	s_ashr_i32 s5, s8, 31
	s_delay_alu instid0(SALU_CYCLE_1) | instskip(SKIP_1) | instid1(VALU_DEP_2)
	v_alignbit_b32 v3, s5, s8, 2
	s_lshr_b32 s5, s5, 2
	v_sub_nc_u32_e32 v5, v16, v1
	s_delay_alu instid0(VALU_DEP_1) | instskip(NEXT) | instid1(VALU_DEP_1)
	v_mad_u64_u32 v[1:2], null, v3, v5, 0
	v_mad_u64_u32 v[6:7], null, s5, v5, v[2:3]
	s_ashr_i32 s5, s9, 31
	s_delay_alu instid0(SALU_CYCLE_1) | instskip(NEXT) | instid1(VALU_DEP_2)
	v_alignbit_b32 v32, s5, s9, 2
	v_mov_b32_e32 v2, v6
	s_delay_alu instid0(VALU_DEP_1) | instskip(SKIP_1) | instid1(VALU_DEP_2)
	v_lshlrev_b64 v[0:1], 2, v[1:2]
	v_lshlrev_b32_e32 v2, 4, v17
	v_add_co_u32 v0, vcc_lo, s3, v0
	s_delay_alu instid0(VALU_DEP_3) | instskip(SKIP_1) | instid1(VALU_DEP_2)
	v_add_co_ci_u32_e32 v1, vcc_lo, s4, v1, vcc_lo
	s_mov_b32 s4, s9
	v_add_co_u32 v14, vcc_lo, v0, v2
	s_delay_alu instid0(VALU_DEP_2) | instskip(SKIP_2) | instid1(VALU_DEP_2)
	v_add_co_ci_u32_e32 v15, vcc_lo, 0, v1, vcc_lo
	s_and_b32 s3, s9, -4
	s_lshr_b64 s[10:11], s[4:5], 2
	v_add_co_u32 v30, vcc_lo, v14, s3
	s_lshl_b64 s[10:11], s[10:11], 3
	v_add_co_ci_u32_e32 v31, vcc_lo, s5, v15, vcc_lo
	v_add_co_u32 v53, vcc_lo, v14, s10
	v_add_co_ci_u32_e32 v54, vcc_lo, s11, v15, vcc_lo
	s_clause 0x8
	global_load_b128 v[0:3], v[14:15], off
	global_load_b128 v[6:9], v[14:15], off offset:512
	global_load_b128 v[10:13], v[14:15], off offset:1024
	;; [unrolled: 1-line block ×3, first 2 shown]
	global_load_b128 v[22:25], v[30:31], off
	global_load_b128 v[26:29], v[30:31], off offset:512
	global_load_b128 v[33:36], v[30:31], off offset:1024
	;; [unrolled: 1-line block ×3, first 2 shown]
	global_load_b128 v[41:44], v[53:54], off
	v_mad_u64_u32 v[30:31], null, v32, 12, v[14:15]
	s_lshr_b32 s3, s5, 2
	s_clause 0x2
	global_load_b128 v[45:48], v[53:54], off offset:512
	global_load_b128 v[49:52], v[53:54], off offset:1024
	;; [unrolled: 1-line block ×3, first 2 shown]
	s_mov_b32 s5, 0
	s_cmp_eq_u64 s[26:27], 0
	v_mov_b32_e32 v14, v31
	s_delay_alu instid0(VALU_DEP_1)
	v_mad_u64_u32 v[31:32], null, s3, 12, v[14:15]
	s_clause 0x3
	global_load_b128 v[57:60], v[30:31], off
	global_load_b128 v[61:64], v[30:31], off offset:512
	global_load_b128 v[65:68], v[30:31], off offset:1024
	;; [unrolled: 1-line block ×3, first 2 shown]
	s_load_b32 s3, s[0:1], 0x40
	v_lshlrev_b32_e32 v32, 12, v4
	s_delay_alu instid0(VALU_DEP_1) | instskip(NEXT) | instid1(VALU_DEP_1)
	v_lshl_or_b32 v77, v17, 3, v32
	v_add_nc_u32_e32 v78, 0x800, v77
	s_waitcnt vmcnt(14) lgkmcnt(0)
	v_fma_mixlo_f16 v30, v6, s3, 0
	v_fma_mixlo_f16 v14, v0, s3, 0
	;; [unrolled: 1-line block ×4, first 2 shown]
	s_waitcnt vmcnt(11)
	v_fma_mixlo_f16 v0, v22, s3, 0
	s_waitcnt vmcnt(10)
	v_fma_mixlo_f16 v2, v26, s3, 0
	v_fma_mixhi_f16 v14, v1, s3, 0
	v_fma_mixhi_f16 v15, v3, s3, 0
	v_fma_mixlo_f16 v1, v24, s3, 0
	v_fma_mixlo_f16 v3, v28, s3, 0
	;; [unrolled: 1-line block ×6, first 2 shown]
	v_fma_mixhi_f16 v31, v9, s3, 0
	v_fma_mixhi_f16 v30, v7, s3, 0
	;; [unrolled: 1-line block ×10, first 2 shown]
	s_waitcnt vmcnt(9)
	v_fma_mixlo_f16 v6, v33, s3, 0
	v_fma_mixlo_f16 v7, v35, s3, 0
	s_waitcnt vmcnt(8)
	v_fma_mixlo_f16 v8, v37, s3, 0
	v_fma_mixlo_f16 v9, v39, s3, 0
	;; [unrolled: 3-line block ×6, first 2 shown]
	ds_store_2addr_b64 v77, v[14:15], v[30:31] offset1:32
	ds_store_2addr_b64 v77, v[73:74], v[75:76] offset0:64 offset1:96
	ds_store_2addr_b64 v77, v[0:1], v[2:3] offset0:128 offset1:160
	s_waitcnt vmcnt(3)
	v_fma_mixlo_f16 v0, v57, s3, 0
	v_fma_mixlo_f16 v1, v59, s3, 0
	s_waitcnt vmcnt(2)
	v_fma_mixlo_f16 v2, v61, s3, 0
	v_fma_mixlo_f16 v3, v63, s3, 0
	;; [unrolled: 3-line block ×4, first 2 shown]
	v_fma_mixhi_f16 v7, v36, s3, 0
	v_fma_mixhi_f16 v6, v34, s3, 0
	;; [unrolled: 1-line block ×20, first 2 shown]
	ds_store_2addr_b64 v77, v[6:7], v[8:9] offset0:192 offset1:224
	ds_store_2addr_b64 v78, v[10:11], v[12:13] offset1:32
	ds_store_2addr_b64 v78, v[18:19], v[20:21] offset0:64 offset1:96
	ds_store_2addr_b64 v78, v[0:1], v[2:3] offset0:128 offset1:160
	;; [unrolled: 1-line block ×3, first 2 shown]
	s_waitcnt lgkmcnt(0)
	s_barrier
	buffer_gl0_inv
	s_cbranch_scc1 .LBB13_4
; %bb.3:
	s_load_b32 s3, s[0:1], 0xd0
	s_waitcnt lgkmcnt(0)
	s_mul_i32 s3, s3, s12
	s_delay_alu instid0(SALU_CYCLE_1) | instskip(NEXT) | instid1(SALU_CYCLE_1)
	s_add_i32 s4, s3, s13
	s_lshl_b64 s[4:5], s[4:5], 2
	s_delay_alu instid0(SALU_CYCLE_1)
	s_add_u32 s4, s26, s4
	s_addc_u32 s5, s27, s5
	s_load_b32 s34, s[4:5], 0x0
.LBB13_4:
	v_lshlrev_b32_e32 v31, 2, v17
	v_mbcnt_lo_u32_b32 v33, -1, 0
	s_lshl_b32 s3, s14, 7
	s_waitcnt lgkmcnt(0)
	s_cmp_lt_i32 s3, s34
	s_cbranch_scc1 .LBB13_6
; %bb.5:
	v_mbcnt_lo_u32_b32 v7, -1, 0
	v_mov_b32_e32 v6, 32
	s_mov_b32 s4, 0
	s_mov_b32 s5, 0xfeffffff
	s_delay_alu instid0(VALU_DEP_2)
	v_xor_b32_e32 v12, 16, v7
	v_xor_b32_e32 v13, 8, v7
	;; [unrolled: 1-line block ×5, first 2 shown]
	s_branch .LBB13_7
.LBB13_6:
	s_mov_b32 s4, -1
                                        ; implicit-def: $sgpr5
                                        ; implicit-def: $vgpr7
                                        ; implicit-def: $vgpr6
                                        ; implicit-def: $vgpr12
                                        ; implicit-def: $vgpr13
                                        ; implicit-def: $vgpr14
                                        ; implicit-def: $vgpr15
                                        ; implicit-def: $vgpr64
.LBB13_7:
	s_delay_alu instid0(SALU_CYCLE_1) | instskip(SKIP_2) | instid1(VALU_DEP_3)
	v_cndmask_b32_e64 v0, 0, 1, s4
	v_dual_mov_b32 v3, s5 :: v_dual_mov_b32 v80, s4
	v_dual_mov_b32 v72, s4 :: v_dual_mov_b32 v1, s5
	v_cmp_ne_u32_e32 vcc_lo, 1, v0
	v_dual_mov_b32 v2, s5 :: v_dual_mov_b32 v81, s4
	v_dual_mov_b32 v0, s5 :: v_dual_mov_b32 v83, s4
	;; [unrolled: 1-line block ×17, first 2 shown]
	v_mov_b32_e32 v51, s4
	v_mov_b32_e32 v47, s4
	s_cbranch_vccnz .LBB13_16
; %bb.8:
	s_clause 0x1
	s_load_b128 s[8:11], s[0:1], 0x98
	s_load_b64 s[4:5], s[0:1], 0x8c
	s_sub_i32 s13, 0, s15
	s_abs_i32 s22, s2
	s_mul_i32 s13, s13, s35
	s_ashr_i32 s26, s33, 31
	s_mul_hi_u32 s13, s35, s13
	s_ashr_i32 s27, s39, 1
	s_add_i32 s35, s35, s13
	s_ashr_i32 s23, s2, 31
	s_mul_hi_u32 s33, s22, s35
	s_ashr_i32 s35, s12, 31
	s_load_b64 s[16:17], s[0:1], 0xa8
	s_mul_i32 s38, s33, s15
	v_lshrrev_b32_e32 v0, 3, v17
	v_dual_mov_b32 v47, 0 :: v_dual_and_b32 v12, 28, v31
	v_dual_mov_b32 v48, 0 :: v_dual_lshlrev_b32 v11, 10, v4
	s_delay_alu instid0(VALU_DEP_3)
	v_lshl_add_u32 v1, v4, 2, v0
	s_waitcnt lgkmcnt(0)
	s_mul_i32 s39, s35, s8
	s_ashr_i32 s13, s4, 2
	s_mul_i32 s4, s12, s9
	s_mul_hi_u32 s9, s12, s8
	s_mul_i32 s8, s12, s8
	s_add_i32 s4, s9, s4
	s_ashr_i32 s10, s10, 2
	s_add_i32 s4, s4, s39
	s_add_u32 s8, s18, s8
	s_addc_u32 s4, s19, s4
	s_sub_i32 s18, s22, s38
	s_xor_b32 s9, s23, s26
	s_add_i32 s19, s33, 1
	s_sub_i32 s22, s18, s15
	s_cmp_ge_u32 s18, s15
	s_mul_i32 s17, s12, s17
	s_cselect_b32 s19, s19, s33
	s_cselect_b32 s18, s22, s18
	s_add_i32 s22, s19, 1
	s_cmp_ge_u32 s18, s15
	s_mul_hi_u32 s18, s12, s16
	s_cselect_b32 s15, s22, s19
	s_mul_i32 s35, s35, s16
	s_xor_b32 s15, s15, s9
	s_mul_i32 s19, s12, s16
	s_sub_i32 s9, s15, s9
	v_mul_lo_u32 v0, s13, v1
	s_mul_i32 s5, s9, s5
	s_mul_i32 s9, s9, s11
	s_ashr_i32 s16, s5, 31
	s_add_u32 s15, s8, s5
	s_addc_u32 s16, s4, s16
	s_add_i32 s4, s18, s17
	v_mul_lo_u32 v10, s10, v4
	s_add_i32 s4, s4, s35
	s_add_u32 s5, s20, s19
	s_addc_u32 s4, s21, s4
	s_ashr_i32 s8, s9, 31
	s_add_u32 s11, s5, s9
	s_addc_u32 s17, s4, s8
	s_lshl_b32 s4, s13, 5
	v_dual_mov_b32 v90, 0xfeffffff :: v_dual_lshlrev_b32 v3, 2, v12
	v_dual_mov_b32 v51, 0 :: v_dual_add_nc_u32 v2, s4, v0
	v_dual_mov_b32 v59, 0 :: v_dual_lshlrev_b32 v38, 2, v31
	s_delay_alu instid0(VALU_DEP_3) | instskip(NEXT) | instid1(VALU_DEP_3)
	v_mad_u32_u24 v9, 0x90, v1, v3
	v_dual_mov_b32 v49, 0 :: v_dual_add_nc_u32 v6, s4, v2
	v_mad_u64_u32 v[18:19], null, v5, s27, v[17:18]
	s_delay_alu instid0(VALU_DEP_4) | instskip(NEXT) | instid1(VALU_DEP_3)
	v_dual_mov_b32 v54, 0 :: v_dual_add_nc_u32 v5, v11, v38
	v_dual_mov_b32 v57, 0 :: v_dual_add_nc_u32 v8, s4, v6
	v_lshl_add_u32 v13, v4, 10, v38
	v_lshl_add_u32 v4, s10, 3, v10
	v_dual_mov_b32 v53, 0 :: v_dual_add_nc_u32 v34, 0x8000, v9
	v_ashrrev_i32_e32 v1, 31, v0
	v_dual_mov_b32 v52, 0 :: v_dual_add_nc_u32 v35, 0x9200, v9
	v_ashrrev_i32_e32 v3, 31, v2
	;; [unrolled: 2-line block ×4, first 2 shown]
	v_dual_mov_b32 v55, 0 :: v_dual_add_nc_u32 v40, 0xc800, v11
	v_dual_mov_b32 v65, 0 :: v_dual_add_nc_u32 v42, 0x8000, v5
	v_ashrrev_i32_e32 v11, 31, v10
	v_dual_mov_b32 v60, 0 :: v_dual_add_nc_u32 v43, 0x8200, v5
	v_ashrrev_i32_e32 v5, 31, v4
	v_lshlrev_b64 v[19:20], 2, v[0:1]
	v_lshlrev_b64 v[21:22], 2, v[2:3]
	v_lshlrev_b64 v[23:24], 2, v[6:7]
	v_lshlrev_b64 v[25:26], 2, v[8:9]
	v_lshlrev_b64 v[27:28], 2, v[10:11]
	v_lshlrev_b64 v[29:30], 2, v[4:5]
	v_mul_u32_u24_e32 v39, 0x90, v17
	v_dual_mov_b32 v56, 0 :: v_dual_lshlrev_b32 v41, 3, v17
	v_dual_mov_b32 v69, 0 :: v_dual_add_nc_u32 v44, 0xa000, v13
	v_dual_mov_b32 v58, 0 :: v_dual_add_nc_u32 v45, 0xa200, v13
	v_dual_mov_b32 v67, 0 :: v_dual_lshlrev_b32 v46, 2, v12
	v_dual_mov_b32 v62, 0 :: v_dual_mov_b32 v71, 0
	v_dual_mov_b32 v66, 0 :: v_dual_mov_b32 v63, 0
	;; [unrolled: 1-line block ×10, first 2 shown]
	v_mov_b32_e32 v86, 0
	s_add_u32 s4, s0, 0xd0
	s_addc_u32 s5, s1, 0
	s_mov_b32 s9, 0
.LBB13_9:                               ; =>This Loop Header: Depth=1
                                        ;     Child Loop BB13_11 Depth 2
	s_mul_hi_i32 s19, s3, s13
	s_mul_i32 s18, s3, s13
	v_dual_mov_b32 v80, 0 :: v_dual_mov_b32 v81, 0
	s_lshl_b64 s[18:19], s[18:19], 2
	v_dual_mov_b32 v82, 0 :: v_dual_mov_b32 v95, 0
	v_dual_mov_b32 v64, 0 :: v_dual_mov_b32 v101, 0
	;; [unrolled: 1-line block ×6, first 2 shown]
	v_mov_b32_e32 v100, 0
	v_mov_b32_e32 v94, 0
	s_add_u32 s18, s15, s18
	s_addc_u32 s19, s16, s19
	s_mov_b32 s20, s9
	s_branch .LBB13_11
.LBB13_10:                              ;   in Loop: Header=BB13_11 Depth=2
	s_and_b32 vcc_lo, exec_lo, s8
	s_addk_i32 s20, 0x100
	s_cbranch_vccnz .LBB13_13
.LBB13_11:                              ;   Parent Loop BB13_9 Depth=1
                                        ; =>  This Inner Loop Header: Depth=2
	s_lshr_b32 s8, s20, 1
	s_delay_alu instid0(SALU_CYCLE_1) | instskip(NEXT) | instid1(SALU_CYCLE_1)
	s_lshl_b64 s[22:23], s[8:9], 2
	s_add_u32 s8, s18, s22
	s_addc_u32 s21, s19, s23
	v_add_co_u32 v0, vcc_lo, s8, v19
	v_add_co_ci_u32_e32 v1, vcc_lo, s21, v20, vcc_lo
	v_add_co_u32 v2, vcc_lo, s8, v21
	v_add_co_ci_u32_e32 v3, vcc_lo, s21, v22, vcc_lo
	s_delay_alu instid0(VALU_DEP_4) | instskip(NEXT) | instid1(VALU_DEP_4)
	v_add_co_u32 v0, vcc_lo, v0, v46
	v_add_co_ci_u32_e32 v1, vcc_lo, 0, v1, vcc_lo
	s_delay_alu instid0(VALU_DEP_4) | instskip(NEXT) | instid1(VALU_DEP_4)
	v_add_co_u32 v2, vcc_lo, v2, v46
	v_add_co_ci_u32_e32 v3, vcc_lo, 0, v3, vcc_lo
	v_add_co_u32 v4, vcc_lo, s8, v23
	v_add_co_ci_u32_e32 v5, vcc_lo, s21, v24, vcc_lo
	;; [unrolled: 2-line block ×3, first 2 shown]
	s_delay_alu instid0(VALU_DEP_4) | instskip(NEXT) | instid1(VALU_DEP_4)
	v_add_co_u32 v4, vcc_lo, v4, v46
	v_add_co_ci_u32_e32 v5, vcc_lo, 0, v5, vcc_lo
	s_delay_alu instid0(VALU_DEP_4) | instskip(NEXT) | instid1(VALU_DEP_4)
	v_add_co_u32 v6, vcc_lo, v6, v46
	v_add_co_ci_u32_e32 v7, vcc_lo, 0, v7, vcc_lo
	s_clause 0x3
	global_load_b128 v[9:12], v[0:1], off
	global_load_b128 v[103:106], v[2:3], off
	;; [unrolled: 1-line block ×4, first 2 shown]
	s_lshl_b32 s8, s20, 1
	s_or_b32 s21, s20, 0xc0
	v_add_nc_u32_e32 v8, s8, v32
	s_waitcnt vmcnt(3)
	ds_store_b128 v34, v[9:12]
	s_waitcnt vmcnt(2)
	ds_store_b128 v35, v[103:106]
	;; [unrolled: 2-line block ×4, first 2 shown]
	s_waitcnt lgkmcnt(0)
	s_barrier
	buffer_gl0_inv
	ds_load_b128 v[9:12], v39 offset:32768
	ds_load_b128 v[103:106], v8
	ds_load_b128 v[107:110], v8 offset:1024
	ds_load_b128 v[111:114], v8 offset:2048
	;; [unrolled: 1-line block ×6, first 2 shown]
	s_waitcnt lgkmcnt(6)
	;;#ASMSTART
	v_dot2_f32_f16 v80, v9, v103, v80
	;;#ASMEND
	;;#ASMSTART
	v_dot2_f32_f16 v80, v10, v104, v80
	;;#ASMEND
	;;#ASMSTART
	v_dot2_f32_f16 v80, v11, v105, v80
	;;#ASMEND
	;;#ASMSTART
	v_dot2_f32_f16 v80, v12, v106, v80
	;;#ASMEND
	s_waitcnt lgkmcnt(5)
	;;#ASMSTART
	v_dot2_f32_f16 v82, v9, v107, v82
	;;#ASMEND
	;;#ASMSTART
	v_dot2_f32_f16 v82, v10, v108, v82
	;;#ASMEND
	;;#ASMSTART
	v_dot2_f32_f16 v82, v11, v109, v82
	;;#ASMEND
	;;#ASMSTART
	v_dot2_f32_f16 v82, v12, v110, v82
	;;#ASMEND
	;; [unrolled: 13-line block ×5, first 2 shown]
	;;#ASMSTART
	v_dot2_f32_f16 v96, v119, v107, v96
	;;#ASMEND
	;;#ASMSTART
	v_dot2_f32_f16 v96, v120, v108, v96
	;;#ASMEND
	;; [unrolled: 3-line block ×12, first 2 shown]
	s_waitcnt lgkmcnt(1)
	;;#ASMSTART
	v_dot2_f32_f16 v102, v123, v103, v102
	;;#ASMEND
	;;#ASMSTART
	v_dot2_f32_f16 v102, v124, v104, v102
	;;#ASMEND
	;;#ASMSTART
	v_dot2_f32_f16 v102, v125, v105, v102
	;;#ASMEND
	;;#ASMSTART
	v_dot2_f32_f16 v102, v126, v106, v102
	;;#ASMEND
	;;#ASMSTART
	v_dot2_f32_f16 v101, v123, v107, v101
	;;#ASMEND
	;;#ASMSTART
	v_dot2_f32_f16 v101, v124, v108, v101
	;;#ASMEND
	;;#ASMSTART
	v_dot2_f32_f16 v101, v125, v109, v101
	;;#ASMEND
	;;#ASMSTART
	v_dot2_f32_f16 v101, v126, v110, v101
	;;#ASMEND
	;;#ASMSTART
	v_dot2_f32_f16 v100, v123, v111, v100
	;;#ASMEND
	;;#ASMSTART
	v_dot2_f32_f16 v100, v124, v112, v100
	;;#ASMEND
	;;#ASMSTART
	v_dot2_f32_f16 v100, v125, v113, v100
	;;#ASMEND
	;;#ASMSTART
	v_dot2_f32_f16 v100, v126, v114, v100
	;;#ASMEND
	;;#ASMSTART
	v_dot2_f32_f16 v99, v123, v115, v99
	;;#ASMEND
	;;#ASMSTART
	v_dot2_f32_f16 v99, v124, v116, v99
	;;#ASMEND
	;;#ASMSTART
	v_dot2_f32_f16 v99, v125, v117, v99
	;;#ASMEND
	;;#ASMSTART
	v_dot2_f32_f16 v99, v126, v118, v99
	;;#ASMEND
	s_waitcnt lgkmcnt(0)
	;;#ASMSTART
	v_dot2_f32_f16 v89, v127, v103, v89
	;;#ASMEND
	;;#ASMSTART
	v_dot2_f32_f16 v89, v128, v104, v89
	;;#ASMEND
	;; [unrolled: 3-line block ×16, first 2 shown]
	ds_load_b128 v[9:12], v39 offset:32784
	ds_load_b128 v[103:106], v8 offset:16
	;; [unrolled: 1-line block ×8, first 2 shown]
	s_waitcnt lgkmcnt(6)
	;;#ASMSTART
	v_dot2_f32_f16 v80, v9, v103, v80
	;;#ASMEND
	;;#ASMSTART
	v_dot2_f32_f16 v80, v10, v104, v80
	;;#ASMEND
	;;#ASMSTART
	v_dot2_f32_f16 v80, v11, v105, v80
	;;#ASMEND
	;;#ASMSTART
	v_dot2_f32_f16 v80, v12, v106, v80
	;;#ASMEND
	s_waitcnt lgkmcnt(5)
	;;#ASMSTART
	v_dot2_f32_f16 v82, v9, v107, v82
	;;#ASMEND
	;;#ASMSTART
	v_dot2_f32_f16 v82, v10, v108, v82
	;;#ASMEND
	;;#ASMSTART
	v_dot2_f32_f16 v82, v11, v109, v82
	;;#ASMEND
	;;#ASMSTART
	v_dot2_f32_f16 v82, v12, v110, v82
	;;#ASMEND
	;; [unrolled: 13-line block ×5, first 2 shown]
	;;#ASMSTART
	v_dot2_f32_f16 v96, v119, v107, v96
	;;#ASMEND
	;;#ASMSTART
	v_dot2_f32_f16 v96, v120, v108, v96
	;;#ASMEND
	;; [unrolled: 3-line block ×12, first 2 shown]
	s_waitcnt lgkmcnt(1)
	;;#ASMSTART
	v_dot2_f32_f16 v102, v123, v103, v102
	;;#ASMEND
	;;#ASMSTART
	v_dot2_f32_f16 v102, v124, v104, v102
	;;#ASMEND
	;; [unrolled: 3-line block ×16, first 2 shown]
	s_waitcnt lgkmcnt(0)
	;;#ASMSTART
	v_dot2_f32_f16 v89, v127, v103, v89
	;;#ASMEND
	;;#ASMSTART
	v_dot2_f32_f16 v89, v128, v104, v89
	;;#ASMEND
	;; [unrolled: 3-line block ×16, first 2 shown]
	ds_load_b128 v[9:12], v39 offset:32800
	ds_load_b128 v[103:106], v8 offset:32
	;; [unrolled: 1-line block ×8, first 2 shown]
	s_waitcnt lgkmcnt(6)
	;;#ASMSTART
	v_dot2_f32_f16 v80, v9, v103, v80
	;;#ASMEND
	;;#ASMSTART
	v_dot2_f32_f16 v80, v10, v104, v80
	;;#ASMEND
	;;#ASMSTART
	v_dot2_f32_f16 v80, v11, v105, v80
	;;#ASMEND
	;;#ASMSTART
	v_dot2_f32_f16 v80, v12, v106, v80
	;;#ASMEND
	s_waitcnt lgkmcnt(5)
	;;#ASMSTART
	v_dot2_f32_f16 v82, v9, v107, v82
	;;#ASMEND
	;;#ASMSTART
	v_dot2_f32_f16 v82, v10, v108, v82
	;;#ASMEND
	;;#ASMSTART
	v_dot2_f32_f16 v82, v11, v109, v82
	;;#ASMEND
	;;#ASMSTART
	v_dot2_f32_f16 v82, v12, v110, v82
	;;#ASMEND
	;; [unrolled: 13-line block ×5, first 2 shown]
	;;#ASMSTART
	v_dot2_f32_f16 v96, v119, v107, v96
	;;#ASMEND
	;;#ASMSTART
	v_dot2_f32_f16 v96, v120, v108, v96
	;;#ASMEND
	;; [unrolled: 3-line block ×12, first 2 shown]
	s_waitcnt lgkmcnt(1)
	;;#ASMSTART
	v_dot2_f32_f16 v102, v123, v103, v102
	;;#ASMEND
	;;#ASMSTART
	v_dot2_f32_f16 v102, v124, v104, v102
	;;#ASMEND
	;; [unrolled: 3-line block ×16, first 2 shown]
	s_waitcnt lgkmcnt(0)
	;;#ASMSTART
	v_dot2_f32_f16 v89, v127, v103, v89
	;;#ASMEND
	;;#ASMSTART
	v_dot2_f32_f16 v89, v128, v104, v89
	;;#ASMEND
	;; [unrolled: 3-line block ×16, first 2 shown]
	ds_load_b128 v[9:12], v39 offset:32816
	ds_load_b128 v[103:106], v8 offset:48
	;; [unrolled: 1-line block ×8, first 2 shown]
	s_waitcnt lgkmcnt(6)
	;;#ASMSTART
	v_dot2_f32_f16 v80, v9, v103, v80
	;;#ASMEND
	;;#ASMSTART
	v_dot2_f32_f16 v80, v10, v104, v80
	;;#ASMEND
	;;#ASMSTART
	v_dot2_f32_f16 v80, v11, v105, v80
	;;#ASMEND
	;;#ASMSTART
	v_dot2_f32_f16 v80, v12, v106, v80
	;;#ASMEND
	s_waitcnt lgkmcnt(5)
	;;#ASMSTART
	v_dot2_f32_f16 v82, v9, v107, v82
	;;#ASMEND
	;;#ASMSTART
	v_dot2_f32_f16 v82, v10, v108, v82
	;;#ASMEND
	;;#ASMSTART
	v_dot2_f32_f16 v82, v11, v109, v82
	;;#ASMEND
	;;#ASMSTART
	v_dot2_f32_f16 v82, v12, v110, v82
	;;#ASMEND
	s_waitcnt lgkmcnt(4)
	;;#ASMSTART
	v_dot2_f32_f16 v64, v9, v111, v64
	;;#ASMEND
	;;#ASMSTART
	v_dot2_f32_f16 v64, v10, v112, v64
	;;#ASMEND
	;;#ASMSTART
	v_dot2_f32_f16 v64, v11, v113, v64
	;;#ASMEND
	;;#ASMSTART
	v_dot2_f32_f16 v64, v12, v114, v64
	;;#ASMEND
	s_waitcnt lgkmcnt(3)
	;;#ASMSTART
	v_dot2_f32_f16 v81, v9, v115, v81
	;;#ASMEND
	;;#ASMSTART
	v_dot2_f32_f16 v81, v10, v116, v81
	;;#ASMEND
	;;#ASMSTART
	v_dot2_f32_f16 v81, v11, v117, v81
	;;#ASMEND
	;;#ASMSTART
	v_dot2_f32_f16 v81, v12, v118, v81
	;;#ASMEND
	s_waitcnt lgkmcnt(2)
	;;#ASMSTART
	v_dot2_f32_f16 v98, v119, v103, v98
	;;#ASMEND
	;;#ASMSTART
	v_dot2_f32_f16 v98, v120, v104, v98
	;;#ASMEND
	;;#ASMSTART
	v_dot2_f32_f16 v98, v121, v105, v98
	;;#ASMEND
	;;#ASMSTART
	v_dot2_f32_f16 v98, v122, v106, v98
	;;#ASMEND
	;;#ASMSTART
	v_dot2_f32_f16 v96, v119, v107, v96
	;;#ASMEND
	;;#ASMSTART
	v_dot2_f32_f16 v96, v120, v108, v96
	;;#ASMEND
	;; [unrolled: 3-line block ×12, first 2 shown]
	s_waitcnt lgkmcnt(1)
	;;#ASMSTART
	v_dot2_f32_f16 v102, v123, v103, v102
	;;#ASMEND
	;;#ASMSTART
	v_dot2_f32_f16 v102, v124, v104, v102
	;;#ASMEND
	;; [unrolled: 3-line block ×16, first 2 shown]
	s_waitcnt lgkmcnt(0)
	;;#ASMSTART
	v_dot2_f32_f16 v89, v127, v103, v89
	;;#ASMEND
	;;#ASMSTART
	v_dot2_f32_f16 v89, v128, v104, v89
	;;#ASMEND
	;;#ASMSTART
	v_dot2_f32_f16 v89, v129, v105, v89
	;;#ASMEND
	;;#ASMSTART
	v_dot2_f32_f16 v89, v130, v106, v89
	;;#ASMEND
	;;#ASMSTART
	v_dot2_f32_f16 v97, v127, v107, v97
	;;#ASMEND
	;;#ASMSTART
	v_dot2_f32_f16 v97, v128, v108, v97
	;;#ASMEND
	;;#ASMSTART
	v_dot2_f32_f16 v97, v129, v109, v97
	;;#ASMEND
	;;#ASMSTART
	v_dot2_f32_f16 v97, v130, v110, v97
	;;#ASMEND
	;;#ASMSTART
	v_dot2_f32_f16 v83, v127, v111, v83
	;;#ASMEND
	;;#ASMSTART
	v_dot2_f32_f16 v83, v128, v112, v83
	;;#ASMEND
	;;#ASMSTART
	v_dot2_f32_f16 v83, v129, v113, v83
	;;#ASMEND
	;;#ASMSTART
	v_dot2_f32_f16 v83, v130, v114, v83
	;;#ASMEND
	;;#ASMSTART
	v_dot2_f32_f16 v94, v127, v115, v94
	;;#ASMEND
	;;#ASMSTART
	v_dot2_f32_f16 v94, v128, v116, v94
	;;#ASMEND
	;;#ASMSTART
	v_dot2_f32_f16 v94, v129, v117, v94
	;;#ASMEND
	;;#ASMSTART
	v_dot2_f32_f16 v94, v130, v118, v94
	;;#ASMEND
	ds_load_b128 v[9:12], v39 offset:32832
	ds_load_b128 v[103:106], v8 offset:64
	;; [unrolled: 1-line block ×8, first 2 shown]
	s_waitcnt lgkmcnt(6)
	;;#ASMSTART
	v_dot2_f32_f16 v80, v9, v103, v80
	;;#ASMEND
	;;#ASMSTART
	v_dot2_f32_f16 v80, v10, v104, v80
	;;#ASMEND
	;;#ASMSTART
	v_dot2_f32_f16 v80, v11, v105, v80
	;;#ASMEND
	;;#ASMSTART
	v_dot2_f32_f16 v80, v12, v106, v80
	;;#ASMEND
	s_waitcnt lgkmcnt(5)
	;;#ASMSTART
	v_dot2_f32_f16 v82, v9, v107, v82
	;;#ASMEND
	;;#ASMSTART
	v_dot2_f32_f16 v82, v10, v108, v82
	;;#ASMEND
	;;#ASMSTART
	v_dot2_f32_f16 v82, v11, v109, v82
	;;#ASMEND
	;;#ASMSTART
	v_dot2_f32_f16 v82, v12, v110, v82
	;;#ASMEND
	;; [unrolled: 13-line block ×5, first 2 shown]
	;;#ASMSTART
	v_dot2_f32_f16 v96, v119, v107, v96
	;;#ASMEND
	;;#ASMSTART
	v_dot2_f32_f16 v96, v120, v108, v96
	;;#ASMEND
	;; [unrolled: 3-line block ×12, first 2 shown]
	s_waitcnt lgkmcnt(1)
	;;#ASMSTART
	v_dot2_f32_f16 v102, v123, v103, v102
	;;#ASMEND
	;;#ASMSTART
	v_dot2_f32_f16 v102, v124, v104, v102
	;;#ASMEND
	;; [unrolled: 3-line block ×16, first 2 shown]
	s_waitcnt lgkmcnt(0)
	;;#ASMSTART
	v_dot2_f32_f16 v89, v127, v103, v89
	;;#ASMEND
	;;#ASMSTART
	v_dot2_f32_f16 v89, v128, v104, v89
	;;#ASMEND
	;; [unrolled: 3-line block ×16, first 2 shown]
	ds_load_b128 v[9:12], v39 offset:32848
	ds_load_b128 v[103:106], v8 offset:80
	;; [unrolled: 1-line block ×8, first 2 shown]
	s_waitcnt lgkmcnt(6)
	;;#ASMSTART
	v_dot2_f32_f16 v80, v9, v103, v80
	;;#ASMEND
	;;#ASMSTART
	v_dot2_f32_f16 v80, v10, v104, v80
	;;#ASMEND
	;;#ASMSTART
	v_dot2_f32_f16 v80, v11, v105, v80
	;;#ASMEND
	;;#ASMSTART
	v_dot2_f32_f16 v80, v12, v106, v80
	;;#ASMEND
	s_waitcnt lgkmcnt(5)
	;;#ASMSTART
	v_dot2_f32_f16 v82, v9, v107, v82
	;;#ASMEND
	;;#ASMSTART
	v_dot2_f32_f16 v82, v10, v108, v82
	;;#ASMEND
	;;#ASMSTART
	v_dot2_f32_f16 v82, v11, v109, v82
	;;#ASMEND
	;;#ASMSTART
	v_dot2_f32_f16 v82, v12, v110, v82
	;;#ASMEND
	;; [unrolled: 13-line block ×5, first 2 shown]
	;;#ASMSTART
	v_dot2_f32_f16 v96, v119, v107, v96
	;;#ASMEND
	;;#ASMSTART
	v_dot2_f32_f16 v96, v120, v108, v96
	;;#ASMEND
	;; [unrolled: 3-line block ×12, first 2 shown]
	s_waitcnt lgkmcnt(1)
	;;#ASMSTART
	v_dot2_f32_f16 v102, v123, v103, v102
	;;#ASMEND
	;;#ASMSTART
	v_dot2_f32_f16 v102, v124, v104, v102
	;;#ASMEND
	;;#ASMSTART
	v_dot2_f32_f16 v102, v125, v105, v102
	;;#ASMEND
	;;#ASMSTART
	v_dot2_f32_f16 v102, v126, v106, v102
	;;#ASMEND
	;;#ASMSTART
	v_dot2_f32_f16 v101, v123, v107, v101
	;;#ASMEND
	;;#ASMSTART
	v_dot2_f32_f16 v101, v124, v108, v101
	;;#ASMEND
	;;#ASMSTART
	v_dot2_f32_f16 v101, v125, v109, v101
	;;#ASMEND
	;;#ASMSTART
	v_dot2_f32_f16 v101, v126, v110, v101
	;;#ASMEND
	;;#ASMSTART
	v_dot2_f32_f16 v100, v123, v111, v100
	;;#ASMEND
	;;#ASMSTART
	v_dot2_f32_f16 v100, v124, v112, v100
	;;#ASMEND
	;;#ASMSTART
	v_dot2_f32_f16 v100, v125, v113, v100
	;;#ASMEND
	;;#ASMSTART
	v_dot2_f32_f16 v100, v126, v114, v100
	;;#ASMEND
	;;#ASMSTART
	v_dot2_f32_f16 v99, v123, v115, v99
	;;#ASMEND
	;;#ASMSTART
	v_dot2_f32_f16 v99, v124, v116, v99
	;;#ASMEND
	;;#ASMSTART
	v_dot2_f32_f16 v99, v125, v117, v99
	;;#ASMEND
	;;#ASMSTART
	v_dot2_f32_f16 v99, v126, v118, v99
	;;#ASMEND
	s_waitcnt lgkmcnt(0)
	;;#ASMSTART
	v_dot2_f32_f16 v89, v127, v103, v89
	;;#ASMEND
	;;#ASMSTART
	v_dot2_f32_f16 v89, v128, v104, v89
	;;#ASMEND
	;; [unrolled: 3-line block ×16, first 2 shown]
	ds_load_b128 v[9:12], v39 offset:32864
	ds_load_b128 v[103:106], v8 offset:96
	;; [unrolled: 1-line block ×8, first 2 shown]
	s_waitcnt lgkmcnt(6)
	;;#ASMSTART
	v_dot2_f32_f16 v80, v9, v103, v80
	;;#ASMEND
	;;#ASMSTART
	v_dot2_f32_f16 v80, v10, v104, v80
	;;#ASMEND
	;;#ASMSTART
	v_dot2_f32_f16 v80, v11, v105, v80
	;;#ASMEND
	;;#ASMSTART
	v_dot2_f32_f16 v80, v12, v106, v80
	;;#ASMEND
	s_waitcnt lgkmcnt(5)
	;;#ASMSTART
	v_dot2_f32_f16 v82, v9, v107, v82
	;;#ASMEND
	;;#ASMSTART
	v_dot2_f32_f16 v82, v10, v108, v82
	;;#ASMEND
	;;#ASMSTART
	v_dot2_f32_f16 v82, v11, v109, v82
	;;#ASMEND
	;;#ASMSTART
	v_dot2_f32_f16 v82, v12, v110, v82
	;;#ASMEND
	;; [unrolled: 13-line block ×5, first 2 shown]
	;;#ASMSTART
	v_dot2_f32_f16 v96, v119, v107, v96
	;;#ASMEND
	;;#ASMSTART
	v_dot2_f32_f16 v96, v120, v108, v96
	;;#ASMEND
	;; [unrolled: 3-line block ×12, first 2 shown]
	s_waitcnt lgkmcnt(1)
	;;#ASMSTART
	v_dot2_f32_f16 v102, v123, v103, v102
	;;#ASMEND
	;;#ASMSTART
	v_dot2_f32_f16 v102, v124, v104, v102
	;;#ASMEND
	;; [unrolled: 3-line block ×16, first 2 shown]
	s_waitcnt lgkmcnt(0)
	;;#ASMSTART
	v_dot2_f32_f16 v89, v127, v103, v89
	;;#ASMEND
	;;#ASMSTART
	v_dot2_f32_f16 v89, v128, v104, v89
	;;#ASMEND
	;; [unrolled: 3-line block ×16, first 2 shown]
	ds_load_b128 v[9:12], v39 offset:32880
	ds_load_b128 v[103:106], v8 offset:112
	;; [unrolled: 1-line block ×8, first 2 shown]
	s_waitcnt lgkmcnt(6)
	;;#ASMSTART
	v_dot2_f32_f16 v80, v9, v103, v80
	;;#ASMEND
	;;#ASMSTART
	v_dot2_f32_f16 v80, v10, v104, v80
	;;#ASMEND
	;;#ASMSTART
	v_dot2_f32_f16 v80, v11, v105, v80
	;;#ASMEND
	;;#ASMSTART
	v_dot2_f32_f16 v80, v12, v106, v80
	;;#ASMEND
	s_waitcnt lgkmcnt(5)
	;;#ASMSTART
	v_dot2_f32_f16 v82, v9, v107, v82
	;;#ASMEND
	;;#ASMSTART
	v_dot2_f32_f16 v82, v10, v108, v82
	;;#ASMEND
	;;#ASMSTART
	v_dot2_f32_f16 v82, v11, v109, v82
	;;#ASMEND
	;;#ASMSTART
	v_dot2_f32_f16 v82, v12, v110, v82
	;;#ASMEND
	;; [unrolled: 13-line block ×5, first 2 shown]
	;;#ASMSTART
	v_dot2_f32_f16 v96, v119, v107, v96
	;;#ASMEND
	;;#ASMSTART
	v_dot2_f32_f16 v96, v120, v108, v96
	;;#ASMEND
	;; [unrolled: 3-line block ×12, first 2 shown]
	s_waitcnt lgkmcnt(1)
	;;#ASMSTART
	v_dot2_f32_f16 v102, v123, v103, v102
	;;#ASMEND
	;;#ASMSTART
	v_dot2_f32_f16 v102, v124, v104, v102
	;;#ASMEND
	;; [unrolled: 3-line block ×16, first 2 shown]
	s_waitcnt lgkmcnt(0)
	;;#ASMSTART
	v_dot2_f32_f16 v89, v127, v103, v89
	;;#ASMEND
	;;#ASMSTART
	v_dot2_f32_f16 v89, v128, v104, v89
	;;#ASMEND
	;; [unrolled: 3-line block ×16, first 2 shown]
	s_barrier
	buffer_gl0_inv
	s_clause 0x3
	global_load_b128 v[10:13], v[0:1], off offset:128
	global_load_b128 v[103:106], v[2:3], off offset:128
	;; [unrolled: 1-line block ×4, first 2 shown]
	v_add3_u32 v9, 0x80, s8, v32
	s_waitcnt vmcnt(3)
	ds_store_b128 v34, v[10:13]
	s_waitcnt vmcnt(2)
	ds_store_b128 v35, v[103:106]
	;; [unrolled: 2-line block ×4, first 2 shown]
	s_waitcnt lgkmcnt(0)
	s_barrier
	buffer_gl0_inv
	ds_load_b128 v[10:13], v39 offset:32768
	ds_load_b128 v[103:106], v8 offset:128
	;; [unrolled: 1-line block ×8, first 2 shown]
	s_waitcnt lgkmcnt(6)
	;;#ASMSTART
	v_dot2_f32_f16 v80, v10, v103, v80
	;;#ASMEND
	;;#ASMSTART
	v_dot2_f32_f16 v80, v11, v104, v80
	;;#ASMEND
	;;#ASMSTART
	v_dot2_f32_f16 v80, v12, v105, v80
	;;#ASMEND
	;;#ASMSTART
	v_dot2_f32_f16 v80, v13, v106, v80
	;;#ASMEND
	s_waitcnt lgkmcnt(5)
	;;#ASMSTART
	v_dot2_f32_f16 v82, v10, v107, v82
	;;#ASMEND
	;;#ASMSTART
	v_dot2_f32_f16 v82, v11, v108, v82
	;;#ASMEND
	;;#ASMSTART
	v_dot2_f32_f16 v82, v12, v109, v82
	;;#ASMEND
	;;#ASMSTART
	v_dot2_f32_f16 v82, v13, v110, v82
	;;#ASMEND
	;; [unrolled: 13-line block ×5, first 2 shown]
	;;#ASMSTART
	v_dot2_f32_f16 v96, v119, v107, v96
	;;#ASMEND
	;;#ASMSTART
	v_dot2_f32_f16 v96, v120, v108, v96
	;;#ASMEND
	;; [unrolled: 3-line block ×12, first 2 shown]
	s_waitcnt lgkmcnt(1)
	;;#ASMSTART
	v_dot2_f32_f16 v102, v123, v103, v102
	;;#ASMEND
	;;#ASMSTART
	v_dot2_f32_f16 v102, v124, v104, v102
	;;#ASMEND
	;; [unrolled: 3-line block ×16, first 2 shown]
	s_waitcnt lgkmcnt(0)
	;;#ASMSTART
	v_dot2_f32_f16 v89, v127, v103, v89
	;;#ASMEND
	;;#ASMSTART
	v_dot2_f32_f16 v89, v128, v104, v89
	;;#ASMEND
	;; [unrolled: 3-line block ×16, first 2 shown]
	ds_load_b128 v[10:13], v39 offset:32784
	ds_load_b128 v[103:106], v9 offset:16
	;; [unrolled: 1-line block ×8, first 2 shown]
	s_waitcnt lgkmcnt(6)
	;;#ASMSTART
	v_dot2_f32_f16 v80, v10, v103, v80
	;;#ASMEND
	;;#ASMSTART
	v_dot2_f32_f16 v80, v11, v104, v80
	;;#ASMEND
	;;#ASMSTART
	v_dot2_f32_f16 v80, v12, v105, v80
	;;#ASMEND
	;;#ASMSTART
	v_dot2_f32_f16 v80, v13, v106, v80
	;;#ASMEND
	s_waitcnt lgkmcnt(5)
	;;#ASMSTART
	v_dot2_f32_f16 v82, v10, v107, v82
	;;#ASMEND
	;;#ASMSTART
	v_dot2_f32_f16 v82, v11, v108, v82
	;;#ASMEND
	;;#ASMSTART
	v_dot2_f32_f16 v82, v12, v109, v82
	;;#ASMEND
	;;#ASMSTART
	v_dot2_f32_f16 v82, v13, v110, v82
	;;#ASMEND
	;; [unrolled: 13-line block ×5, first 2 shown]
	;;#ASMSTART
	v_dot2_f32_f16 v96, v119, v107, v96
	;;#ASMEND
	;;#ASMSTART
	v_dot2_f32_f16 v96, v120, v108, v96
	;;#ASMEND
	;; [unrolled: 3-line block ×12, first 2 shown]
	s_waitcnt lgkmcnt(1)
	;;#ASMSTART
	v_dot2_f32_f16 v102, v123, v103, v102
	;;#ASMEND
	;;#ASMSTART
	v_dot2_f32_f16 v102, v124, v104, v102
	;;#ASMEND
	;; [unrolled: 3-line block ×16, first 2 shown]
	s_waitcnt lgkmcnt(0)
	;;#ASMSTART
	v_dot2_f32_f16 v89, v127, v103, v89
	;;#ASMEND
	;;#ASMSTART
	v_dot2_f32_f16 v89, v128, v104, v89
	;;#ASMEND
	;;#ASMSTART
	v_dot2_f32_f16 v89, v129, v105, v89
	;;#ASMEND
	;;#ASMSTART
	v_dot2_f32_f16 v89, v130, v106, v89
	;;#ASMEND
	;;#ASMSTART
	v_dot2_f32_f16 v97, v127, v107, v97
	;;#ASMEND
	;;#ASMSTART
	v_dot2_f32_f16 v97, v128, v108, v97
	;;#ASMEND
	;;#ASMSTART
	v_dot2_f32_f16 v97, v129, v109, v97
	;;#ASMEND
	;;#ASMSTART
	v_dot2_f32_f16 v97, v130, v110, v97
	;;#ASMEND
	;;#ASMSTART
	v_dot2_f32_f16 v83, v127, v111, v83
	;;#ASMEND
	;;#ASMSTART
	v_dot2_f32_f16 v83, v128, v112, v83
	;;#ASMEND
	;;#ASMSTART
	v_dot2_f32_f16 v83, v129, v113, v83
	;;#ASMEND
	;;#ASMSTART
	v_dot2_f32_f16 v83, v130, v114, v83
	;;#ASMEND
	;;#ASMSTART
	v_dot2_f32_f16 v94, v127, v115, v94
	;;#ASMEND
	;;#ASMSTART
	v_dot2_f32_f16 v94, v128, v116, v94
	;;#ASMEND
	;;#ASMSTART
	v_dot2_f32_f16 v94, v129, v117, v94
	;;#ASMEND
	;;#ASMSTART
	v_dot2_f32_f16 v94, v130, v118, v94
	;;#ASMEND
	ds_load_b128 v[10:13], v39 offset:32800
	ds_load_b128 v[103:106], v9 offset:32
	;; [unrolled: 1-line block ×8, first 2 shown]
	s_waitcnt lgkmcnt(6)
	;;#ASMSTART
	v_dot2_f32_f16 v80, v10, v103, v80
	;;#ASMEND
	;;#ASMSTART
	v_dot2_f32_f16 v80, v11, v104, v80
	;;#ASMEND
	;;#ASMSTART
	v_dot2_f32_f16 v80, v12, v105, v80
	;;#ASMEND
	;;#ASMSTART
	v_dot2_f32_f16 v80, v13, v106, v80
	;;#ASMEND
	s_waitcnt lgkmcnt(5)
	;;#ASMSTART
	v_dot2_f32_f16 v82, v10, v107, v82
	;;#ASMEND
	;;#ASMSTART
	v_dot2_f32_f16 v82, v11, v108, v82
	;;#ASMEND
	;;#ASMSTART
	v_dot2_f32_f16 v82, v12, v109, v82
	;;#ASMEND
	;;#ASMSTART
	v_dot2_f32_f16 v82, v13, v110, v82
	;;#ASMEND
	;; [unrolled: 13-line block ×5, first 2 shown]
	;;#ASMSTART
	v_dot2_f32_f16 v96, v119, v107, v96
	;;#ASMEND
	;;#ASMSTART
	v_dot2_f32_f16 v96, v120, v108, v96
	;;#ASMEND
	;; [unrolled: 3-line block ×12, first 2 shown]
	s_waitcnt lgkmcnt(1)
	;;#ASMSTART
	v_dot2_f32_f16 v102, v123, v103, v102
	;;#ASMEND
	;;#ASMSTART
	v_dot2_f32_f16 v102, v124, v104, v102
	;;#ASMEND
	;; [unrolled: 3-line block ×16, first 2 shown]
	s_waitcnt lgkmcnt(0)
	;;#ASMSTART
	v_dot2_f32_f16 v89, v127, v103, v89
	;;#ASMEND
	;;#ASMSTART
	v_dot2_f32_f16 v89, v128, v104, v89
	;;#ASMEND
	;; [unrolled: 3-line block ×16, first 2 shown]
	ds_load_b128 v[10:13], v39 offset:32816
	ds_load_b128 v[103:106], v9 offset:48
	;; [unrolled: 1-line block ×8, first 2 shown]
	s_waitcnt lgkmcnt(6)
	;;#ASMSTART
	v_dot2_f32_f16 v80, v10, v103, v80
	;;#ASMEND
	;;#ASMSTART
	v_dot2_f32_f16 v80, v11, v104, v80
	;;#ASMEND
	;;#ASMSTART
	v_dot2_f32_f16 v80, v12, v105, v80
	;;#ASMEND
	;;#ASMSTART
	v_dot2_f32_f16 v80, v13, v106, v80
	;;#ASMEND
	s_waitcnt lgkmcnt(5)
	;;#ASMSTART
	v_dot2_f32_f16 v82, v10, v107, v82
	;;#ASMEND
	;;#ASMSTART
	v_dot2_f32_f16 v82, v11, v108, v82
	;;#ASMEND
	;;#ASMSTART
	v_dot2_f32_f16 v82, v12, v109, v82
	;;#ASMEND
	;;#ASMSTART
	v_dot2_f32_f16 v82, v13, v110, v82
	;;#ASMEND
	;; [unrolled: 13-line block ×5, first 2 shown]
	;;#ASMSTART
	v_dot2_f32_f16 v96, v119, v107, v96
	;;#ASMEND
	;;#ASMSTART
	v_dot2_f32_f16 v96, v120, v108, v96
	;;#ASMEND
	;; [unrolled: 3-line block ×12, first 2 shown]
	s_waitcnt lgkmcnt(1)
	;;#ASMSTART
	v_dot2_f32_f16 v102, v123, v103, v102
	;;#ASMEND
	;;#ASMSTART
	v_dot2_f32_f16 v102, v124, v104, v102
	;;#ASMEND
	;; [unrolled: 3-line block ×16, first 2 shown]
	s_waitcnt lgkmcnt(0)
	;;#ASMSTART
	v_dot2_f32_f16 v89, v127, v103, v89
	;;#ASMEND
	;;#ASMSTART
	v_dot2_f32_f16 v89, v128, v104, v89
	;;#ASMEND
	;; [unrolled: 3-line block ×16, first 2 shown]
	ds_load_b128 v[10:13], v39 offset:32832
	ds_load_b128 v[103:106], v9 offset:64
	;; [unrolled: 1-line block ×8, first 2 shown]
	s_waitcnt lgkmcnt(6)
	;;#ASMSTART
	v_dot2_f32_f16 v80, v10, v103, v80
	;;#ASMEND
	;;#ASMSTART
	v_dot2_f32_f16 v80, v11, v104, v80
	;;#ASMEND
	;;#ASMSTART
	v_dot2_f32_f16 v80, v12, v105, v80
	;;#ASMEND
	;;#ASMSTART
	v_dot2_f32_f16 v80, v13, v106, v80
	;;#ASMEND
	s_waitcnt lgkmcnt(5)
	;;#ASMSTART
	v_dot2_f32_f16 v82, v10, v107, v82
	;;#ASMEND
	;;#ASMSTART
	v_dot2_f32_f16 v82, v11, v108, v82
	;;#ASMEND
	;;#ASMSTART
	v_dot2_f32_f16 v82, v12, v109, v82
	;;#ASMEND
	;;#ASMSTART
	v_dot2_f32_f16 v82, v13, v110, v82
	;;#ASMEND
	;; [unrolled: 13-line block ×5, first 2 shown]
	;;#ASMSTART
	v_dot2_f32_f16 v96, v119, v107, v96
	;;#ASMEND
	;;#ASMSTART
	v_dot2_f32_f16 v96, v120, v108, v96
	;;#ASMEND
	;; [unrolled: 3-line block ×12, first 2 shown]
	s_waitcnt lgkmcnt(1)
	;;#ASMSTART
	v_dot2_f32_f16 v102, v123, v103, v102
	;;#ASMEND
	;;#ASMSTART
	v_dot2_f32_f16 v102, v124, v104, v102
	;;#ASMEND
	;; [unrolled: 3-line block ×16, first 2 shown]
	s_waitcnt lgkmcnt(0)
	;;#ASMSTART
	v_dot2_f32_f16 v89, v127, v103, v89
	;;#ASMEND
	;;#ASMSTART
	v_dot2_f32_f16 v89, v128, v104, v89
	;;#ASMEND
	;; [unrolled: 3-line block ×16, first 2 shown]
	ds_load_b128 v[10:13], v39 offset:32848
	ds_load_b128 v[103:106], v9 offset:80
	;; [unrolled: 1-line block ×8, first 2 shown]
	s_waitcnt lgkmcnt(6)
	;;#ASMSTART
	v_dot2_f32_f16 v80, v10, v103, v80
	;;#ASMEND
	;;#ASMSTART
	v_dot2_f32_f16 v80, v11, v104, v80
	;;#ASMEND
	;;#ASMSTART
	v_dot2_f32_f16 v80, v12, v105, v80
	;;#ASMEND
	;;#ASMSTART
	v_dot2_f32_f16 v80, v13, v106, v80
	;;#ASMEND
	s_waitcnt lgkmcnt(5)
	;;#ASMSTART
	v_dot2_f32_f16 v82, v10, v107, v82
	;;#ASMEND
	;;#ASMSTART
	v_dot2_f32_f16 v82, v11, v108, v82
	;;#ASMEND
	;;#ASMSTART
	v_dot2_f32_f16 v82, v12, v109, v82
	;;#ASMEND
	;;#ASMSTART
	v_dot2_f32_f16 v82, v13, v110, v82
	;;#ASMEND
	;; [unrolled: 13-line block ×5, first 2 shown]
	;;#ASMSTART
	v_dot2_f32_f16 v96, v119, v107, v96
	;;#ASMEND
	;;#ASMSTART
	v_dot2_f32_f16 v96, v120, v108, v96
	;;#ASMEND
	;; [unrolled: 3-line block ×12, first 2 shown]
	s_waitcnt lgkmcnt(1)
	;;#ASMSTART
	v_dot2_f32_f16 v102, v123, v103, v102
	;;#ASMEND
	;;#ASMSTART
	v_dot2_f32_f16 v102, v124, v104, v102
	;;#ASMEND
	;; [unrolled: 3-line block ×16, first 2 shown]
	s_waitcnt lgkmcnt(0)
	;;#ASMSTART
	v_dot2_f32_f16 v89, v127, v103, v89
	;;#ASMEND
	;;#ASMSTART
	v_dot2_f32_f16 v89, v128, v104, v89
	;;#ASMEND
	;; [unrolled: 3-line block ×16, first 2 shown]
	ds_load_b128 v[10:13], v39 offset:32864
	ds_load_b128 v[103:106], v9 offset:96
	;; [unrolled: 1-line block ×8, first 2 shown]
	s_waitcnt lgkmcnt(6)
	;;#ASMSTART
	v_dot2_f32_f16 v80, v10, v103, v80
	;;#ASMEND
	;;#ASMSTART
	v_dot2_f32_f16 v80, v11, v104, v80
	;;#ASMEND
	;;#ASMSTART
	v_dot2_f32_f16 v80, v12, v105, v80
	;;#ASMEND
	;;#ASMSTART
	v_dot2_f32_f16 v80, v13, v106, v80
	;;#ASMEND
	s_waitcnt lgkmcnt(5)
	;;#ASMSTART
	v_dot2_f32_f16 v82, v10, v107, v82
	;;#ASMEND
	;;#ASMSTART
	v_dot2_f32_f16 v82, v11, v108, v82
	;;#ASMEND
	;;#ASMSTART
	v_dot2_f32_f16 v82, v12, v109, v82
	;;#ASMEND
	;;#ASMSTART
	v_dot2_f32_f16 v82, v13, v110, v82
	;;#ASMEND
	;; [unrolled: 13-line block ×5, first 2 shown]
	;;#ASMSTART
	v_dot2_f32_f16 v96, v119, v107, v96
	;;#ASMEND
	;;#ASMSTART
	v_dot2_f32_f16 v96, v120, v108, v96
	;;#ASMEND
	;; [unrolled: 3-line block ×12, first 2 shown]
	s_waitcnt lgkmcnt(1)
	;;#ASMSTART
	v_dot2_f32_f16 v102, v123, v103, v102
	;;#ASMEND
	;;#ASMSTART
	v_dot2_f32_f16 v102, v124, v104, v102
	;;#ASMEND
	;;#ASMSTART
	v_dot2_f32_f16 v102, v125, v105, v102
	;;#ASMEND
	;;#ASMSTART
	v_dot2_f32_f16 v102, v126, v106, v102
	;;#ASMEND
	;;#ASMSTART
	v_dot2_f32_f16 v101, v123, v107, v101
	;;#ASMEND
	;;#ASMSTART
	v_dot2_f32_f16 v101, v124, v108, v101
	;;#ASMEND
	;;#ASMSTART
	v_dot2_f32_f16 v101, v125, v109, v101
	;;#ASMEND
	;;#ASMSTART
	v_dot2_f32_f16 v101, v126, v110, v101
	;;#ASMEND
	;;#ASMSTART
	v_dot2_f32_f16 v100, v123, v111, v100
	;;#ASMEND
	;;#ASMSTART
	v_dot2_f32_f16 v100, v124, v112, v100
	;;#ASMEND
	;;#ASMSTART
	v_dot2_f32_f16 v100, v125, v113, v100
	;;#ASMEND
	;;#ASMSTART
	v_dot2_f32_f16 v100, v126, v114, v100
	;;#ASMEND
	;;#ASMSTART
	v_dot2_f32_f16 v99, v123, v115, v99
	;;#ASMEND
	;;#ASMSTART
	v_dot2_f32_f16 v99, v124, v116, v99
	;;#ASMEND
	;;#ASMSTART
	v_dot2_f32_f16 v99, v125, v117, v99
	;;#ASMEND
	;;#ASMSTART
	v_dot2_f32_f16 v99, v126, v118, v99
	;;#ASMEND
	s_waitcnt lgkmcnt(0)
	;;#ASMSTART
	v_dot2_f32_f16 v89, v127, v103, v89
	;;#ASMEND
	;;#ASMSTART
	v_dot2_f32_f16 v89, v128, v104, v89
	;;#ASMEND
	;; [unrolled: 3-line block ×16, first 2 shown]
	ds_load_b128 v[10:13], v39 offset:32880
	ds_load_b128 v[103:106], v9 offset:112
	;; [unrolled: 1-line block ×8, first 2 shown]
	s_waitcnt lgkmcnt(6)
	;;#ASMSTART
	v_dot2_f32_f16 v80, v10, v103, v80
	;;#ASMEND
	;;#ASMSTART
	v_dot2_f32_f16 v80, v11, v104, v80
	;;#ASMEND
	;;#ASMSTART
	v_dot2_f32_f16 v80, v12, v105, v80
	;;#ASMEND
	;;#ASMSTART
	v_dot2_f32_f16 v80, v13, v106, v80
	;;#ASMEND
	s_waitcnt lgkmcnt(5)
	;;#ASMSTART
	v_dot2_f32_f16 v82, v10, v107, v82
	;;#ASMEND
	;;#ASMSTART
	v_dot2_f32_f16 v82, v11, v108, v82
	;;#ASMEND
	;;#ASMSTART
	v_dot2_f32_f16 v82, v12, v109, v82
	;;#ASMEND
	;;#ASMSTART
	v_dot2_f32_f16 v82, v13, v110, v82
	;;#ASMEND
	;; [unrolled: 13-line block ×5, first 2 shown]
	;;#ASMSTART
	v_dot2_f32_f16 v96, v119, v107, v96
	;;#ASMEND
	;;#ASMSTART
	v_dot2_f32_f16 v96, v120, v108, v96
	;;#ASMEND
	;; [unrolled: 3-line block ×12, first 2 shown]
	s_waitcnt lgkmcnt(1)
	;;#ASMSTART
	v_dot2_f32_f16 v102, v123, v103, v102
	;;#ASMEND
	;;#ASMSTART
	v_dot2_f32_f16 v102, v124, v104, v102
	;;#ASMEND
	;; [unrolled: 3-line block ×16, first 2 shown]
	s_waitcnt lgkmcnt(0)
	;;#ASMSTART
	v_dot2_f32_f16 v89, v127, v103, v89
	;;#ASMEND
	;;#ASMSTART
	v_dot2_f32_f16 v89, v128, v104, v89
	;;#ASMEND
	;; [unrolled: 3-line block ×16, first 2 shown]
	s_barrier
	buffer_gl0_inv
	s_clause 0x3
	global_load_b128 v[9:12], v[0:1], off offset:256
	global_load_b128 v[0:3], v[2:3], off offset:256
	;; [unrolled: 1-line block ×4, first 2 shown]
	v_add3_u32 v103, 0x100, s8, v32
	s_lshr_b32 s8, s21, 1
	s_waitcnt vmcnt(3)
	ds_store_b128 v34, v[9:12]
	s_waitcnt vmcnt(2)
	ds_store_b128 v35, v[0:3]
	;; [unrolled: 2-line block ×4, first 2 shown]
	s_waitcnt lgkmcnt(0)
	s_barrier
	buffer_gl0_inv
	ds_load_b128 v[0:3], v39 offset:32768
	ds_load_b128 v[4:7], v8 offset:256
	;; [unrolled: 1-line block ×8, first 2 shown]
	s_waitcnt lgkmcnt(6)
	;;#ASMSTART
	v_dot2_f32_f16 v80, v0, v4, v80
	;;#ASMEND
	;;#ASMSTART
	v_dot2_f32_f16 v80, v1, v5, v80
	;;#ASMEND
	;;#ASMSTART
	v_dot2_f32_f16 v80, v2, v6, v80
	;;#ASMEND
	;;#ASMSTART
	v_dot2_f32_f16 v80, v3, v7, v80
	;;#ASMEND
	s_waitcnt lgkmcnt(5)
	;;#ASMSTART
	v_dot2_f32_f16 v82, v0, v8, v82
	;;#ASMEND
	;;#ASMSTART
	v_dot2_f32_f16 v82, v1, v9, v82
	;;#ASMEND
	;;#ASMSTART
	v_dot2_f32_f16 v82, v2, v10, v82
	;;#ASMEND
	;;#ASMSTART
	v_dot2_f32_f16 v82, v3, v11, v82
	;;#ASMEND
	;; [unrolled: 13-line block ×5, first 2 shown]
	;;#ASMSTART
	v_dot2_f32_f16 v96, v108, v8, v96
	;;#ASMEND
	;;#ASMSTART
	v_dot2_f32_f16 v96, v109, v9, v96
	;;#ASMEND
	;; [unrolled: 3-line block ×12, first 2 shown]
	s_waitcnt lgkmcnt(1)
	;;#ASMSTART
	v_dot2_f32_f16 v102, v112, v4, v102
	;;#ASMEND
	;;#ASMSTART
	v_dot2_f32_f16 v102, v113, v5, v102
	;;#ASMEND
	;; [unrolled: 3-line block ×16, first 2 shown]
	s_waitcnt lgkmcnt(0)
	;;#ASMSTART
	v_dot2_f32_f16 v89, v116, v4, v89
	;;#ASMEND
	;;#ASMSTART
	v_dot2_f32_f16 v89, v117, v5, v89
	;;#ASMEND
	;; [unrolled: 3-line block ×16, first 2 shown]
	ds_load_b128 v[0:3], v39 offset:32784
	ds_load_b128 v[4:7], v103 offset:16
	;; [unrolled: 1-line block ×8, first 2 shown]
	s_waitcnt lgkmcnt(6)
	;;#ASMSTART
	v_dot2_f32_f16 v80, v0, v4, v80
	;;#ASMEND
	;;#ASMSTART
	v_dot2_f32_f16 v80, v1, v5, v80
	;;#ASMEND
	;;#ASMSTART
	v_dot2_f32_f16 v80, v2, v6, v80
	;;#ASMEND
	;;#ASMSTART
	v_dot2_f32_f16 v80, v3, v7, v80
	;;#ASMEND
	s_waitcnt lgkmcnt(5)
	;;#ASMSTART
	v_dot2_f32_f16 v82, v0, v8, v82
	;;#ASMEND
	;;#ASMSTART
	v_dot2_f32_f16 v82, v1, v9, v82
	;;#ASMEND
	;;#ASMSTART
	v_dot2_f32_f16 v82, v2, v10, v82
	;;#ASMEND
	;;#ASMSTART
	v_dot2_f32_f16 v82, v3, v11, v82
	;;#ASMEND
	;; [unrolled: 13-line block ×5, first 2 shown]
	;;#ASMSTART
	v_dot2_f32_f16 v96, v108, v8, v96
	;;#ASMEND
	;;#ASMSTART
	v_dot2_f32_f16 v96, v109, v9, v96
	;;#ASMEND
	;; [unrolled: 3-line block ×12, first 2 shown]
	s_waitcnt lgkmcnt(1)
	;;#ASMSTART
	v_dot2_f32_f16 v102, v112, v4, v102
	;;#ASMEND
	;;#ASMSTART
	v_dot2_f32_f16 v102, v113, v5, v102
	;;#ASMEND
	;; [unrolled: 3-line block ×16, first 2 shown]
	s_waitcnt lgkmcnt(0)
	;;#ASMSTART
	v_dot2_f32_f16 v89, v116, v4, v89
	;;#ASMEND
	;;#ASMSTART
	v_dot2_f32_f16 v89, v117, v5, v89
	;;#ASMEND
	;; [unrolled: 3-line block ×16, first 2 shown]
	ds_load_b128 v[0:3], v39 offset:32800
	ds_load_b128 v[4:7], v103 offset:32
	ds_load_b128 v[8:11], v103 offset:1056
	ds_load_b128 v[12:15], v103 offset:2080
	ds_load_b128 v[104:107], v103 offset:3104
	ds_load_b128 v[108:111], v39 offset:37408
	ds_load_b128 v[112:115], v39 offset:42016
	ds_load_b128 v[116:119], v39 offset:46624
	s_waitcnt lgkmcnt(6)
	;;#ASMSTART
	v_dot2_f32_f16 v80, v0, v4, v80
	;;#ASMEND
	;;#ASMSTART
	v_dot2_f32_f16 v80, v1, v5, v80
	;;#ASMEND
	;;#ASMSTART
	v_dot2_f32_f16 v80, v2, v6, v80
	;;#ASMEND
	;;#ASMSTART
	v_dot2_f32_f16 v80, v3, v7, v80
	;;#ASMEND
	s_waitcnt lgkmcnt(5)
	;;#ASMSTART
	v_dot2_f32_f16 v82, v0, v8, v82
	;;#ASMEND
	;;#ASMSTART
	v_dot2_f32_f16 v82, v1, v9, v82
	;;#ASMEND
	;;#ASMSTART
	v_dot2_f32_f16 v82, v2, v10, v82
	;;#ASMEND
	;;#ASMSTART
	v_dot2_f32_f16 v82, v3, v11, v82
	;;#ASMEND
	;; [unrolled: 13-line block ×5, first 2 shown]
	;;#ASMSTART
	v_dot2_f32_f16 v96, v108, v8, v96
	;;#ASMEND
	;;#ASMSTART
	v_dot2_f32_f16 v96, v109, v9, v96
	;;#ASMEND
	;; [unrolled: 3-line block ×12, first 2 shown]
	s_waitcnt lgkmcnt(1)
	;;#ASMSTART
	v_dot2_f32_f16 v102, v112, v4, v102
	;;#ASMEND
	;;#ASMSTART
	v_dot2_f32_f16 v102, v113, v5, v102
	;;#ASMEND
	;; [unrolled: 3-line block ×16, first 2 shown]
	s_waitcnt lgkmcnt(0)
	;;#ASMSTART
	v_dot2_f32_f16 v89, v116, v4, v89
	;;#ASMEND
	;;#ASMSTART
	v_dot2_f32_f16 v89, v117, v5, v89
	;;#ASMEND
	;; [unrolled: 3-line block ×16, first 2 shown]
	ds_load_b128 v[0:3], v39 offset:32816
	ds_load_b128 v[4:7], v103 offset:48
	;; [unrolled: 1-line block ×8, first 2 shown]
	s_waitcnt lgkmcnt(6)
	;;#ASMSTART
	v_dot2_f32_f16 v80, v0, v4, v80
	;;#ASMEND
	;;#ASMSTART
	v_dot2_f32_f16 v80, v1, v5, v80
	;;#ASMEND
	;;#ASMSTART
	v_dot2_f32_f16 v80, v2, v6, v80
	;;#ASMEND
	;;#ASMSTART
	v_dot2_f32_f16 v80, v3, v7, v80
	;;#ASMEND
	s_waitcnt lgkmcnt(5)
	;;#ASMSTART
	v_dot2_f32_f16 v82, v0, v8, v82
	;;#ASMEND
	;;#ASMSTART
	v_dot2_f32_f16 v82, v1, v9, v82
	;;#ASMEND
	;;#ASMSTART
	v_dot2_f32_f16 v82, v2, v10, v82
	;;#ASMEND
	;;#ASMSTART
	v_dot2_f32_f16 v82, v3, v11, v82
	;;#ASMEND
	;; [unrolled: 13-line block ×5, first 2 shown]
	;;#ASMSTART
	v_dot2_f32_f16 v96, v108, v8, v96
	;;#ASMEND
	;;#ASMSTART
	v_dot2_f32_f16 v96, v109, v9, v96
	;;#ASMEND
	;;#ASMSTART
	v_dot2_f32_f16 v96, v110, v10, v96
	;;#ASMEND
	;;#ASMSTART
	v_dot2_f32_f16 v96, v111, v11, v96
	;;#ASMEND
	;;#ASMSTART
	v_dot2_f32_f16 v95, v108, v12, v95
	;;#ASMEND
	;;#ASMSTART
	v_dot2_f32_f16 v95, v109, v13, v95
	;;#ASMEND
	;;#ASMSTART
	v_dot2_f32_f16 v95, v110, v14, v95
	;;#ASMEND
	;;#ASMSTART
	v_dot2_f32_f16 v95, v111, v15, v95
	;;#ASMEND
	;;#ASMSTART
	v_dot2_f32_f16 v88, v108, v104, v88
	;;#ASMEND
	;;#ASMSTART
	v_dot2_f32_f16 v88, v109, v105, v88
	;;#ASMEND
	;;#ASMSTART
	v_dot2_f32_f16 v88, v110, v106, v88
	;;#ASMEND
	;;#ASMSTART
	v_dot2_f32_f16 v88, v111, v107, v88
	;;#ASMEND
	s_waitcnt lgkmcnt(1)
	;;#ASMSTART
	v_dot2_f32_f16 v102, v112, v4, v102
	;;#ASMEND
	;;#ASMSTART
	v_dot2_f32_f16 v102, v113, v5, v102
	;;#ASMEND
	;; [unrolled: 3-line block ×16, first 2 shown]
	s_waitcnt lgkmcnt(0)
	;;#ASMSTART
	v_dot2_f32_f16 v89, v116, v4, v89
	;;#ASMEND
	;;#ASMSTART
	v_dot2_f32_f16 v89, v117, v5, v89
	;;#ASMEND
	;; [unrolled: 3-line block ×16, first 2 shown]
	ds_load_b128 v[0:3], v39 offset:32832
	ds_load_b128 v[4:7], v103 offset:64
	;; [unrolled: 1-line block ×8, first 2 shown]
	s_waitcnt lgkmcnt(6)
	;;#ASMSTART
	v_dot2_f32_f16 v80, v0, v4, v80
	;;#ASMEND
	;;#ASMSTART
	v_dot2_f32_f16 v80, v1, v5, v80
	;;#ASMEND
	;;#ASMSTART
	v_dot2_f32_f16 v80, v2, v6, v80
	;;#ASMEND
	;;#ASMSTART
	v_dot2_f32_f16 v80, v3, v7, v80
	;;#ASMEND
	s_waitcnt lgkmcnt(5)
	;;#ASMSTART
	v_dot2_f32_f16 v82, v0, v8, v82
	;;#ASMEND
	;;#ASMSTART
	v_dot2_f32_f16 v82, v1, v9, v82
	;;#ASMEND
	;;#ASMSTART
	v_dot2_f32_f16 v82, v2, v10, v82
	;;#ASMEND
	;;#ASMSTART
	v_dot2_f32_f16 v82, v3, v11, v82
	;;#ASMEND
	;; [unrolled: 13-line block ×5, first 2 shown]
	;;#ASMSTART
	v_dot2_f32_f16 v96, v108, v8, v96
	;;#ASMEND
	;;#ASMSTART
	v_dot2_f32_f16 v96, v109, v9, v96
	;;#ASMEND
	;; [unrolled: 3-line block ×12, first 2 shown]
	s_waitcnt lgkmcnt(1)
	;;#ASMSTART
	v_dot2_f32_f16 v102, v112, v4, v102
	;;#ASMEND
	;;#ASMSTART
	v_dot2_f32_f16 v102, v113, v5, v102
	;;#ASMEND
	;; [unrolled: 3-line block ×16, first 2 shown]
	s_waitcnt lgkmcnt(0)
	;;#ASMSTART
	v_dot2_f32_f16 v89, v116, v4, v89
	;;#ASMEND
	;;#ASMSTART
	v_dot2_f32_f16 v89, v117, v5, v89
	;;#ASMEND
	;;#ASMSTART
	v_dot2_f32_f16 v89, v118, v6, v89
	;;#ASMEND
	;;#ASMSTART
	v_dot2_f32_f16 v89, v119, v7, v89
	;;#ASMEND
	;;#ASMSTART
	v_dot2_f32_f16 v97, v116, v8, v97
	;;#ASMEND
	;;#ASMSTART
	v_dot2_f32_f16 v97, v117, v9, v97
	;;#ASMEND
	;;#ASMSTART
	v_dot2_f32_f16 v97, v118, v10, v97
	;;#ASMEND
	;;#ASMSTART
	v_dot2_f32_f16 v97, v119, v11, v97
	;;#ASMEND
	;;#ASMSTART
	v_dot2_f32_f16 v83, v116, v12, v83
	;;#ASMEND
	;;#ASMSTART
	v_dot2_f32_f16 v83, v117, v13, v83
	;;#ASMEND
	;;#ASMSTART
	v_dot2_f32_f16 v83, v118, v14, v83
	;;#ASMEND
	;;#ASMSTART
	v_dot2_f32_f16 v83, v119, v15, v83
	;;#ASMEND
	;;#ASMSTART
	v_dot2_f32_f16 v94, v116, v104, v94
	;;#ASMEND
	;;#ASMSTART
	v_dot2_f32_f16 v94, v117, v105, v94
	;;#ASMEND
	;;#ASMSTART
	v_dot2_f32_f16 v94, v118, v106, v94
	;;#ASMEND
	;;#ASMSTART
	v_dot2_f32_f16 v94, v119, v107, v94
	;;#ASMEND
	ds_load_b128 v[12:15], v39 offset:32848
	ds_load_b128 v[0:3], v103 offset:80
	;; [unrolled: 1-line block ×8, first 2 shown]
	s_waitcnt lgkmcnt(6)
	;;#ASMSTART
	v_dot2_f32_f16 v80, v12, v0, v80
	;;#ASMEND
	;;#ASMSTART
	v_dot2_f32_f16 v80, v13, v1, v80
	;;#ASMEND
	;;#ASMSTART
	v_dot2_f32_f16 v80, v14, v2, v80
	;;#ASMEND
	;;#ASMSTART
	v_dot2_f32_f16 v80, v15, v3, v80
	;;#ASMEND
	s_waitcnt lgkmcnt(5)
	;;#ASMSTART
	v_dot2_f32_f16 v82, v12, v4, v82
	;;#ASMEND
	;;#ASMSTART
	v_dot2_f32_f16 v82, v13, v5, v82
	;;#ASMEND
	;;#ASMSTART
	v_dot2_f32_f16 v82, v14, v6, v82
	;;#ASMEND
	;;#ASMSTART
	v_dot2_f32_f16 v82, v15, v7, v82
	;;#ASMEND
	s_waitcnt lgkmcnt(4)
	;;#ASMSTART
	v_dot2_f32_f16 v64, v12, v8, v64
	;;#ASMEND
	;;#ASMSTART
	v_dot2_f32_f16 v64, v13, v9, v64
	;;#ASMEND
	;;#ASMSTART
	v_dot2_f32_f16 v64, v14, v10, v64
	;;#ASMEND
	;;#ASMSTART
	v_dot2_f32_f16 v64, v15, v11, v64
	;;#ASMEND
	s_waitcnt lgkmcnt(3)
	;;#ASMSTART
	v_dot2_f32_f16 v81, v12, v104, v81
	;;#ASMEND
	;;#ASMSTART
	v_dot2_f32_f16 v81, v13, v105, v81
	;;#ASMEND
	;;#ASMSTART
	v_dot2_f32_f16 v81, v14, v106, v81
	;;#ASMEND
	;;#ASMSTART
	v_dot2_f32_f16 v81, v15, v107, v81
	;;#ASMEND
	s_waitcnt lgkmcnt(2)
	;;#ASMSTART
	v_dot2_f32_f16 v98, v108, v0, v98
	;;#ASMEND
	;;#ASMSTART
	v_dot2_f32_f16 v98, v109, v1, v98
	;;#ASMEND
	;;#ASMSTART
	v_dot2_f32_f16 v98, v110, v2, v98
	;;#ASMEND
	;;#ASMSTART
	v_dot2_f32_f16 v98, v111, v3, v98
	;;#ASMEND
	;;#ASMSTART
	v_dot2_f32_f16 v96, v108, v4, v96
	;;#ASMEND
	;;#ASMSTART
	v_dot2_f32_f16 v96, v109, v5, v96
	;;#ASMEND
	;; [unrolled: 3-line block ×12, first 2 shown]
	s_waitcnt lgkmcnt(1)
	;;#ASMSTART
	v_dot2_f32_f16 v102, v112, v0, v102
	;;#ASMEND
	;;#ASMSTART
	v_dot2_f32_f16 v102, v113, v1, v102
	;;#ASMEND
	;; [unrolled: 3-line block ×16, first 2 shown]
	s_waitcnt lgkmcnt(0)
	;;#ASMSTART
	v_dot2_f32_f16 v89, v116, v0, v89
	;;#ASMEND
	;;#ASMSTART
	v_dot2_f32_f16 v89, v117, v1, v89
	;;#ASMEND
	;;#ASMSTART
	v_dot2_f32_f16 v89, v118, v2, v89
	;;#ASMEND
	;;#ASMSTART
	v_dot2_f32_f16 v89, v119, v3, v89
	;;#ASMEND
	;;#ASMSTART
	v_dot2_f32_f16 v97, v116, v4, v97
	;;#ASMEND
	;;#ASMSTART
	v_dot2_f32_f16 v97, v117, v5, v97
	;;#ASMEND
	;;#ASMSTART
	v_dot2_f32_f16 v97, v118, v6, v97
	;;#ASMEND
	;;#ASMSTART
	v_dot2_f32_f16 v97, v119, v7, v97
	;;#ASMEND
	;;#ASMSTART
	v_dot2_f32_f16 v83, v116, v8, v83
	;;#ASMEND
	;;#ASMSTART
	v_dot2_f32_f16 v83, v117, v9, v83
	;;#ASMEND
	;;#ASMSTART
	v_dot2_f32_f16 v83, v118, v10, v83
	;;#ASMEND
	;;#ASMSTART
	v_dot2_f32_f16 v83, v119, v11, v83
	;;#ASMEND
	;;#ASMSTART
	v_dot2_f32_f16 v94, v116, v104, v94
	;;#ASMEND
	;;#ASMSTART
	v_dot2_f32_f16 v94, v117, v105, v94
	;;#ASMEND
	;;#ASMSTART
	v_dot2_f32_f16 v94, v118, v106, v94
	;;#ASMEND
	;;#ASMSTART
	v_dot2_f32_f16 v94, v119, v107, v94
	;;#ASMEND
	ds_load_b128 v[0:3], v39 offset:32864
	ds_load_b128 v[4:7], v103 offset:96
	;; [unrolled: 1-line block ×8, first 2 shown]
	s_waitcnt lgkmcnt(6)
	;;#ASMSTART
	v_dot2_f32_f16 v80, v0, v4, v80
	;;#ASMEND
	;;#ASMSTART
	v_dot2_f32_f16 v80, v1, v5, v80
	;;#ASMEND
	;;#ASMSTART
	v_dot2_f32_f16 v80, v2, v6, v80
	;;#ASMEND
	;;#ASMSTART
	v_dot2_f32_f16 v80, v3, v7, v80
	;;#ASMEND
	s_waitcnt lgkmcnt(5)
	;;#ASMSTART
	v_dot2_f32_f16 v82, v0, v8, v82
	;;#ASMEND
	;;#ASMSTART
	v_dot2_f32_f16 v82, v1, v9, v82
	;;#ASMEND
	;;#ASMSTART
	v_dot2_f32_f16 v82, v2, v10, v82
	;;#ASMEND
	;;#ASMSTART
	v_dot2_f32_f16 v82, v3, v11, v82
	;;#ASMEND
	;; [unrolled: 13-line block ×5, first 2 shown]
	;;#ASMSTART
	v_dot2_f32_f16 v96, v108, v8, v96
	;;#ASMEND
	;;#ASMSTART
	v_dot2_f32_f16 v96, v109, v9, v96
	;;#ASMEND
	;; [unrolled: 3-line block ×12, first 2 shown]
	s_waitcnt lgkmcnt(1)
	;;#ASMSTART
	v_dot2_f32_f16 v102, v112, v4, v102
	;;#ASMEND
	;;#ASMSTART
	v_dot2_f32_f16 v102, v113, v5, v102
	;;#ASMEND
	;; [unrolled: 3-line block ×16, first 2 shown]
	s_waitcnt lgkmcnt(0)
	;;#ASMSTART
	v_dot2_f32_f16 v89, v116, v4, v89
	;;#ASMEND
	;;#ASMSTART
	v_dot2_f32_f16 v89, v117, v5, v89
	;;#ASMEND
	;; [unrolled: 3-line block ×16, first 2 shown]
	ds_load_b128 v[0:3], v39 offset:32880
	ds_load_b128 v[4:7], v103 offset:112
	;; [unrolled: 1-line block ×8, first 2 shown]
	s_waitcnt lgkmcnt(6)
	;;#ASMSTART
	v_dot2_f32_f16 v80, v0, v4, v80
	;;#ASMEND
	;;#ASMSTART
	v_dot2_f32_f16 v80, v1, v5, v80
	;;#ASMEND
	;;#ASMSTART
	v_dot2_f32_f16 v80, v2, v6, v80
	;;#ASMEND
	;;#ASMSTART
	v_dot2_f32_f16 v80, v3, v7, v80
	;;#ASMEND
	s_waitcnt lgkmcnt(5)
	;;#ASMSTART
	v_dot2_f32_f16 v82, v0, v8, v82
	;;#ASMEND
	;;#ASMSTART
	v_dot2_f32_f16 v82, v1, v9, v82
	;;#ASMEND
	;;#ASMSTART
	v_dot2_f32_f16 v82, v2, v10, v82
	;;#ASMEND
	;;#ASMSTART
	v_dot2_f32_f16 v82, v3, v11, v82
	;;#ASMEND
	;; [unrolled: 13-line block ×5, first 2 shown]
	;;#ASMSTART
	v_dot2_f32_f16 v96, v107, v8, v96
	;;#ASMEND
	;;#ASMSTART
	v_dot2_f32_f16 v96, v108, v9, v96
	;;#ASMEND
	;; [unrolled: 3-line block ×5, first 2 shown]
	s_lshl_b64 s[22:23], s[8:9], 2
	;;#ASMSTART
	v_dot2_f32_f16 v95, v108, v13, v95
	;;#ASMEND
	;;#ASMSTART
	v_dot2_f32_f16 v95, v109, v14, v95
	;;#ASMEND
	s_add_u32 s8, s18, s22
	;;#ASMSTART
	v_dot2_f32_f16 v95, v110, v15, v95
	;;#ASMEND
	;;#ASMSTART
	v_dot2_f32_f16 v88, v107, v103, v88
	;;#ASMEND
	;; [unrolled: 3-line block ×3, first 2 shown]
	s_addc_u32 s22, s19, s23
	v_add_co_u32 v120, vcc_lo, s8, v19
	;;#ASMSTART
	v_dot2_f32_f16 v88, v109, v105, v88
	;;#ASMEND
	;;#ASMSTART
	v_dot2_f32_f16 v88, v110, v106, v88
	;;#ASMEND
	s_waitcnt lgkmcnt(1)
	;;#ASMSTART
	v_dot2_f32_f16 v102, v111, v4, v102
	;;#ASMEND
	v_add_co_ci_u32_e32 v121, vcc_lo, s22, v20, vcc_lo
	;;#ASMSTART
	v_dot2_f32_f16 v102, v112, v5, v102
	;;#ASMEND
	v_add_co_u32 v122, vcc_lo, s8, v21
	;;#ASMSTART
	v_dot2_f32_f16 v102, v113, v6, v102
	;;#ASMEND
	;;#ASMSTART
	v_dot2_f32_f16 v102, v114, v7, v102
	;;#ASMEND
	;;#ASMSTART
	v_dot2_f32_f16 v101, v111, v8, v101
	;;#ASMEND
	v_add_co_ci_u32_e32 v123, vcc_lo, s22, v22, vcc_lo
	;;#ASMSTART
	v_dot2_f32_f16 v101, v112, v9, v101
	;;#ASMEND
	v_add_co_u32 v124, vcc_lo, s8, v23
	;;#ASMSTART
	v_dot2_f32_f16 v101, v113, v10, v101
	;;#ASMEND
	;;#ASMSTART
	v_dot2_f32_f16 v101, v114, v11, v101
	;;#ASMEND
	;; [unrolled: 14-line block ×4, first 2 shown]
	s_waitcnt lgkmcnt(0)
	;;#ASMSTART
	v_dot2_f32_f16 v89, v115, v4, v89
	;;#ASMEND
	v_add_co_ci_u32_e32 v120, vcc_lo, 0, v121, vcc_lo
	;;#ASMSTART
	v_dot2_f32_f16 v89, v116, v5, v89
	;;#ASMEND
	v_add_co_u32 v121, vcc_lo, v122, v46
	;;#ASMSTART
	v_dot2_f32_f16 v89, v117, v6, v89
	;;#ASMEND
	;;#ASMSTART
	v_dot2_f32_f16 v89, v118, v7, v89
	;;#ASMEND
	;;#ASMSTART
	v_dot2_f32_f16 v97, v115, v8, v97
	;;#ASMEND
	v_add_co_ci_u32_e32 v122, vcc_lo, 0, v123, vcc_lo
	;;#ASMSTART
	v_dot2_f32_f16 v97, v116, v9, v97
	;;#ASMEND
	v_add_co_u32 v123, vcc_lo, v124, v46
	;;#ASMSTART
	v_dot2_f32_f16 v97, v117, v10, v97
	;;#ASMEND
	;;#ASMSTART
	v_dot2_f32_f16 v97, v118, v11, v97
	;;#ASMEND
	;; [unrolled: 14-line block ×3, first 2 shown]
	;;#ASMSTART
	v_dot2_f32_f16 v94, v115, v103, v94
	;;#ASMEND
	v_add_co_ci_u32_e32 v126, vcc_lo, 0, v127, vcc_lo
	;;#ASMSTART
	v_dot2_f32_f16 v94, v116, v104, v94
	;;#ASMEND
	;;#ASMSTART
	v_dot2_f32_f16 v94, v117, v105, v94
	;;#ASMEND
	;; [unrolled: 3-line block ×3, first 2 shown]
	s_barrier
	buffer_gl0_inv
	s_clause 0x3
	global_load_b128 v[1:4], v[119:120], off
	global_load_b128 v[5:8], v[121:122], off
	;; [unrolled: 1-line block ×4, first 2 shown]
	v_lshl_add_u32 v0, s21, 1, v32
	s_waitcnt vmcnt(3)
	ds_store_b128 v34, v[1:4]
	s_waitcnt vmcnt(2)
	ds_store_b128 v35, v[5:8]
	;; [unrolled: 2-line block ×4, first 2 shown]
	s_waitcnt lgkmcnt(0)
	s_barrier
	buffer_gl0_inv
	ds_load_b128 v[1:4], v39 offset:32768
	ds_load_b128 v[5:8], v0
	ds_load_b128 v[9:12], v0 offset:1024
	ds_load_b128 v[103:106], v0 offset:2048
	;; [unrolled: 1-line block ×6, first 2 shown]
	s_waitcnt lgkmcnt(6)
	;;#ASMSTART
	v_dot2_f32_f16 v80, v1, v5, v80
	;;#ASMEND
	;;#ASMSTART
	v_dot2_f32_f16 v80, v2, v6, v80
	;;#ASMEND
	;;#ASMSTART
	v_dot2_f32_f16 v80, v3, v7, v80
	;;#ASMEND
	;;#ASMSTART
	v_dot2_f32_f16 v80, v4, v8, v80
	;;#ASMEND
	s_waitcnt lgkmcnt(5)
	;;#ASMSTART
	v_dot2_f32_f16 v82, v1, v9, v82
	;;#ASMEND
	;;#ASMSTART
	v_dot2_f32_f16 v82, v2, v10, v82
	;;#ASMEND
	;;#ASMSTART
	v_dot2_f32_f16 v82, v3, v11, v82
	;;#ASMEND
	;;#ASMSTART
	v_dot2_f32_f16 v82, v4, v12, v82
	;;#ASMEND
	;; [unrolled: 13-line block ×5, first 2 shown]
	;;#ASMSTART
	v_dot2_f32_f16 v96, v111, v9, v96
	;;#ASMEND
	;;#ASMSTART
	v_dot2_f32_f16 v96, v112, v10, v96
	;;#ASMEND
	;; [unrolled: 3-line block ×12, first 2 shown]
	s_waitcnt lgkmcnt(1)
	;;#ASMSTART
	v_dot2_f32_f16 v102, v115, v5, v102
	;;#ASMEND
	;;#ASMSTART
	v_dot2_f32_f16 v102, v116, v6, v102
	;;#ASMEND
	;; [unrolled: 3-line block ×16, first 2 shown]
	s_waitcnt lgkmcnt(0)
	;;#ASMSTART
	v_dot2_f32_f16 v89, v119, v5, v89
	;;#ASMEND
	;;#ASMSTART
	v_dot2_f32_f16 v89, v120, v6, v89
	;;#ASMEND
	;; [unrolled: 3-line block ×16, first 2 shown]
	ds_load_b128 v[1:4], v39 offset:32784
	ds_load_b128 v[5:8], v0 offset:16
	ds_load_b128 v[9:12], v0 offset:1040
	ds_load_b128 v[103:106], v0 offset:2064
	ds_load_b128 v[107:110], v0 offset:3088
	ds_load_b128 v[111:114], v39 offset:37392
	ds_load_b128 v[115:118], v39 offset:42000
	ds_load_b128 v[119:122], v39 offset:46608
	s_waitcnt lgkmcnt(6)
	;;#ASMSTART
	v_dot2_f32_f16 v80, v1, v5, v80
	;;#ASMEND
	;;#ASMSTART
	v_dot2_f32_f16 v80, v2, v6, v80
	;;#ASMEND
	;;#ASMSTART
	v_dot2_f32_f16 v80, v3, v7, v80
	;;#ASMEND
	;;#ASMSTART
	v_dot2_f32_f16 v80, v4, v8, v80
	;;#ASMEND
	s_waitcnt lgkmcnt(5)
	;;#ASMSTART
	v_dot2_f32_f16 v82, v1, v9, v82
	;;#ASMEND
	;;#ASMSTART
	v_dot2_f32_f16 v82, v2, v10, v82
	;;#ASMEND
	;;#ASMSTART
	v_dot2_f32_f16 v82, v3, v11, v82
	;;#ASMEND
	;;#ASMSTART
	v_dot2_f32_f16 v82, v4, v12, v82
	;;#ASMEND
	;; [unrolled: 13-line block ×5, first 2 shown]
	;;#ASMSTART
	v_dot2_f32_f16 v96, v111, v9, v96
	;;#ASMEND
	;;#ASMSTART
	v_dot2_f32_f16 v96, v112, v10, v96
	;;#ASMEND
	;; [unrolled: 3-line block ×12, first 2 shown]
	s_waitcnt lgkmcnt(1)
	;;#ASMSTART
	v_dot2_f32_f16 v102, v115, v5, v102
	;;#ASMEND
	;;#ASMSTART
	v_dot2_f32_f16 v102, v116, v6, v102
	;;#ASMEND
	;; [unrolled: 3-line block ×16, first 2 shown]
	s_waitcnt lgkmcnt(0)
	;;#ASMSTART
	v_dot2_f32_f16 v89, v119, v5, v89
	;;#ASMEND
	;;#ASMSTART
	v_dot2_f32_f16 v89, v120, v6, v89
	;;#ASMEND
	;; [unrolled: 3-line block ×16, first 2 shown]
	ds_load_b128 v[1:4], v39 offset:32800
	ds_load_b128 v[5:8], v0 offset:32
	;; [unrolled: 1-line block ×8, first 2 shown]
	s_waitcnt lgkmcnt(6)
	;;#ASMSTART
	v_dot2_f32_f16 v80, v1, v5, v80
	;;#ASMEND
	;;#ASMSTART
	v_dot2_f32_f16 v80, v2, v6, v80
	;;#ASMEND
	;;#ASMSTART
	v_dot2_f32_f16 v80, v3, v7, v80
	;;#ASMEND
	;;#ASMSTART
	v_dot2_f32_f16 v80, v4, v8, v80
	;;#ASMEND
	s_waitcnt lgkmcnt(5)
	;;#ASMSTART
	v_dot2_f32_f16 v82, v1, v9, v82
	;;#ASMEND
	;;#ASMSTART
	v_dot2_f32_f16 v82, v2, v10, v82
	;;#ASMEND
	;;#ASMSTART
	v_dot2_f32_f16 v82, v3, v11, v82
	;;#ASMEND
	;;#ASMSTART
	v_dot2_f32_f16 v82, v4, v12, v82
	;;#ASMEND
	;; [unrolled: 13-line block ×5, first 2 shown]
	;;#ASMSTART
	v_dot2_f32_f16 v96, v111, v9, v96
	;;#ASMEND
	;;#ASMSTART
	v_dot2_f32_f16 v96, v112, v10, v96
	;;#ASMEND
	;; [unrolled: 3-line block ×12, first 2 shown]
	s_waitcnt lgkmcnt(1)
	;;#ASMSTART
	v_dot2_f32_f16 v102, v115, v5, v102
	;;#ASMEND
	;;#ASMSTART
	v_dot2_f32_f16 v102, v116, v6, v102
	;;#ASMEND
	;; [unrolled: 3-line block ×16, first 2 shown]
	s_waitcnt lgkmcnt(0)
	;;#ASMSTART
	v_dot2_f32_f16 v89, v119, v5, v89
	;;#ASMEND
	;;#ASMSTART
	v_dot2_f32_f16 v89, v120, v6, v89
	;;#ASMEND
	;; [unrolled: 3-line block ×16, first 2 shown]
	ds_load_b128 v[1:4], v39 offset:32816
	ds_load_b128 v[5:8], v0 offset:48
	;; [unrolled: 1-line block ×8, first 2 shown]
	s_waitcnt lgkmcnt(6)
	;;#ASMSTART
	v_dot2_f32_f16 v80, v1, v5, v80
	;;#ASMEND
	;;#ASMSTART
	v_dot2_f32_f16 v80, v2, v6, v80
	;;#ASMEND
	;;#ASMSTART
	v_dot2_f32_f16 v80, v3, v7, v80
	;;#ASMEND
	;;#ASMSTART
	v_dot2_f32_f16 v80, v4, v8, v80
	;;#ASMEND
	s_waitcnt lgkmcnt(5)
	;;#ASMSTART
	v_dot2_f32_f16 v82, v1, v9, v82
	;;#ASMEND
	;;#ASMSTART
	v_dot2_f32_f16 v82, v2, v10, v82
	;;#ASMEND
	;;#ASMSTART
	v_dot2_f32_f16 v82, v3, v11, v82
	;;#ASMEND
	;;#ASMSTART
	v_dot2_f32_f16 v82, v4, v12, v82
	;;#ASMEND
	;; [unrolled: 13-line block ×5, first 2 shown]
	;;#ASMSTART
	v_dot2_f32_f16 v96, v111, v9, v96
	;;#ASMEND
	;;#ASMSTART
	v_dot2_f32_f16 v96, v112, v10, v96
	;;#ASMEND
	;; [unrolled: 3-line block ×12, first 2 shown]
	s_waitcnt lgkmcnt(1)
	;;#ASMSTART
	v_dot2_f32_f16 v102, v115, v5, v102
	;;#ASMEND
	;;#ASMSTART
	v_dot2_f32_f16 v102, v116, v6, v102
	;;#ASMEND
	;; [unrolled: 3-line block ×16, first 2 shown]
	s_waitcnt lgkmcnt(0)
	;;#ASMSTART
	v_dot2_f32_f16 v89, v119, v5, v89
	;;#ASMEND
	;;#ASMSTART
	v_dot2_f32_f16 v89, v120, v6, v89
	;;#ASMEND
	;; [unrolled: 3-line block ×16, first 2 shown]
	ds_load_b128 v[1:4], v39 offset:32832
	ds_load_b128 v[5:8], v0 offset:64
	;; [unrolled: 1-line block ×8, first 2 shown]
	s_waitcnt lgkmcnt(6)
	;;#ASMSTART
	v_dot2_f32_f16 v80, v1, v5, v80
	;;#ASMEND
	;;#ASMSTART
	v_dot2_f32_f16 v80, v2, v6, v80
	;;#ASMEND
	;;#ASMSTART
	v_dot2_f32_f16 v80, v3, v7, v80
	;;#ASMEND
	;;#ASMSTART
	v_dot2_f32_f16 v80, v4, v8, v80
	;;#ASMEND
	s_waitcnt lgkmcnt(5)
	;;#ASMSTART
	v_dot2_f32_f16 v82, v1, v9, v82
	;;#ASMEND
	;;#ASMSTART
	v_dot2_f32_f16 v82, v2, v10, v82
	;;#ASMEND
	;;#ASMSTART
	v_dot2_f32_f16 v82, v3, v11, v82
	;;#ASMEND
	;;#ASMSTART
	v_dot2_f32_f16 v82, v4, v12, v82
	;;#ASMEND
	;; [unrolled: 13-line block ×5, first 2 shown]
	;;#ASMSTART
	v_dot2_f32_f16 v96, v111, v9, v96
	;;#ASMEND
	;;#ASMSTART
	v_dot2_f32_f16 v96, v112, v10, v96
	;;#ASMEND
	;; [unrolled: 3-line block ×12, first 2 shown]
	s_waitcnt lgkmcnt(1)
	;;#ASMSTART
	v_dot2_f32_f16 v102, v115, v5, v102
	;;#ASMEND
	;;#ASMSTART
	v_dot2_f32_f16 v102, v116, v6, v102
	;;#ASMEND
	;; [unrolled: 3-line block ×16, first 2 shown]
	s_waitcnt lgkmcnt(0)
	;;#ASMSTART
	v_dot2_f32_f16 v89, v119, v5, v89
	;;#ASMEND
	;;#ASMSTART
	v_dot2_f32_f16 v89, v120, v6, v89
	;;#ASMEND
	;; [unrolled: 3-line block ×16, first 2 shown]
	ds_load_b128 v[1:4], v39 offset:32848
	ds_load_b128 v[5:8], v0 offset:80
	;; [unrolled: 1-line block ×8, first 2 shown]
	s_waitcnt lgkmcnt(6)
	;;#ASMSTART
	v_dot2_f32_f16 v80, v1, v5, v80
	;;#ASMEND
	;;#ASMSTART
	v_dot2_f32_f16 v80, v2, v6, v80
	;;#ASMEND
	;;#ASMSTART
	v_dot2_f32_f16 v80, v3, v7, v80
	;;#ASMEND
	;;#ASMSTART
	v_dot2_f32_f16 v80, v4, v8, v80
	;;#ASMEND
	s_waitcnt lgkmcnt(5)
	;;#ASMSTART
	v_dot2_f32_f16 v82, v1, v9, v82
	;;#ASMEND
	;;#ASMSTART
	v_dot2_f32_f16 v82, v2, v10, v82
	;;#ASMEND
	;;#ASMSTART
	v_dot2_f32_f16 v82, v3, v11, v82
	;;#ASMEND
	;;#ASMSTART
	v_dot2_f32_f16 v82, v4, v12, v82
	;;#ASMEND
	;; [unrolled: 13-line block ×5, first 2 shown]
	;;#ASMSTART
	v_dot2_f32_f16 v96, v111, v9, v96
	;;#ASMEND
	;;#ASMSTART
	v_dot2_f32_f16 v96, v112, v10, v96
	;;#ASMEND
	;;#ASMSTART
	v_dot2_f32_f16 v96, v113, v11, v96
	;;#ASMEND
	;;#ASMSTART
	v_dot2_f32_f16 v96, v114, v12, v96
	;;#ASMEND
	;;#ASMSTART
	v_dot2_f32_f16 v95, v111, v103, v95
	;;#ASMEND
	;;#ASMSTART
	v_dot2_f32_f16 v95, v112, v104, v95
	;;#ASMEND
	;;#ASMSTART
	v_dot2_f32_f16 v95, v113, v105, v95
	;;#ASMEND
	;;#ASMSTART
	v_dot2_f32_f16 v95, v114, v106, v95
	;;#ASMEND
	;;#ASMSTART
	v_dot2_f32_f16 v88, v111, v107, v88
	;;#ASMEND
	;;#ASMSTART
	v_dot2_f32_f16 v88, v112, v108, v88
	;;#ASMEND
	;;#ASMSTART
	v_dot2_f32_f16 v88, v113, v109, v88
	;;#ASMEND
	;;#ASMSTART
	v_dot2_f32_f16 v88, v114, v110, v88
	;;#ASMEND
	s_waitcnt lgkmcnt(1)
	;;#ASMSTART
	v_dot2_f32_f16 v102, v115, v5, v102
	;;#ASMEND
	;;#ASMSTART
	v_dot2_f32_f16 v102, v116, v6, v102
	;;#ASMEND
	;; [unrolled: 3-line block ×16, first 2 shown]
	s_waitcnt lgkmcnt(0)
	;;#ASMSTART
	v_dot2_f32_f16 v89, v119, v5, v89
	;;#ASMEND
	;;#ASMSTART
	v_dot2_f32_f16 v89, v120, v6, v89
	;;#ASMEND
	;; [unrolled: 3-line block ×16, first 2 shown]
	ds_load_b128 v[1:4], v39 offset:32864
	ds_load_b128 v[5:8], v0 offset:96
	ds_load_b128 v[9:12], v0 offset:1120
	ds_load_b128 v[103:106], v0 offset:2144
	ds_load_b128 v[107:110], v0 offset:3168
	ds_load_b128 v[111:114], v39 offset:37472
	ds_load_b128 v[115:118], v39 offset:42080
	ds_load_b128 v[119:122], v39 offset:46688
	s_waitcnt lgkmcnt(6)
	;;#ASMSTART
	v_dot2_f32_f16 v80, v1, v5, v80
	;;#ASMEND
	;;#ASMSTART
	v_dot2_f32_f16 v80, v2, v6, v80
	;;#ASMEND
	;;#ASMSTART
	v_dot2_f32_f16 v80, v3, v7, v80
	;;#ASMEND
	;;#ASMSTART
	v_dot2_f32_f16 v80, v4, v8, v80
	;;#ASMEND
	s_waitcnt lgkmcnt(5)
	;;#ASMSTART
	v_dot2_f32_f16 v82, v1, v9, v82
	;;#ASMEND
	;;#ASMSTART
	v_dot2_f32_f16 v82, v2, v10, v82
	;;#ASMEND
	;;#ASMSTART
	v_dot2_f32_f16 v82, v3, v11, v82
	;;#ASMEND
	;;#ASMSTART
	v_dot2_f32_f16 v82, v4, v12, v82
	;;#ASMEND
	;; [unrolled: 13-line block ×5, first 2 shown]
	;;#ASMSTART
	v_dot2_f32_f16 v96, v111, v9, v96
	;;#ASMEND
	;;#ASMSTART
	v_dot2_f32_f16 v96, v112, v10, v96
	;;#ASMEND
	;; [unrolled: 3-line block ×12, first 2 shown]
	s_waitcnt lgkmcnt(1)
	;;#ASMSTART
	v_dot2_f32_f16 v102, v115, v5, v102
	;;#ASMEND
	;;#ASMSTART
	v_dot2_f32_f16 v102, v116, v6, v102
	;;#ASMEND
	;; [unrolled: 3-line block ×16, first 2 shown]
	s_waitcnt lgkmcnt(0)
	;;#ASMSTART
	v_dot2_f32_f16 v89, v119, v5, v89
	;;#ASMEND
	;;#ASMSTART
	v_dot2_f32_f16 v89, v120, v6, v89
	;;#ASMEND
	;; [unrolled: 3-line block ×16, first 2 shown]
	ds_load_b128 v[1:4], v39 offset:32880
	ds_load_b128 v[5:8], v0 offset:112
	;; [unrolled: 1-line block ×8, first 2 shown]
	s_waitcnt lgkmcnt(6)
	;;#ASMSTART
	v_dot2_f32_f16 v80, v1, v5, v80
	;;#ASMEND
	;;#ASMSTART
	v_dot2_f32_f16 v80, v2, v6, v80
	;;#ASMEND
	;;#ASMSTART
	v_dot2_f32_f16 v80, v3, v7, v80
	;;#ASMEND
	;;#ASMSTART
	v_dot2_f32_f16 v80, v4, v8, v80
	;;#ASMEND
	s_waitcnt lgkmcnt(5)
	;;#ASMSTART
	v_dot2_f32_f16 v82, v1, v9, v82
	;;#ASMEND
	;;#ASMSTART
	v_dot2_f32_f16 v82, v2, v10, v82
	;;#ASMEND
	;;#ASMSTART
	v_dot2_f32_f16 v82, v3, v11, v82
	;;#ASMEND
	;;#ASMSTART
	v_dot2_f32_f16 v82, v4, v12, v82
	;;#ASMEND
	;; [unrolled: 13-line block ×5, first 2 shown]
	;;#ASMSTART
	v_dot2_f32_f16 v96, v111, v9, v96
	;;#ASMEND
	;;#ASMSTART
	v_dot2_f32_f16 v96, v112, v10, v96
	;;#ASMEND
	;; [unrolled: 3-line block ×12, first 2 shown]
	s_waitcnt lgkmcnt(1)
	;;#ASMSTART
	v_dot2_f32_f16 v102, v115, v5, v102
	;;#ASMEND
	;;#ASMSTART
	v_dot2_f32_f16 v102, v116, v6, v102
	;;#ASMEND
	;; [unrolled: 3-line block ×16, first 2 shown]
	s_waitcnt lgkmcnt(0)
	;;#ASMSTART
	v_dot2_f32_f16 v89, v119, v5, v89
	;;#ASMEND
	;;#ASMSTART
	v_dot2_f32_f16 v89, v120, v6, v89
	;;#ASMEND
	;; [unrolled: 3-line block ×7, first 2 shown]
	s_cmpk_gt_u32 s21, 0x1bf
	;;#ASMSTART
	v_dot2_f32_f16 v97, v122, v12, v97
	;;#ASMEND
	;;#ASMSTART
	v_dot2_f32_f16 v83, v119, v103, v83
	;;#ASMEND
	;; [unrolled: 3-line block ×3, first 2 shown]
	s_cselect_b32 s8, -1, 0
	;;#ASMSTART
	v_dot2_f32_f16 v83, v121, v105, v83
	;;#ASMEND
	;;#ASMSTART
	v_dot2_f32_f16 v83, v122, v106, v83
	;;#ASMEND
	;; [unrolled: 3-line block ×3, first 2 shown]
	s_and_b32 vcc_lo, exec_lo, s8
	;;#ASMSTART
	v_dot2_f32_f16 v94, v120, v108, v94
	;;#ASMEND
	;;#ASMSTART
	v_dot2_f32_f16 v94, v121, v109, v94
	;;#ASMEND
	;; [unrolled: 3-line block ×3, first 2 shown]
	s_cbranch_vccnz .LBB13_10
; %bb.12:                               ;   in Loop: Header=BB13_11 Depth=2
	s_barrier
	buffer_gl0_inv
	s_branch .LBB13_10
.LBB13_13:                              ;   in Loop: Header=BB13_9 Depth=1
	v_xor_b32_e32 v12, 16, v33
	v_add_nc_u32_e32 v0, s3, v18
	s_mul_hi_i32 s19, s3, s10
	s_mul_i32 s18, s3, s10
	v_add_nc_u32_e32 v119, v40, v41
	s_lshl_b64 s[18:19], s[18:19], 2
	v_ashrrev_i32_e32 v1, 31, v0
	s_add_u32 s8, s11, s18
	s_addc_u32 s18, s17, s19
	s_delay_alu instid0(VALU_DEP_1) | instskip(NEXT) | instid1(VALU_DEP_1)
	v_lshlrev_b64 v[0:1], 1, v[0:1]
	v_add_co_u32 v3, vcc_lo, s36, v0
	s_delay_alu instid0(VALU_DEP_2)
	v_add_co_ci_u32_e32 v4, vcc_lo, s37, v1, vcc_lo
	s_clause 0x3
	flat_load_u16 v0, v[3:4] offset:64
	flat_load_u16 v2, v[3:4] offset:128
	flat_load_u16 v1, v[3:4]
	flat_load_u16 v3, v[3:4] offset:192
	v_add_co_u32 v4, vcc_lo, s8, v27
	v_add_co_ci_u32_e32 v5, vcc_lo, s18, v28, vcc_lo
	s_waitcnt vmcnt(0) lgkmcnt(0)
	s_delay_alu instid0(VALU_DEP_2) | instskip(NEXT) | instid1(VALU_DEP_2)
	v_add_co_u32 v8, vcc_lo, v4, v38
	v_add_co_ci_u32_e32 v9, vcc_lo, 0, v5, vcc_lo
	s_barrier
	buffer_gl0_inv
	s_clause 0x1
	global_load_b128 v[4:7], v[8:9], off
	global_load_b128 v[8:11], v[8:9], off offset:512
	v_cmp_gt_i32_e32 vcc_lo, 32, v12
	v_cndmask_b32_e32 v13, v33, v12, vcc_lo
	v_cvt_f32_f16_e32 v0, v0
	v_cvt_f32_f16_e32 v2, v2
	;; [unrolled: 1-line block ×3, first 2 shown]
	s_delay_alu instid0(VALU_DEP_4) | instskip(SKIP_2) | instid1(VALU_DEP_4)
	v_lshlrev_b32_e32 v13, 2, v13
	v_cvt_f32_f16_e32 v3, v3
	v_add_f32_e32 v98, v98, v0
	v_dual_add_f32 v105, v88, v0 :: v_dual_add_f32 v106, v82, v1
	s_delay_alu instid0(VALU_DEP_3)
	v_dual_add_f32 v107, v80, v1 :: v_dual_add_f32 v112, v94, v3
	v_dual_add_f32 v102, v102, v2 :: v_dual_add_f32 v103, v96, v0
	;; [unrolled: 1-line block ×12, first 2 shown]
	v_max3_f32 v0, v90, v14, v0
	v_dual_add_f32 v82, 0x40051340, v108 :: v_dual_add_f32 v83, 0x40051340, v111
	v_dual_add_f32 v94, 0x40051340, v99 :: v_dual_add_f32 v95, 0x40051340, v113
	v_add_f32_e32 v14, 0x40051340, v112
	v_max3_f32 v1, v93, v15, v1
	v_max3_f32 v3, v91, v88, v3
	;; [unrolled: 1-line block ×4, first 2 shown]
	s_delay_alu instid0(VALU_DEP_4) | instskip(NEXT) | instid1(VALU_DEP_4)
	v_max3_f32 v1, v1, v80, v82
	v_max3_f32 v3, v3, v94, v14
	ds_bpermute_b32 v14, v13, v0
	v_max3_f32 v2, v2, v89, v95
	v_add_nc_u32_e32 v89, 0x8000, v41
	ds_bpermute_b32 v15, v13, v1
	ds_bpermute_b32 v64, v13, v3
	;; [unrolled: 1-line block ×3, first 2 shown]
	v_xor_b32_e32 v13, 8, v33
	s_delay_alu instid0(VALU_DEP_1) | instskip(SKIP_2) | instid1(VALU_DEP_1)
	v_cmp_gt_i32_e32 vcc_lo, 32, v13
	s_waitcnt lgkmcnt(3)
	v_dual_cndmask_b32 v81, v33, v13 :: v_dual_max_f32 v14, v14, v14
	v_lshlrev_b32_e32 v81, 2, v81
	s_waitcnt lgkmcnt(1)
	v_dual_max_f32 v15, v15, v15 :: v_dual_max_f32 v64, v64, v64
	s_delay_alu instid0(VALU_DEP_3)
	v_max_f32_e32 v0, v0, v14
	s_waitcnt lgkmcnt(0)
	v_max_f32_e32 v80, v80, v80
	v_xor_b32_e32 v14, 4, v33
	v_max_f32_e32 v1, v1, v15
	v_max_f32_e32 v3, v3, v64
	ds_bpermute_b32 v15, v81, v0
	v_max_f32_e32 v2, v2, v80
	v_cmp_gt_i32_e32 vcc_lo, 32, v14
	ds_bpermute_b32 v64, v81, v1
	ds_bpermute_b32 v80, v81, v3
	s_waitcnt lgkmcnt(2)
	v_max_f32_e32 v15, v15, v15
	ds_bpermute_b32 v81, v81, v2
	s_waitcnt lgkmcnt(1)
	v_max_f32_e32 v80, v80, v80
	v_max_f32_e32 v0, v0, v15
	v_xor_b32_e32 v15, 2, v33
	v_cndmask_b32_e32 v82, v33, v14, vcc_lo
	s_delay_alu instid0(VALU_DEP_2) | instskip(SKIP_1) | instid1(VALU_DEP_1)
	v_cmp_gt_i32_e32 vcc_lo, 32, v15
	v_dual_max_f32 v64, v64, v64 :: v_dual_cndmask_b32 v83, v33, v15
	v_max_f32_e32 v1, v1, v64
	s_delay_alu instid0(VALU_DEP_2)
	v_lshlrev_b32_e32 v83, 2, v83
	v_dual_max_f32 v3, v3, v80 :: v_dual_lshlrev_b32 v82, 2, v82
	s_waitcnt lgkmcnt(0)
	v_max_f32_e32 v81, v81, v81
	ds_bpermute_b32 v80, v82, v1
	ds_bpermute_b32 v64, v82, v0
	s_waitcnt lgkmcnt(1)
	v_max_f32_e32 v80, v80, v80
	v_max_f32_e32 v2, v2, v81
	ds_bpermute_b32 v81, v82, v3
	s_waitcnt lgkmcnt(0)
	v_dual_max_f32 v64, v64, v64 :: v_dual_max_f32 v81, v81, v81
	s_delay_alu instid0(VALU_DEP_1) | instskip(SKIP_1) | instid1(VALU_DEP_3)
	v_max_f32_e32 v0, v0, v64
	v_xor_b32_e32 v64, 1, v33
	v_max_f32_e32 v3, v3, v81
	v_max_f32_e32 v1, v1, v80
	ds_bpermute_b32 v82, v82, v2
	ds_bpermute_b32 v80, v83, v0
	v_cmp_gt_i32_e32 vcc_lo, 32, v64
	ds_bpermute_b32 v81, v83, v1
	s_waitcnt lgkmcnt(2)
	v_max_f32_e32 v82, v82, v82
	s_waitcnt lgkmcnt(0)
	v_dual_max_f32 v80, v80, v80 :: v_dual_max_f32 v81, v81, v81
	s_delay_alu instid0(VALU_DEP_2)
	v_max_f32_e32 v2, v2, v82
	ds_bpermute_b32 v82, v83, v3
	v_max_f32_e32 v115, v1, v81
	ds_bpermute_b32 v83, v83, v2
	s_waitcnt lgkmcnt(1)
	v_max_f32_e32 v82, v82, v82
	s_waitcnt lgkmcnt(0)
	v_dual_cndmask_b32 v88, v33, v64 :: v_dual_max_f32 v83, v83, v83
	s_delay_alu instid0(VALU_DEP_1)
	v_dual_max_f32 v3, v3, v82 :: v_dual_lshlrev_b32 v88, 2, v88
	v_max_f32_e32 v114, v0, v80
	v_add_co_u32 v0, vcc_lo, s8, v29
	v_add_co_ci_u32_e32 v1, vcc_lo, s18, v30, vcc_lo
	ds_bpermute_b32 v80, v88, v114
	v_add_co_u32 v0, vcc_lo, v0, v38
	v_add_co_ci_u32_e32 v1, vcc_lo, 0, v1, vcc_lo
	ds_bpermute_b32 v116, v88, v115
	v_max_f32_e32 v2, v2, v83
	ds_bpermute_b32 v117, v88, v3
	s_or_b32 s8, s3, 16
	s_delay_alu instid0(SALU_CYCLE_1) | instskip(SKIP_1) | instid1(SALU_CYCLE_1)
	s_mul_hi_i32 s19, s8, s10
	s_mul_i32 s18, s8, s10
	s_lshl_b64 s[18:19], s[18:19], 2
	s_delay_alu instid0(SALU_CYCLE_1)
	s_add_u32 s8, s11, s18
	s_addc_u32 s18, s17, s19
	s_waitcnt lgkmcnt(2)
	v_max_f32_e32 v120, v80, v80
	s_clause 0x1
	global_load_b128 v[80:83], v[0:1], off
	global_load_b128 v[94:97], v[0:1], off offset:512
	s_waitcnt vmcnt(3)
	ds_store_b128 v42, v[4:7]
	s_waitcnt vmcnt(2)
	ds_store_b128 v43, v[8:11]
	s_waitcnt lgkmcnt(3)
	v_max_f32_e32 v1, v116, v116
	ds_bpermute_b32 v118, v88, v2
	v_max_f32_e32 v1, v115, v1
	s_delay_alu instid0(VALU_DEP_1) | instskip(SKIP_2) | instid1(VALU_DEP_1)
	v_sub_f32_e32 v7, v106, v1
	v_dual_max_f32 v0, v114, v120 :: v_dual_sub_f32 v11, v103, v1
	s_waitcnt lgkmcnt(3)
	v_dual_max_f32 v116, v117, v117 :: v_dual_sub_f32 v5, v98, v0
	s_delay_alu instid0(VALU_DEP_1)
	v_dual_max_f32 v3, v3, v116 :: v_dual_add_nc_u32 v88, 0x8800, v41
	v_sub_f32_e32 v4, v90, v0
	v_sub_f32_e32 v9, v109, v0
	s_waitcnt lgkmcnt(0)
	v_dual_max_f32 v117, v118, v118 :: v_dual_sub_f32 v90, v101, v1
	v_dual_sub_f32 v99, v99, v3 :: v_dual_sub_f32 v10, v93, v1
	s_delay_alu instid0(VALU_DEP_2) | instskip(SKIP_2) | instid1(VALU_DEP_3)
	v_dual_sub_f32 v91, v91, v3 :: v_dual_max_f32 v2, v2, v117
	v_sub_f32_e32 v6, v107, v0
	v_dual_sub_f32 v8, v102, v0 :: v_dual_sub_f32 v93, v108, v1
	v_dual_sub_f32 v102, v110, v3 :: v_dual_sub_f32 v101, v111, v2
	v_dual_mul_f32 v111, 0x3fb8aa3b, v4 :: v_dual_sub_f32 v98, v104, v2
	s_delay_alu instid0(VALU_DEP_3)
	v_mul_f32_e32 v109, 0x3fb8aa3b, v8
	v_sub_f32_e32 v103, v113, v2
	v_dual_sub_f32 v104, v105, v3 :: v_dual_mul_f32 v113, 0x3fb8aa3b, v90
	v_mul_f32_e32 v108, 0x3fb8aa3b, v6
	v_dual_mul_f32 v110, 0x3fb8aa3b, v9 :: v_dual_mul_f32 v115, 0x3fb8aa3b, v10
	v_dual_sub_f32 v105, v112, v3 :: v_dual_mul_f32 v106, 0x3fb8aa3b, v5
	v_dual_mul_f32 v112, 0x3fb8aa3b, v11 :: v_dual_mul_f32 v117, 0x3fb8aa3b, v102
	v_mul_f32_e32 v123, 0x3fb8aa3b, v104
	v_fma_f32 v131, 0x3fb8aa3b, v6, -v108
	v_fma_f32 v135, 0x3fb8aa3b, v9, -v110
	v_rndne_f32_e32 v136, v110
	v_dual_sub_f32 v92, v92, v2 :: v_dual_mul_f32 v107, 0x3fb8aa3b, v7
	v_rndne_f32_e32 v140, v112
	v_fma_f32 v149, 0x3fb8aa3b, v102, -v117
	s_delay_alu instid0(VALU_DEP_4)
	v_dual_fmac_f32 v131, 0x32a5705f, v6 :: v_dual_sub_f32 v110, v110, v136
	v_dual_fmac_f32 v135, 0x32a5705f, v9 :: v_dual_sub_f32 v100, v100, v2
	v_mul_f32_e32 v121, 0x3fb8aa3b, v103
	v_fma_f32 v127, 0x3fb8aa3b, v5, -v106
	v_rndne_f32_e32 v128, v106
	v_rndne_f32_e32 v130, v107
	v_mul_f32_e32 v114, 0x3fb8aa3b, v93
	v_fma_f32 v139, 0x3fb8aa3b, v11, -v112
	v_dual_sub_f32 v112, v112, v140 :: v_dual_fmac_f32 v149, 0x32a5705f, v102
	v_add_f32_e32 v110, v110, v135
	v_fma_f32 v129, 0x3fb8aa3b, v7, -v107
	v_fma_f32 v145, 0x3fb8aa3b, v10, -v115
	v_rndne_f32_e32 v156, v121
	v_dual_fmac_f32 v127, 0x32a5705f, v5 :: v_dual_sub_f32 v106, v106, v128
	v_sub_f32_e32 v107, v107, v130
	v_rndne_f32_e32 v144, v114
	v_fmac_f32_e32 v139, 0x32a5705f, v11
	v_exp_f32_e32 v110, v110
	v_dual_mul_f32 v116, 0x3fb8aa3b, v98 :: v_dual_mul_f32 v125, 0x3fb8aa3b, v105
	v_rndne_f32_e32 v132, v108
	v_rndne_f32_e32 v134, v109
	v_mul_f32_e32 v118, 0x3fb8aa3b, v101
	v_rndne_f32_e32 v142, v113
	v_mul_f32_e32 v122, 0x3fb8aa3b, v92
	v_fma_f32 v143, 0x3fb8aa3b, v93, -v114
	v_fma_f32 v155, 0x3fb8aa3b, v103, -v121
	v_dual_fmac_f32 v129, 0x32a5705f, v7 :: v_dual_sub_f32 v108, v108, v132
	v_cvt_i32_f32_e32 v136, v136
	v_dual_sub_f32 v114, v114, v144 :: v_dual_fmac_f32 v145, 0x32a5705f, v10
	v_dual_add_f32 v106, v106, v127 :: v_dual_sub_f32 v121, v121, v156
	v_add_f32_e32 v112, v112, v139
	v_fma_f32 v133, 0x3fb8aa3b, v8, -v109
	v_rndne_f32_e32 v138, v111
	v_mul_f32_e32 v120, 0x3fb8aa3b, v100
	v_fma_f32 v141, 0x3fb8aa3b, v90, -v113
	v_fma_f32 v147, 0x3fb8aa3b, v98, -v116
	v_sub_f32_e32 v109, v109, v134
	v_rndne_f32_e32 v152, v118
	v_sub_f32_e32 v113, v113, v142
	v_fma_f32 v157, 0x3fb8aa3b, v92, -v122
	v_fmac_f32_e32 v143, 0x32a5705f, v93
	v_exp_f32_e32 v106, v106
	v_exp_f32_e32 v112, v112
	v_ldexp_f32 v110, v110, v136
	v_add_f32_e32 v107, v107, v129
	v_fma_f32 v137, 0x3fb8aa3b, v4, -v111
	v_rndne_f32_e32 v148, v116
	v_fma_f32 v151, 0x3fb8aa3b, v101, -v118
	v_cvt_i32_f32_e32 v128, v128
	v_sub_f32_e32 v111, v111, v138
	v_rndne_f32_e32 v154, v120
	v_fmac_f32_e32 v133, 0x32a5705f, v8
	v_cvt_i32_f32_e32 v140, v140
	v_dual_fmac_f32 v147, 0x32a5705f, v98 :: v_dual_add_f32 v108, v108, v131
	v_sub_f32_e32 v118, v118, v152
	v_dual_fmac_f32 v157, 0x32a5705f, v92 :: v_dual_add_f32 v114, v114, v143
	v_exp_f32_e32 v107, v107
	v_fma_f32 v153, 0x3fb8aa3b, v100, -v120
	v_fma_f32 v159, 0x3fb8aa3b, v104, -v123
	;; [unrolled: 1-line block ×3, first 2 shown]
	v_cvt_i32_f32_e32 v130, v130
	v_dual_fmac_f32 v141, 0x32a5705f, v90 :: v_dual_sub_f32 v116, v116, v148
	v_sub_f32_e32 v120, v120, v154
	v_exp_f32_e32 v108, v108
	v_exp_f32_e32 v114, v114
	v_ldexp_f32 v106, v106, v128
	v_ldexp_f32 v112, v112, v140
	v_add_f32_e32 v109, v109, v133
	v_cmp_ngt_f32_e32 vcc_lo, 0xc2ce8ed0, v5
	v_rndne_f32_e32 v146, v115
	v_mul_f32_e32 v124, 0x3fb8aa3b, v99
	v_rndne_f32_e32 v150, v117
	v_mul_f32_e32 v126, 0x3fb8aa3b, v91
	v_rndne_f32_e32 v158, v122
	v_cvt_i32_f32_e32 v132, v132
	v_fmac_f32_e32 v137, 0x32a5705f, v4
	v_cvt_i32_f32_e32 v144, v144
	v_dual_fmac_f32 v159, 0x32a5705f, v104 :: v_dual_add_f32 v116, v116, v147
	v_dual_fmac_f32 v163, 0x32a5705f, v105 :: v_dual_cndmask_b32 v106, 0, v106
	v_exp_f32_e32 v109, v109
	v_ldexp_f32 v107, v107, v130
	v_cmp_ngt_f32_e32 vcc_lo, 0xc2ce8ed0, v7
	v_rndne_f32_e32 v160, v123
	v_cvt_i32_f32_e32 v134, v134
	v_sub_f32_e32 v115, v115, v146
	v_rndne_f32_e32 v162, v124
	v_sub_f32_e32 v117, v117, v150
	v_fma_f32 v165, 0x3fb8aa3b, v91, -v126
	v_dual_fmac_f32 v151, 0x32a5705f, v101 :: v_dual_sub_f32 v122, v122, v158
	v_exp_f32_e32 v116, v116
	v_ldexp_f32 v108, v108, v132
	v_ldexp_f32 v114, v114, v144
	v_add_f32_e32 v111, v111, v137
	v_cndmask_b32_e32 v107, 0, v107, vcc_lo
	v_cmp_ngt_f32_e32 vcc_lo, 0xc2ce8ed0, v6
	v_fma_f32 v161, 0x3fb8aa3b, v99, -v124
	v_cvt_i32_f32_e32 v148, v148
	v_dual_sub_f32 v124, v124, v162 :: v_dual_sub_f32 v123, v123, v160
	v_add_f32_e32 v118, v118, v151
	v_dual_fmac_f32 v165, 0x32a5705f, v91 :: v_dual_cndmask_b32 v108, 0, v108
	v_exp_f32_e32 v111, v111
	v_ldexp_f32 v109, v109, v134
	v_cmp_ngt_f32_e32 vcc_lo, 0xc2ce8ed0, v8
	v_rndne_f32_e32 v166, v126
	v_cvt_i32_f32_e32 v138, v138
	v_fmac_f32_e32 v153, 0x32a5705f, v100
	v_exp_f32_e32 v118, v118
	v_ldexp_f32 v116, v116, v148
	v_dual_sub_f32 v126, v126, v166 :: v_dual_add_f32 v113, v113, v141
	v_cndmask_b32_e32 v109, 0, v109, vcc_lo
	v_cmp_ngt_f32_e32 vcc_lo, 0xc2ce8ed0, v9
	v_cvt_i32_f32_e32 v152, v152
	v_dual_fmac_f32 v155, 0x32a5705f, v103 :: v_dual_add_f32 v120, v120, v153
	v_exp_f32_e32 v113, v113
	v_ldexp_f32 v111, v111, v138
	v_cndmask_b32_e32 v110, 0, v110, vcc_lo
	v_cmp_ngt_f32_e32 vcc_lo, 0xc2ce8ed0, v4
	v_cvt_i32_f32_e32 v142, v142
	v_exp_f32_e32 v120, v120
	v_ldexp_f32 v118, v118, v152
	v_add_f32_e32 v115, v115, v145
	v_cndmask_b32_e32 v111, 0, v111, vcc_lo
	v_cmp_ngt_f32_e32 vcc_lo, 0xc2ce8ed0, v11
	v_cvt_i32_f32_e32 v154, v154
	v_ldexp_f32 v113, v113, v142
	v_exp_f32_e32 v115, v115
	v_cvt_i32_f32_e32 v146, v146
	v_cndmask_b32_e32 v112, 0, v112, vcc_lo
	v_cmp_ngt_f32_e32 vcc_lo, 0xc2ce8ed0, v90
	v_ldexp_f32 v120, v120, v154
	v_add_f32_e32 v117, v117, v149
	v_cvt_i32_f32_e32 v150, v150
	v_dual_add_f32 v121, v121, v155 :: v_dual_add_f32 v126, v126, v165
	v_cndmask_b32_e32 v113, 0, v113, vcc_lo
	v_cmp_ngt_f32_e32 vcc_lo, 0xc2ce8ed0, v93
	v_exp_f32_e32 v117, v117
	v_ldexp_f32 v115, v115, v146
	v_dual_fmac_f32 v161, 0x32a5705f, v99 :: v_dual_add_f32 v122, v122, v157
	v_cndmask_b32_e32 v114, 0, v114, vcc_lo
	v_cmp_ngt_f32_e32 vcc_lo, 0xc2ce8ed0, v10
	v_exp_f32_e32 v121, v121
	v_cvt_i32_f32_e32 v156, v156
	v_exp_f32_e32 v122, v122
	v_cvt_i32_f32_e32 v158, v158
	v_cndmask_b32_e32 v115, 0, v115, vcc_lo
	v_cmp_ngt_f32_e32 vcc_lo, 0xc2ce8ed0, v98
	v_ldexp_f32 v117, v117, v150
	v_rndne_f32_e32 v164, v125
	v_add_f32_e32 v124, v124, v161
	v_cvt_i32_f32_e32 v160, v160
	v_cndmask_b32_e32 v116, 0, v116, vcc_lo
	v_cmp_ngt_f32_e32 vcc_lo, 0xc2ce8ed0, v102
	v_ldexp_f32 v121, v121, v156
	v_ldexp_f32 v122, v122, v158
	v_sub_f32_e32 v125, v125, v164
	v_exp_f32_e32 v124, v124
	v_cndmask_b32_e32 v117, 0, v117, vcc_lo
	v_cmp_ngt_f32_e32 vcc_lo, 0xc2ce8ed0, v101
	v_cvt_i32_f32_e32 v162, v162
	v_cvt_i32_f32_e32 v164, v164
	v_exp_f32_e32 v126, v126
	v_cvt_i32_f32_e32 v166, v166
	v_cndmask_b32_e32 v118, 0, v118, vcc_lo
	v_cmp_ngt_f32_e32 vcc_lo, 0xc2ce8ed0, v100
	s_delay_alu instid0(TRANS32_DEP_2) | instskip(SKIP_2) | instid1(TRANS32_DEP_1)
	v_ldexp_f32 v124, v124, v162
	v_cndmask_b32_e32 v120, 0, v120, vcc_lo
	v_cmp_ngt_f32_e32 vcc_lo, 0xc2ce8ed0, v103
	v_ldexp_f32 v126, v126, v166
	v_cndmask_b32_e32 v121, 0, v121, vcc_lo
	v_cmp_ngt_f32_e32 vcc_lo, 0xc2ce8ed0, v92
	v_dual_add_f32 v123, v123, v159 :: v_dual_cndmask_b32 v122, 0, v122
	s_delay_alu instid0(VALU_DEP_1) | instskip(SKIP_3) | instid1(VALU_DEP_1)
	v_exp_f32_e32 v123, v123
	v_cmp_ngt_f32_e32 vcc_lo, 0xc2ce8ed0, v104
	s_waitcnt_depctr 0xfff
	v_ldexp_f32 v123, v123, v160
	v_cndmask_b32_e32 v123, 0, v123, vcc_lo
	v_cmp_ngt_f32_e32 vcc_lo, 0xc2ce8ed0, v99
	v_dual_add_f32 v125, v125, v163 :: v_dual_cndmask_b32 v124, 0, v124
	s_delay_alu instid0(VALU_DEP_1) | instskip(SKIP_3) | instid1(VALU_DEP_1)
	v_exp_f32_e32 v125, v125
	v_cmp_ngt_f32_e32 vcc_lo, 0xc2ce8ed0, v105
	s_waitcnt_depctr 0xfff
	v_ldexp_f32 v125, v125, v164
	v_cndmask_b32_e32 v125, 0, v125, vcc_lo
	v_cmp_ngt_f32_e32 vcc_lo, 0xc2ce8ed0, v91
	v_cndmask_b32_e32 v126, 0, v126, vcc_lo
	v_cmp_nlt_f32_e32 vcc_lo, 0x42b17218, v5
	v_cndmask_b32_e32 v5, 0x7f800000, v106, vcc_lo
	v_cmp_nlt_f32_e32 vcc_lo, 0x42b17218, v7
	;; [unrolled: 2-line block ×7, first 2 shown]
	v_cvt_f16_f32_e32 v111, v7
	s_delay_alu instid0(VALU_DEP_3) | instskip(SKIP_2) | instid1(VALU_DEP_3)
	v_cvt_f16_f32_e32 v110, v107
	v_cndmask_b32_e32 v4, 0x7f800000, v112, vcc_lo
	v_cmp_nlt_f32_e32 vcc_lo, 0x42b17218, v90
	v_pk_mul_f16 v78, v110, v78 op_sel_hi:[0,1]
	v_pk_mul_f16 v77, v110, v77 op_sel_hi:[0,1]
	v_cndmask_b32_e32 v9, 0x7f800000, v113, vcc_lo
	v_cmp_nlt_f32_e32 vcc_lo, 0x42b17218, v93
	v_pk_mul_f16 v79, v110, v79 op_sel_hi:[0,1]
	s_delay_alu instid0(VALU_DEP_3)
	v_cvt_f16_f32_e32 v113, v9
	v_cndmask_b32_e32 v90, 0x7f800000, v114, vcc_lo
	v_cmp_nlt_f32_e32 vcc_lo, 0x42b17218, v10
	v_cndmask_b32_e32 v108, 0x7f800000, v115, vcc_lo
	v_cmp_nlt_f32_e32 vcc_lo, 0x42b17218, v98
	;; [unrolled: 2-line block ×5, first 2 shown]
	s_delay_alu instid0(VALU_DEP_4) | instskip(SKIP_4) | instid1(VALU_DEP_2)
	v_cvt_f16_f32_e32 v118, v11
	v_cndmask_b32_e32 v98, 0x7f800000, v120, vcc_lo
	v_cmp_nlt_f32_e32 vcc_lo, 0x42b17218, v103
	v_cndmask_b32_e32 v100, 0x7f800000, v121, vcc_lo
	v_cmp_nlt_f32_e32 vcc_lo, 0x42b17218, v92
	v_cvt_f16_f32_e32 v116, v100
	v_cndmask_b32_e32 v102, 0x7f800000, v122, vcc_lo
	v_cmp_nlt_f32_e32 vcc_lo, 0x42b17218, v104
	v_cvt_f16_f32_e32 v104, v5
	s_delay_alu instid0(VALU_DEP_3) | instskip(SKIP_3) | instid1(VALU_DEP_4)
	v_cvt_f16_f32_e32 v117, v102
	v_cndmask_b32_e32 v92, 0x7f800000, v123, vcc_lo
	v_cmp_nlt_f32_e32 vcc_lo, 0x42b17218, v99
	v_pk_mul_f16 v123, v110, v75 op_sel_hi:[0,1]
	v_pk_mul_f16 v131, v117, v59 op_sel_hi:[0,1]
	s_delay_alu instid0(VALU_DEP_4)
	v_add_f32_e32 v11, v11, v92
	v_cndmask_b32_e32 v99, 0x7f800000, v124, vcc_lo
	v_cmp_nlt_f32_e32 vcc_lo, 0x42b17218, v105
	v_cvt_f16_f32_e32 v92, v92
	v_cvt_f16_f32_e32 v114, v90
	v_pk_mul_f16 v132, v117, v58 op_sel_hi:[0,1]
	v_add_f32_e32 v75, v99, v11
	v_cndmask_b32_e32 v101, 0x7f800000, v125, vcc_lo
	v_cmp_nlt_f32_e32 vcc_lo, 0x42b17218, v91
	v_add_f32_e32 v91, v6, v5
	v_add_f32_e32 v5, v7, v4
	v_cvt_f16_f32_e32 v7, v10
	v_pk_mul_f16 v125, v110, v73 op_sel_hi:[0,1]
	v_cvt_f16_f32_e32 v105, v8
	v_add_f32_e32 v91, v8, v91
	v_cvt_f16_f32_e32 v6, v6
	v_add_f32_e32 v73, v9, v5
	;; [unrolled: 2-line block ×3, first 2 shown]
	v_cvt_f16_f32_e32 v93, v93
	v_cvt_f16_f32_e32 v109, v106
	;; [unrolled: 1-line block ×5, first 2 shown]
	v_cndmask_b32_e32 v103, 0x7f800000, v126, vcc_lo
	v_pk_mul_f16 v126, v110, v74 op_sel_hi:[0,1]
	v_add_f32_e32 v74, v98, v4
	v_pack_b32_f16 v5, v93, v118
	v_pack_b32_f16 v4, v6, v111
	;; [unrolled: 1-line block ×8, first 2 shown]
	ds_store_2addr_b64 v119, v[4:5], v[6:7] offset1:32
	ds_store_2addr_b64 v119, v[8:9], v[10:11] offset0:64 offset1:96
	s_waitcnt vmcnt(1)
	ds_store_b128 v44, v[80:83]
	s_waitcnt vmcnt(0)
	ds_store_b128 v45, v[94:97]
	v_add_f32_e32 v83, v106, v91
	v_pk_mul_f16 v133, v117, v56 op_sel_hi:[0,1]
	v_pk_mul_f16 v134, v117, v57 op_sel_hi:[0,1]
	s_waitcnt lgkmcnt(0)
	s_barrier
	v_fmac_f32_e32 v83, v84, v107
	v_add_f32_e32 v81, v100, v74
	v_cvt_f16_f32_e32 v115, v108
	buffer_gl0_inv
	v_cvt_f16_f32_e32 v122, v103
	v_pk_mul_f16 v124, v110, v76 op_sel_hi:[0,1]
	v_fmac_f32_e32 v81, v86, v102
	v_pk_mul_f16 v127, v115, v68 op_sel_hi:[0,1]
	v_pk_mul_f16 v128, v115, v67 op_sel_hi:[0,1]
	;; [unrolled: 1-line block ×4, first 2 shown]
	ds_load_2addr_b64 v[56:59], v89 offset1:32
	ds_load_b128 v[65:68], v40
	v_pk_mul_f16 v135, v122, v53 op_sel_hi:[0,1]
	v_pk_mul_f16 v136, v122, v54 op_sel_hi:[0,1]
	;; [unrolled: 1-line block ×8, first 2 shown]
	v_add_f32_e32 v82, v90, v73
	v_add_f32_e32 v80, v101, v75
	ds_load_2addr_b64 v[47:50], v89 offset0:64 offset1:96
	ds_load_b128 v[51:54], v40 offset:16
	ds_load_b128 v[8:11], v40 offset:32
	;; [unrolled: 1-line block ×3, first 2 shown]
	ds_load_2addr_b64 v[73:76], v89 offset0:128 offset1:160
	ds_load_2addr_b64 v[90:93], v89 offset0:192 offset1:224
	ds_load_2addr_b64 v[94:97], v88 offset1:32
	ds_load_2addr_b64 v[98:101], v88 offset0:64 offset1:96
	v_pk_mul_f16 v71, v115, v71 op_sel_hi:[0,1]
	v_pk_mul_f16 v70, v115, v70 op_sel_hi:[0,1]
	;; [unrolled: 1-line block ×6, first 2 shown]
	v_fmac_f32_e32 v82, v85, v108
	v_fmac_f32_e32 v80, v87, v103
	s_waitcnt lgkmcnt(8)
	v_pk_mul_f16 v84, v56, v65 op_sel_hi:[1,0]
	v_pk_mul_f16 v85, v56, v65 op_sel:[0,1]
	v_pk_mul_f16 v86, v56, v66 op_sel_hi:[1,0]
	v_pk_fma_f16 v56, v56, v66, v135 op_sel:[0,1,0]
	v_pk_fma_f16 v78, v57, v65, v78 op_sel_hi:[1,0,1]
	v_pk_fma_f16 v71, v57, v65, v71 op_sel:[0,1,0]
	v_pk_fma_f16 v62, v57, v66, v62 op_sel_hi:[1,0,1]
	;; [unrolled: 2-line block ×6, first 2 shown]
	v_pk_fma_f16 v59, v59, v66, v105 op_sel:[0,1,0]
	s_waitcnt lgkmcnt(7)
	v_pk_fma_f16 v103, v47, v65, v123 op_sel_hi:[1,0,1]
	v_pk_fma_f16 v104, v47, v65, v128 op_sel:[0,1,0]
	v_pk_fma_f16 v105, v47, v66, v132 op_sel_hi:[1,0,1]
	v_pk_fma_f16 v47, v47, v66, v109 op_sel:[0,1,0]
	;; [unrolled: 2-line block ×8, first 2 shown]
	v_pk_fma_f16 v66, v110, v72, v84 op_sel_hi:[0,1,1]
	v_pk_fma_f16 v63, v115, v63, v85 op_sel_hi:[0,1,1]
	;; [unrolled: 1-line block ×3, first 2 shown]
	s_waitcnt lgkmcnt(3)
	v_pk_fma_f16 v72, v74, v67, v78 op_sel_hi:[1,0,1]
	v_pk_fma_f16 v71, v74, v67, v71 op_sel:[0,1,0]
	v_pk_fma_f16 v62, v74, v68, v62 op_sel_hi:[1,0,1]
	v_pk_fma_f16 v57, v74, v68, v57 op_sel:[0,1,0]
	;; [unrolled: 2-line block ×6, first 2 shown]
	s_waitcnt lgkmcnt(2)
	v_pk_fma_f16 v76, v90, v67, v103 op_sel_hi:[1,0,1]
	v_pk_fma_f16 v79, v90, v67, v104 op_sel:[0,1,0]
	v_pk_fma_f16 v84, v90, v68, v105 op_sel_hi:[1,0,1]
	v_pk_fma_f16 v85, v90, v68, v47 op_sel:[0,1,0]
	;; [unrolled: 2-line block ×10, first 2 shown]
	s_waitcnt lgkmcnt(1)
	v_pk_fma_f16 v66, v95, v51, v72 op_sel_hi:[1,0,1]
	v_pk_fma_f16 v67, v95, v51, v71 op_sel:[0,1,0]
	v_pk_fma_f16 v68, v94, v51, v47 op_sel_hi:[1,0,1]
	v_pk_fma_f16 v71, v94, v51, v48 op_sel:[0,1,0]
	v_pk_fma_f16 v72, v94, v52, v49 op_sel_hi:[1,0,1]
	ds_load_2addr_b64 v[47:50], v88 offset0:128 offset1:160
	v_pk_fma_f16 v63, v94, v52, v56 op_sel:[0,1,0]
	v_pk_fma_f16 v73, v95, v52, v57 op_sel:[0,1,0]
	;; [unrolled: 1-line block ×3, first 2 shown]
	ds_load_2addr_b64 v[55:58], v88 offset0:192 offset1:224
	v_pk_fma_f16 v62, v95, v52, v62 op_sel_hi:[1,0,1]
	v_pk_fma_f16 v74, v96, v51, v74 op_sel_hi:[1,0,1]
	v_pk_fma_f16 v77, v96, v51, v77 op_sel:[0,1,0]
	v_pk_fma_f16 v78, v96, v52, v78 op_sel_hi:[1,0,1]
	v_pk_fma_f16 v75, v97, v51, v75 op_sel_hi:[1,0,1]
	v_pk_fma_f16 v70, v97, v51, v70 op_sel:[0,1,0]
	v_pk_fma_f16 v95, v97, v52, v61 op_sel_hi:[1,0,1]
	v_pk_fma_f16 v96, v97, v52, v59 op_sel:[0,1,0]
	s_waitcnt lgkmcnt(2)
	v_pk_fma_f16 v76, v98, v51, v76 op_sel_hi:[1,0,1]
	v_pk_fma_f16 v79, v98, v51, v79 op_sel:[0,1,0]
	v_pk_fma_f16 v86, v99, v51, v86 op_sel_hi:[1,0,1]
	v_pk_fma_f16 v69, v99, v51, v69 op_sel:[0,1,0]
	;; [unrolled: 2-line block ×5, first 2 shown]
	v_add_nc_u32_e32 v51, 0x9000, v41
	v_pk_fma_f16 v84, v98, v52, v84 op_sel_hi:[1,0,1]
	v_pk_fma_f16 v85, v98, v52, v85 op_sel:[0,1,0]
	v_pk_fma_f16 v98, v100, v52, v102 op_sel_hi:[1,0,1]
	v_pk_fma_f16 v92, v100, v52, v92 op_sel:[0,1,0]
	;; [unrolled: 2-line block ×3, first 2 shown]
	s_waitcnt lgkmcnt(1)
	v_pk_fma_f16 v68, v47, v53, v68 op_sel_hi:[1,0,1]
	v_pk_fma_f16 v71, v47, v53, v71 op_sel:[0,1,0]
	v_pk_fma_f16 v72, v47, v54, v72 op_sel_hi:[1,0,1]
	v_pk_fma_f16 v63, v47, v54, v63 op_sel:[0,1,0]
	;; [unrolled: 2-line block ×7, first 2 shown]
	ds_load_2addr_b64 v[59:62], v51 offset1:32
	v_pk_fma_f16 v95, v50, v54, v95 op_sel_hi:[1,0,1]
	v_pk_fma_f16 v96, v50, v54, v96 op_sel:[0,1,0]
	ds_load_2addr_b64 v[47:50], v51 offset0:64 offset1:96
	s_waitcnt lgkmcnt(2)
	v_pk_fma_f16 v76, v55, v53, v76 op_sel_hi:[1,0,1]
	v_pk_fma_f16 v79, v55, v53, v79 op_sel:[0,1,0]
	v_pk_fma_f16 v84, v55, v54, v84 op_sel_hi:[1,0,1]
	v_pk_fma_f16 v85, v55, v54, v85 op_sel:[0,1,0]
	v_pk_fma_f16 v86, v56, v53, v86 op_sel_hi:[1,0,1]
	v_pk_fma_f16 v69, v56, v53, v69 op_sel:[0,1,0]
	v_pk_fma_f16 v97, v56, v54, v97 op_sel_hi:[1,0,1]
	v_pk_fma_f16 v56, v56, v54, v87 op_sel:[0,1,0]
	v_pk_fma_f16 v87, v57, v53, v90 op_sel_hi:[1,0,1]
	v_pk_fma_f16 v90, v57, v53, v91 op_sel:[0,1,0]
	v_pk_fma_f16 v91, v57, v54, v98 op_sel_hi:[1,0,1]
	v_pk_fma_f16 v57, v57, v54, v92 op_sel:[0,1,0]
	v_pk_fma_f16 v92, v58, v53, v99 op_sel_hi:[1,0,1]
	v_pk_fma_f16 v65, v58, v53, v65 op_sel:[0,1,0]
	v_pk_fma_f16 v98, v58, v54, v100 op_sel_hi:[1,0,1]
	v_pk_fma_f16 v99, v58, v54, v52 op_sel:[0,1,0]
	ds_load_2addr_b64 v[52:55], v51 offset0:128 offset1:160
	s_waitcnt lgkmcnt(2)
	v_pk_fma_f16 v68, v59, v8, v68 op_sel_hi:[1,0,1]
	v_pk_fma_f16 v71, v59, v8, v71 op_sel:[0,1,0]
	v_pk_fma_f16 v72, v59, v9, v72 op_sel_hi:[1,0,1]
	v_pk_fma_f16 v63, v59, v9, v63 op_sel:[0,1,0]
	s_waitcnt lgkmcnt(1)
	v_pk_fma_f16 v180, v48, v9, v56 op_sel:[0,1,0]
	v_pk_fma_f16 v184, v49, v9, v57 op_sel:[0,1,0]
	ds_load_2addr_b64 v[56:59], v51 offset0:192 offset1:224
	v_pk_fma_f16 v66, v60, v8, v66 op_sel_hi:[1,0,1]
	v_pk_fma_f16 v67, v60, v8, v67 op_sel:[0,1,0]
	v_pk_fma_f16 v93, v60, v9, v93 op_sel_hi:[1,0,1]
	v_pk_fma_f16 v60, v60, v9, v73 op_sel:[0,1,0]
	;; [unrolled: 2-line block ×3, first 2 shown]
	v_pk_fma_f16 v77, v61, v9, v78 op_sel_hi:[1,0,1]
	v_pk_fma_f16 v75, v62, v8, v75 op_sel_hi:[1,0,1]
	v_pk_fma_f16 v70, v62, v8, v70 op_sel:[0,1,0]
	v_pk_fma_f16 v78, v62, v9, v95 op_sel_hi:[1,0,1]
	v_pk_fma_f16 v76, v47, v8, v76 op_sel_hi:[1,0,1]
	v_pk_fma_f16 v79, v47, v8, v79 op_sel:[0,1,0]
	v_pk_fma_f16 v84, v47, v9, v84 op_sel_hi:[1,0,1]
	v_pk_fma_f16 v47, v47, v9, v85 op_sel:[0,1,0]
	;; [unrolled: 2-line block ×5, first 2 shown]
	v_add_co_u32 v8, vcc_lo, s8, v27
	v_pk_fma_f16 v61, v61, v9, v94 op_sel:[0,1,0]
	v_pk_fma_f16 v62, v62, v9, v96 op_sel:[0,1,0]
	v_pk_fma_f16 v179, v48, v9, v97 op_sel_hi:[1,0,1]
	v_pk_fma_f16 v183, v49, v9, v91 op_sel_hi:[1,0,1]
	;; [unrolled: 1-line block ×3, first 2 shown]
	v_pk_fma_f16 v188, v50, v9, v99 op_sel:[0,1,0]
	v_add_co_ci_u32_e32 v9, vcc_lo, s18, v28, vcc_lo
	s_waitcnt lgkmcnt(1)
	v_pk_fma_f16 v199, v54, v11, v77 op_sel_hi:[1,0,1]
	v_add_co_u32 v77, vcc_lo, s8, v29
	v_pk_fma_f16 v203, v55, v11, v78 op_sel_hi:[1,0,1]
	v_add_co_ci_u32_e32 v78, vcc_lo, s18, v30, vcc_lo
	v_add_co_u32 v8, vcc_lo, v8, v38
	v_add_co_ci_u32_e32 v9, vcc_lo, 0, v9, vcc_lo
	v_pk_fma_f16 v189, v52, v10, v68 op_sel_hi:[1,0,1]
	v_pk_fma_f16 v190, v52, v10, v71 op_sel:[0,1,0]
	v_pk_fma_f16 v191, v52, v11, v72 op_sel_hi:[1,0,1]
	v_pk_fma_f16 v192, v52, v11, v63 op_sel:[0,1,0]
	v_add_nc_u32_e32 v52, 0x9800, v41
	s_waitcnt lgkmcnt(0)
	v_pk_fma_f16 v207, v56, v11, v47 op_sel:[0,1,0]
	v_add_nc_u32_e32 v50, 0xa000, v41
	v_add_nc_u32_e32 v48, 0xb000, v41
	;; [unrolled: 1-line block ×3, first 2 shown]
	v_add_co_u32 v77, vcc_lo, v77, v38
	v_add_nc_u32_e32 v49, 0xa800, v41
	v_add_co_ci_u32_e32 v78, vcc_lo, 0, v78, vcc_lo
	v_pk_fma_f16 v193, v53, v10, v66 op_sel_hi:[1,0,1]
	v_pk_fma_f16 v194, v53, v10, v67 op_sel:[0,1,0]
	v_pk_fma_f16 v195, v53, v11, v93 op_sel_hi:[1,0,1]
	v_pk_fma_f16 v196, v53, v11, v60 op_sel:[0,1,0]
	;; [unrolled: 2-line block ×3, first 2 shown]
	v_pk_fma_f16 v200, v54, v11, v61 op_sel:[0,1,0]
	v_pk_fma_f16 v201, v55, v10, v75 op_sel_hi:[1,0,1]
	v_pk_fma_f16 v202, v55, v10, v70 op_sel:[0,1,0]
	v_pk_fma_f16 v204, v55, v11, v62 op_sel:[0,1,0]
	v_pk_fma_f16 v205, v56, v10, v76 op_sel_hi:[1,0,1]
	v_pk_fma_f16 v79, v56, v10, v79 op_sel:[0,1,0]
	v_pk_fma_f16 v206, v56, v11, v84 op_sel_hi:[1,0,1]
	v_pk_fma_f16 v208, v57, v10, v85 op_sel_hi:[1,0,1]
	ds_load_2addr_b64 v[53:56], v52 offset1:32
	ds_load_2addr_b64 v[60:63], v52 offset0:64 offset1:96
	ds_load_2addr_b64 v[65:68], v52 offset0:128 offset1:160
	;; [unrolled: 1-line block ×3, first 2 shown]
	ds_load_2addr_b64 v[73:76], v50 offset1:32
	ds_load_2addr_b64 v[84:87], v50 offset0:64 offset1:96
	ds_load_2addr_b64 v[90:93], v50 offset0:128 offset1:160
	;; [unrolled: 1-line block ×3, first 2 shown]
	ds_load_2addr_b64 v[98:101], v49 offset1:32
	ds_load_2addr_b64 v[102:105], v49 offset0:64 offset1:96
	ds_load_b128 v[106:109], v40 offset:64
	ds_load_b128 v[110:113], v40 offset:80
	ds_load_2addr_b64 v[114:117], v49 offset0:128 offset1:160
	ds_load_2addr_b64 v[118:121], v49 offset0:192 offset1:224
	ds_load_2addr_b64 v[122:125], v48 offset1:32
	ds_load_2addr_b64 v[126:129], v48 offset0:64 offset1:96
	ds_load_2addr_b64 v[130:133], v48 offset0:128 offset1:160
	;; [unrolled: 1-line block ×3, first 2 shown]
	ds_load_2addr_b64 v[138:141], v47 offset1:32
	ds_load_2addr_b64 v[142:145], v47 offset0:64 offset1:96
	ds_load_b128 v[146:149], v40 offset:96
	ds_load_b128 v[150:153], v40 offset:112
	ds_load_2addr_b64 v[154:157], v47 offset0:128 offset1:160
	ds_load_2addr_b64 v[158:161], v47 offset0:192 offset1:224
	s_waitcnt lgkmcnt(0)
	s_barrier
	buffer_gl0_inv
	s_clause 0x3
	global_load_b128 v[162:165], v[8:9], off
	global_load_b128 v[166:169], v[8:9], off offset:512
	global_load_b128 v[170:173], v[77:78], off
	global_load_b128 v[174:177], v[77:78], off offset:512
	v_pk_fma_f16 v8, v57, v10, v178 op_sel:[0,1,0]
	v_pk_fma_f16 v9, v57, v11, v179 op_sel_hi:[1,0,1]
	v_pk_fma_f16 v57, v57, v11, v180 op_sel:[0,1,0]
	v_pk_fma_f16 v77, v58, v10, v181 op_sel_hi:[1,0,1]
	;; [unrolled: 2-line block ×24, first 2 shown]
	v_pk_fma_f16 v54, v66, v7, v54 op_sel:[0,1,0]
	v_pk_fma_f16 v55, v67, v7, v55 op_sel:[0,1,0]
	;; [unrolled: 1-line block ×4, first 2 shown]
	v_pk_fma_f16 v179, v66, v7, v185 op_sel_hi:[1,0,1]
	v_pk_fma_f16 v66, v67, v6, v186 op_sel_hi:[1,0,1]
	v_pk_fma_f16 v180, v67, v6, v187 op_sel:[0,1,0]
	v_pk_fma_f16 v181, v67, v7, v188 op_sel_hi:[1,0,1]
	v_pk_fma_f16 v67, v68, v6, v189 op_sel_hi:[1,0,1]
	v_pk_fma_f16 v182, v68, v6, v190 op_sel:[0,1,0]
	;; [unrolled: 3-line block ×3, first 2 shown]
	v_pk_fma_f16 v184, v69, v7, v193 op_sel_hi:[1,0,1]
	v_pk_fma_f16 v60, v69, v7, v60 op_sel:[0,1,0]
	v_pk_fma_f16 v69, v70, v6, v194 op_sel_hi:[1,0,1]
	v_pk_fma_f16 v8, v70, v6, v8 op_sel:[0,1,0]
	;; [unrolled: 2-line block ×4, first 2 shown]
	v_pk_fma_f16 v58, v71, v7, v58 op_sel:[0,1,0]
	v_pk_fma_f16 v62, v72, v6, v62 op_sel_hi:[1,0,1]
	v_pk_fma_f16 v4, v72, v6, v4 op_sel:[0,1,0]
	v_pk_fma_f16 v6, v72, v7, v10 op_sel_hi:[1,0,1]
	v_pk_fma_f16 v10, v73, v106, v59 op_sel:[0,1,0]
	v_pk_fma_f16 v53, v73, v107, v53 op_sel:[0,1,0]
	v_pk_fma_f16 v59, v74, v106, v65 op_sel_hi:[1,0,1]
	v_pk_fma_f16 v54, v74, v107, v54 op_sel:[0,1,0]
	v_pk_fma_f16 v55, v75, v107, v55 op_sel:[0,1,0]
	;; [unrolled: 1-line block ×7, first 2 shown]
	v_pk_fma_f16 v59, v91, v108, v59 op_sel_hi:[1,0,1]
	v_pk_fma_f16 v54, v91, v109, v54 op_sel:[0,1,0]
	v_pk_fma_f16 v55, v92, v109, v55 op_sel:[0,1,0]
	;; [unrolled: 1-line block ×7, first 2 shown]
	v_pk_fma_f16 v59, v99, v110, v59 op_sel_hi:[1,0,1]
	v_pk_fma_f16 v54, v99, v111, v54 op_sel:[0,1,0]
	v_pk_fma_f16 v55, v100, v111, v55 op_sel:[0,1,0]
	;; [unrolled: 1-line block ×4, first 2 shown]
	v_pk_fma_f16 v77, v71, v7, v78 op_sel_hi:[1,0,1]
	v_pk_fma_f16 v7, v73, v106, v11 op_sel_hi:[1,0,1]
	;; [unrolled: 1-line block ×3, first 2 shown]
	v_pk_fma_f16 v63, v74, v106, v178 op_sel:[0,1,0]
	v_pk_fma_f16 v65, v74, v107, v179 op_sel_hi:[1,0,1]
	v_pk_fma_f16 v66, v75, v106, v66 op_sel_hi:[1,0,1]
	v_pk_fma_f16 v71, v75, v106, v180 op_sel:[0,1,0]
	v_pk_fma_f16 v72, v75, v107, v181 op_sel_hi:[1,0,1]
	v_pk_fma_f16 v67, v76, v106, v67 op_sel_hi:[1,0,1]
	v_pk_fma_f16 v73, v76, v106, v182 op_sel:[0,1,0]
	v_pk_fma_f16 v74, v76, v107, v183 op_sel_hi:[1,0,1]
	v_pk_fma_f16 v60, v102, v111, v60 op_sel:[0,1,0]
	v_pk_fma_f16 v57, v103, v111, v57 op_sel:[0,1,0]
	;; [unrolled: 1-line block ×4, first 2 shown]
	v_pk_fma_f16 v59, v115, v112, v59 op_sel_hi:[1,0,1]
	v_pk_fma_f16 v54, v115, v113, v54 op_sel:[0,1,0]
	v_pk_fma_f16 v55, v116, v113, v55 op_sel:[0,1,0]
	;; [unrolled: 1-line block ×3, first 2 shown]
	v_pk_fma_f16 v68, v84, v106, v68 op_sel_hi:[1,0,1]
	v_pk_fma_f16 v69, v85, v106, v69 op_sel_hi:[1,0,1]
	v_pk_fma_f16 v8, v85, v106, v8 op_sel:[0,1,0]
	v_pk_fma_f16 v9, v85, v107, v9 op_sel_hi:[1,0,1]
	v_pk_fma_f16 v70, v86, v106, v70 op_sel:[0,1,0]
	v_pk_fma_f16 v4, v87, v106, v4 op_sel:[0,1,0]
	v_pk_fma_f16 v6, v87, v107, v6 op_sel_hi:[1,0,1]
	v_pk_fma_f16 v5, v87, v107, v5 op_sel:[0,1,0]
	v_pk_fma_f16 v75, v84, v106, v79 op_sel:[0,1,0]
	v_pk_fma_f16 v76, v84, v107, v184 op_sel_hi:[1,0,1]
	v_pk_fma_f16 v7, v90, v108, v7 op_sel_hi:[1,0,1]
	v_pk_fma_f16 v10, v90, v108, v10 op_sel:[0,1,0]
	v_pk_fma_f16 v11, v90, v109, v11 op_sel_hi:[1,0,1]
	v_pk_fma_f16 v63, v91, v108, v63 op_sel:[0,1,0]
	v_pk_fma_f16 v65, v91, v109, v65 op_sel_hi:[1,0,1]
	v_pk_fma_f16 v66, v92, v108, v66 op_sel_hi:[1,0,1]
	v_pk_fma_f16 v71, v92, v108, v71 op_sel:[0,1,0]
	v_pk_fma_f16 v72, v92, v109, v72 op_sel_hi:[1,0,1]
	;; [unrolled: 3-line block ×3, first 2 shown]
	v_pk_fma_f16 v60, v118, v113, v60 op_sel:[0,1,0]
	v_pk_fma_f16 v57, v119, v113, v57 op_sel:[0,1,0]
	;; [unrolled: 1-line block ×4, first 2 shown]
	v_pk_fma_f16 v59, v123, v146, v59 op_sel_hi:[1,0,1]
	v_pk_fma_f16 v54, v123, v147, v54 op_sel:[0,1,0]
	v_pk_fma_f16 v55, v124, v147, v55 op_sel:[0,1,0]
	;; [unrolled: 1-line block ×3, first 2 shown]
	v_pk_fma_f16 v68, v94, v108, v68 op_sel_hi:[1,0,1]
	v_pk_fma_f16 v69, v95, v108, v69 op_sel_hi:[1,0,1]
	v_pk_fma_f16 v8, v95, v108, v8 op_sel:[0,1,0]
	v_pk_fma_f16 v9, v95, v109, v9 op_sel_hi:[1,0,1]
	v_pk_fma_f16 v70, v96, v108, v70 op_sel:[0,1,0]
	v_pk_fma_f16 v4, v97, v108, v4 op_sel:[0,1,0]
	v_pk_fma_f16 v6, v97, v109, v6 op_sel_hi:[1,0,1]
	v_pk_fma_f16 v5, v97, v109, v5 op_sel:[0,1,0]
	v_pk_fma_f16 v75, v94, v108, v75 op_sel:[0,1,0]
	v_pk_fma_f16 v76, v94, v109, v76 op_sel_hi:[1,0,1]
	v_pk_fma_f16 v7, v98, v110, v7 op_sel_hi:[1,0,1]
	v_pk_fma_f16 v10, v98, v110, v10 op_sel:[0,1,0]
	v_pk_fma_f16 v11, v98, v111, v11 op_sel_hi:[1,0,1]
	v_pk_fma_f16 v63, v99, v110, v63 op_sel:[0,1,0]
	v_pk_fma_f16 v65, v99, v111, v65 op_sel_hi:[1,0,1]
	v_pk_fma_f16 v66, v100, v110, v66 op_sel_hi:[1,0,1]
	v_pk_fma_f16 v71, v100, v110, v71 op_sel:[0,1,0]
	v_pk_fma_f16 v72, v100, v111, v72 op_sel_hi:[1,0,1]
	;; [unrolled: 3-line block ×3, first 2 shown]
	v_pk_fma_f16 v60, v126, v147, v60 op_sel:[0,1,0]
	v_pk_fma_f16 v57, v127, v147, v57 op_sel:[0,1,0]
	;; [unrolled: 1-line block ×4, first 2 shown]
	v_pk_fma_f16 v59, v131, v148, v59 op_sel_hi:[1,0,1]
	v_pk_fma_f16 v54, v131, v149, v54 op_sel:[0,1,0]
	v_pk_fma_f16 v55, v132, v149, v55 op_sel:[0,1,0]
	;; [unrolled: 1-line block ×3, first 2 shown]
	v_pk_fma_f16 v68, v102, v110, v68 op_sel_hi:[1,0,1]
	v_pk_fma_f16 v69, v103, v110, v69 op_sel_hi:[1,0,1]
	v_pk_fma_f16 v8, v103, v110, v8 op_sel:[0,1,0]
	v_pk_fma_f16 v9, v103, v111, v9 op_sel_hi:[1,0,1]
	v_pk_fma_f16 v70, v104, v110, v70 op_sel:[0,1,0]
	v_pk_fma_f16 v4, v105, v110, v4 op_sel:[0,1,0]
	v_pk_fma_f16 v6, v105, v111, v6 op_sel_hi:[1,0,1]
	v_pk_fma_f16 v5, v105, v111, v5 op_sel:[0,1,0]
	v_pk_fma_f16 v61, v86, v106, v61 op_sel_hi:[1,0,1]
	v_pk_fma_f16 v77, v86, v107, v77 op_sel_hi:[1,0,1]
	;; [unrolled: 1-line block ×3, first 2 shown]
	v_pk_fma_f16 v75, v102, v110, v75 op_sel:[0,1,0]
	v_pk_fma_f16 v76, v102, v111, v76 op_sel_hi:[1,0,1]
	v_pk_fma_f16 v7, v114, v112, v7 op_sel_hi:[1,0,1]
	v_pk_fma_f16 v10, v114, v112, v10 op_sel:[0,1,0]
	v_pk_fma_f16 v11, v114, v113, v11 op_sel_hi:[1,0,1]
	v_pk_fma_f16 v63, v115, v112, v63 op_sel:[0,1,0]
	v_pk_fma_f16 v65, v115, v113, v65 op_sel_hi:[1,0,1]
	v_pk_fma_f16 v66, v116, v112, v66 op_sel_hi:[1,0,1]
	v_pk_fma_f16 v71, v116, v112, v71 op_sel:[0,1,0]
	v_pk_fma_f16 v72, v116, v113, v72 op_sel_hi:[1,0,1]
	;; [unrolled: 3-line block ×3, first 2 shown]
	v_pk_fma_f16 v60, v134, v149, v60 op_sel:[0,1,0]
	v_pk_fma_f16 v57, v135, v149, v57 op_sel:[0,1,0]
	;; [unrolled: 1-line block ×4, first 2 shown]
	v_pk_fma_f16 v59, v139, v150, v59 op_sel_hi:[1,0,1]
	v_pk_fma_f16 v54, v139, v151, v54 op_sel:[0,1,0]
	v_pk_fma_f16 v55, v140, v151, v55 op_sel:[0,1,0]
	;; [unrolled: 1-line block ×3, first 2 shown]
	v_pk_fma_f16 v68, v118, v112, v68 op_sel_hi:[1,0,1]
	v_pk_fma_f16 v69, v119, v112, v69 op_sel_hi:[1,0,1]
	v_pk_fma_f16 v8, v119, v112, v8 op_sel:[0,1,0]
	v_pk_fma_f16 v9, v119, v113, v9 op_sel_hi:[1,0,1]
	v_pk_fma_f16 v70, v120, v112, v70 op_sel:[0,1,0]
	v_pk_fma_f16 v4, v121, v112, v4 op_sel:[0,1,0]
	v_pk_fma_f16 v6, v121, v113, v6 op_sel_hi:[1,0,1]
	v_pk_fma_f16 v5, v121, v113, v5 op_sel:[0,1,0]
	v_pk_fma_f16 v61, v96, v108, v61 op_sel_hi:[1,0,1]
	v_pk_fma_f16 v77, v96, v109, v77 op_sel_hi:[1,0,1]
	;; [unrolled: 1-line block ×3, first 2 shown]
	v_pk_fma_f16 v75, v118, v112, v75 op_sel:[0,1,0]
	v_pk_fma_f16 v76, v118, v113, v76 op_sel_hi:[1,0,1]
	v_pk_fma_f16 v7, v122, v146, v7 op_sel_hi:[1,0,1]
	v_pk_fma_f16 v10, v122, v146, v10 op_sel:[0,1,0]
	v_pk_fma_f16 v11, v122, v147, v11 op_sel_hi:[1,0,1]
	v_pk_fma_f16 v63, v123, v146, v63 op_sel:[0,1,0]
	v_pk_fma_f16 v65, v123, v147, v65 op_sel_hi:[1,0,1]
	v_pk_fma_f16 v66, v124, v146, v66 op_sel_hi:[1,0,1]
	v_pk_fma_f16 v71, v124, v146, v71 op_sel:[0,1,0]
	v_pk_fma_f16 v72, v124, v147, v72 op_sel_hi:[1,0,1]
	;; [unrolled: 3-line block ×3, first 2 shown]
	v_pk_fma_f16 v78, v142, v151, v60 op_sel:[0,1,0]
	v_pk_fma_f16 v79, v143, v151, v57 op_sel:[0,1,0]
	;; [unrolled: 1-line block ×4, first 2 shown]
	v_pk_fma_f16 v91, v155, v152, v59 op_sel_hi:[1,0,1]
	v_pk_fma_f16 v93, v155, v153, v54 op_sel:[0,1,0]
	v_pk_fma_f16 v97, v156, v153, v55 op_sel:[0,1,0]
	;; [unrolled: 1-line block ×3, first 2 shown]
	s_waitcnt vmcnt(3)
	ds_store_b128 v42, v[162:165]
	s_waitcnt vmcnt(2)
	ds_store_b128 v43, v[166:169]
	;; [unrolled: 2-line block ×4, first 2 shown]
	s_waitcnt lgkmcnt(0)
	s_barrier
	buffer_gl0_inv
	ds_load_2addr_b64 v[53:56], v89 offset1:32
	ds_load_b128 v[57:60], v40 offset:128
	v_pk_fma_f16 v68, v126, v146, v68 op_sel_hi:[1,0,1]
	v_pk_fma_f16 v69, v127, v146, v69 op_sel_hi:[1,0,1]
	v_pk_fma_f16 v8, v127, v146, v8 op_sel:[0,1,0]
	v_pk_fma_f16 v9, v127, v147, v9 op_sel_hi:[1,0,1]
	v_pk_fma_f16 v70, v128, v146, v70 op_sel:[0,1,0]
	v_pk_fma_f16 v4, v129, v146, v4 op_sel:[0,1,0]
	v_pk_fma_f16 v6, v129, v147, v6 op_sel_hi:[1,0,1]
	v_pk_fma_f16 v5, v129, v147, v5 op_sel:[0,1,0]
	v_pk_fma_f16 v61, v104, v110, v61 op_sel_hi:[1,0,1]
	v_pk_fma_f16 v77, v104, v111, v77 op_sel_hi:[1,0,1]
	v_pk_fma_f16 v62, v105, v110, v62 op_sel_hi:[1,0,1]
	v_pk_fma_f16 v75, v126, v146, v75 op_sel:[0,1,0]
	v_pk_fma_f16 v76, v126, v147, v76 op_sel_hi:[1,0,1]
	v_pk_fma_f16 v7, v130, v148, v7 op_sel_hi:[1,0,1]
	v_pk_fma_f16 v10, v130, v148, v10 op_sel:[0,1,0]
	v_pk_fma_f16 v11, v130, v149, v11 op_sel_hi:[1,0,1]
	v_pk_fma_f16 v63, v131, v148, v63 op_sel:[0,1,0]
	v_pk_fma_f16 v65, v131, v149, v65 op_sel_hi:[1,0,1]
	v_pk_fma_f16 v66, v132, v148, v66 op_sel_hi:[1,0,1]
	v_pk_fma_f16 v71, v132, v148, v71 op_sel:[0,1,0]
	v_pk_fma_f16 v72, v132, v149, v72 op_sel_hi:[1,0,1]
	v_pk_fma_f16 v67, v133, v148, v67 op_sel_hi:[1,0,1]
	v_pk_fma_f16 v73, v133, v148, v73 op_sel:[0,1,0]
	v_pk_fma_f16 v74, v133, v149, v74 op_sel_hi:[1,0,1]
	v_pk_fma_f16 v68, v134, v148, v68 op_sel_hi:[1,0,1]
	v_pk_fma_f16 v69, v135, v148, v69 op_sel_hi:[1,0,1]
	v_pk_fma_f16 v8, v135, v148, v8 op_sel:[0,1,0]
	v_pk_fma_f16 v9, v135, v149, v9 op_sel_hi:[1,0,1]
	v_pk_fma_f16 v70, v136, v148, v70 op_sel:[0,1,0]
	v_pk_fma_f16 v4, v137, v148, v4 op_sel:[0,1,0]
	v_pk_fma_f16 v6, v137, v149, v6 op_sel_hi:[1,0,1]
	v_pk_fma_f16 v5, v137, v149, v5 op_sel:[0,1,0]
	v_pk_fma_f16 v61, v120, v112, v61 op_sel_hi:[1,0,1]
	v_pk_fma_f16 v77, v120, v113, v77 op_sel_hi:[1,0,1]
	v_pk_fma_f16 v62, v121, v112, v62 op_sel_hi:[1,0,1]
	v_pk_fma_f16 v75, v134, v148, v75 op_sel:[0,1,0]
	v_pk_fma_f16 v76, v134, v149, v76 op_sel_hi:[1,0,1]
	v_pk_fma_f16 v7, v138, v150, v7 op_sel_hi:[1,0,1]
	v_pk_fma_f16 v10, v138, v150, v10 op_sel:[0,1,0]
	v_pk_fma_f16 v11, v138, v151, v11 op_sel_hi:[1,0,1]
	v_pk_fma_f16 v63, v139, v150, v63 op_sel:[0,1,0]
	v_pk_fma_f16 v65, v139, v151, v65 op_sel_hi:[1,0,1]
	v_pk_fma_f16 v66, v140, v150, v66 op_sel_hi:[1,0,1]
	v_pk_fma_f16 v71, v140, v150, v71 op_sel:[0,1,0]
	v_pk_fma_f16 v72, v140, v151, v72 op_sel_hi:[1,0,1]
	v_pk_fma_f16 v67, v141, v150, v67 op_sel_hi:[1,0,1]
	v_pk_fma_f16 v73, v141, v150, v73 op_sel:[0,1,0]
	v_pk_fma_f16 v74, v141, v151, v74 op_sel_hi:[1,0,1]
	v_pk_fma_f16 v68, v142, v150, v68 op_sel_hi:[1,0,1]
	v_pk_fma_f16 v69, v143, v150, v69 op_sel_hi:[1,0,1]
	v_pk_fma_f16 v8, v143, v150, v8 op_sel:[0,1,0]
	v_pk_fma_f16 v9, v143, v151, v9 op_sel_hi:[1,0,1]
	v_pk_fma_f16 v70, v144, v150, v70 op_sel:[0,1,0]
	v_pk_fma_f16 v4, v145, v150, v4 op_sel:[0,1,0]
	v_pk_fma_f16 v6, v145, v151, v6 op_sel_hi:[1,0,1]
	v_pk_fma_f16 v5, v145, v151, v5 op_sel:[0,1,0]
	v_pk_fma_f16 v61, v128, v146, v61 op_sel_hi:[1,0,1]
	v_pk_fma_f16 v77, v128, v147, v77 op_sel_hi:[1,0,1]
	v_pk_fma_f16 v62, v129, v146, v62 op_sel_hi:[1,0,1]
	v_pk_fma_f16 v75, v142, v150, v75 op_sel:[0,1,0]
	v_pk_fma_f16 v76, v142, v151, v76 op_sel_hi:[1,0,1]
	v_pk_fma_f16 v85, v154, v152, v7 op_sel_hi:[1,0,1]
	v_pk_fma_f16 v86, v154, v152, v10 op_sel:[0,1,0]
	v_pk_fma_f16 v87, v154, v153, v11 op_sel_hi:[1,0,1]
	v_pk_fma_f16 v63, v155, v152, v63 op_sel:[0,1,0]
	v_pk_fma_f16 v92, v155, v153, v65 op_sel_hi:[1,0,1]
	v_pk_fma_f16 v94, v156, v152, v66 op_sel_hi:[1,0,1]
	v_pk_fma_f16 v95, v156, v152, v71 op_sel:[0,1,0]
	v_pk_fma_f16 v96, v156, v153, v72 op_sel_hi:[1,0,1]
	v_pk_fma_f16 v98, v157, v152, v67 op_sel_hi:[1,0,1]
	v_pk_fma_f16 v73, v157, v152, v73 op_sel:[0,1,0]
	v_pk_fma_f16 v99, v157, v153, v74 op_sel_hi:[1,0,1]
	v_pk_fma_f16 v101, v158, v152, v68 op_sel_hi:[1,0,1]
	v_pk_fma_f16 v104, v159, v152, v69 op_sel_hi:[1,0,1]
	v_pk_fma_f16 v105, v159, v152, v8 op_sel:[0,1,0]
	v_pk_fma_f16 v106, v159, v153, v9 op_sel_hi:[1,0,1]
	v_pk_fma_f16 v107, v160, v152, v70 op_sel:[0,1,0]
	v_pk_fma_f16 v108, v161, v152, v4 op_sel:[0,1,0]
	v_pk_fma_f16 v109, v161, v153, v6 op_sel_hi:[1,0,1]
	v_pk_fma_f16 v110, v161, v153, v5 op_sel:[0,1,0]
	ds_load_2addr_b64 v[65:68], v89 offset0:64 offset1:96
	ds_load_b128 v[69:72], v40 offset:144
	ds_load_b128 v[8:11], v40 offset:160
	;; [unrolled: 1-line block ×3, first 2 shown]
	v_pk_fma_f16 v61, v136, v148, v61 op_sel_hi:[1,0,1]
	v_pk_fma_f16 v77, v136, v149, v77 op_sel_hi:[1,0,1]
	;; [unrolled: 1-line block ×3, first 2 shown]
	v_pk_fma_f16 v102, v158, v152, v75 op_sel:[0,1,0]
	v_pk_fma_f16 v103, v158, v153, v76 op_sel_hi:[1,0,1]
	s_waitcnt lgkmcnt(4)
	v_pk_fma_f16 v85, v53, v57, v85 op_sel_hi:[1,0,1]
	v_pk_fma_f16 v86, v53, v57, v86 op_sel:[0,1,0]
	v_pk_fma_f16 v87, v53, v58, v87 op_sel_hi:[1,0,1]
	v_pk_fma_f16 v90, v53, v58, v90 op_sel:[0,1,0]
	;; [unrolled: 2-line block ×7, first 2 shown]
	ds_load_2addr_b64 v[73:76], v89 offset0:128 offset1:160
	v_pk_fma_f16 v99, v56, v58, v99 op_sel_hi:[1,0,1]
	v_pk_fma_f16 v100, v56, v58, v100 op_sel:[0,1,0]
	ds_load_2addr_b64 v[53:56], v89 offset0:192 offset1:224
	v_pk_fma_f16 v61, v144, v150, v61 op_sel_hi:[1,0,1]
	v_pk_fma_f16 v77, v144, v151, v77 op_sel_hi:[1,0,1]
	;; [unrolled: 1-line block ×3, first 2 shown]
	v_pk_fma_f16 v78, v158, v153, v78 op_sel:[0,1,0]
	v_pk_fma_f16 v79, v159, v153, v79 op_sel:[0,1,0]
	v_pk_fma_f16 v61, v160, v152, v61 op_sel_hi:[1,0,1]
	v_pk_fma_f16 v77, v160, v153, v77 op_sel_hi:[1,0,1]
	v_pk_fma_f16 v84, v160, v153, v84 op_sel:[0,1,0]
	v_pk_fma_f16 v62, v161, v152, v62 op_sel_hi:[1,0,1]
	s_waitcnt lgkmcnt(5)
	v_pk_fma_f16 v101, v65, v57, v101 op_sel_hi:[1,0,1]
	v_pk_fma_f16 v102, v65, v57, v102 op_sel:[0,1,0]
	v_pk_fma_f16 v103, v65, v58, v103 op_sel_hi:[1,0,1]
	v_pk_fma_f16 v78, v65, v58, v78 op_sel:[0,1,0]
	;; [unrolled: 2-line block ×8, first 2 shown]
	ds_load_2addr_b64 v[65:68], v88 offset1:32
	s_waitcnt lgkmcnt(2)
	v_pk_fma_f16 v85, v73, v59, v85 op_sel_hi:[1,0,1]
	v_pk_fma_f16 v86, v73, v59, v86 op_sel:[0,1,0]
	v_pk_fma_f16 v87, v73, v60, v87 op_sel_hi:[1,0,1]
	v_pk_fma_f16 v90, v73, v60, v90 op_sel:[0,1,0]
	;; [unrolled: 2-line block ×8, first 2 shown]
	s_waitcnt lgkmcnt(1)
	v_pk_fma_f16 v101, v53, v59, v101 op_sel_hi:[1,0,1]
	v_pk_fma_f16 v102, v53, v59, v102 op_sel:[0,1,0]
	v_pk_fma_f16 v103, v53, v60, v103 op_sel_hi:[1,0,1]
	v_pk_fma_f16 v78, v53, v60, v78 op_sel:[0,1,0]
	;; [unrolled: 2-line block ×7, first 2 shown]
	ds_load_2addr_b64 v[73:76], v88 offset0:64 offset1:96
	v_pk_fma_f16 v108, v56, v60, v108 op_sel_hi:[1,0,1]
	v_pk_fma_f16 v110, v56, v60, v58 op_sel:[0,1,0]
	ds_load_2addr_b64 v[53:56], v88 offset0:128 offset1:160
	s_waitcnt lgkmcnt(2)
	v_pk_fma_f16 v85, v65, v69, v85 op_sel_hi:[1,0,1]
	v_pk_fma_f16 v86, v65, v69, v86 op_sel:[0,1,0]
	v_pk_fma_f16 v87, v65, v70, v87 op_sel_hi:[1,0,1]
	v_pk_fma_f16 v65, v65, v70, v90 op_sel:[0,1,0]
	;; [unrolled: 2-line block ×8, first 2 shown]
	s_waitcnt lgkmcnt(1)
	v_pk_fma_f16 v99, v73, v69, v101 op_sel_hi:[1,0,1]
	v_pk_fma_f16 v100, v73, v69, v102 op_sel:[0,1,0]
	v_pk_fma_f16 v101, v73, v70, v103 op_sel_hi:[1,0,1]
	v_pk_fma_f16 v73, v73, v70, v78 op_sel:[0,1,0]
	;; [unrolled: 2-line block ×7, first 2 shown]
	ds_load_2addr_b64 v[57:60], v88 offset0:192 offset1:224
	v_pk_fma_f16 v84, v76, v70, v108 op_sel_hi:[1,0,1]
	v_pk_fma_f16 v70, v76, v70, v110 op_sel:[0,1,0]
	s_waitcnt lgkmcnt(1)
	v_pk_fma_f16 v76, v53, v71, v85 op_sel_hi:[1,0,1]
	v_pk_fma_f16 v85, v53, v71, v86 op_sel:[0,1,0]
	v_pk_fma_f16 v86, v53, v72, v87 op_sel_hi:[1,0,1]
	v_pk_fma_f16 v87, v53, v72, v65 op_sel:[0,1,0]
	v_pk_fma_f16 v104, v54, v72, v66 op_sel:[0,1,0]
	;; [unrolled: 1-line block ×3, first 2 shown]
	ds_load_2addr_b64 v[65:68], v51 offset1:32
	v_pk_fma_f16 v90, v54, v71, v90 op_sel_hi:[1,0,1]
	v_pk_fma_f16 v63, v54, v71, v63 op_sel:[0,1,0]
	v_pk_fma_f16 v91, v54, v72, v91 op_sel_hi:[1,0,1]
	v_pk_fma_f16 v92, v55, v71, v92 op_sel_hi:[1,0,1]
	v_pk_fma_f16 v93, v55, v71, v93 op_sel:[0,1,0]
	v_pk_fma_f16 v94, v55, v72, v94 op_sel_hi:[1,0,1]
	;; [unrolled: 3-line block ×3, first 2 shown]
	v_pk_fma_f16 v98, v56, v72, v98 op_sel:[0,1,0]
	ds_load_2addr_b64 v[53:56], v51 offset0:64 offset1:96
	s_or_b32 s8, s3, 32
	s_waitcnt lgkmcnt(2)
	v_pk_fma_f16 v99, v57, v71, v99 op_sel_hi:[1,0,1]
	v_pk_fma_f16 v100, v57, v71, v100 op_sel:[0,1,0]
	v_pk_fma_f16 v101, v57, v72, v101 op_sel_hi:[1,0,1]
	v_pk_fma_f16 v73, v57, v72, v73 op_sel:[0,1,0]
	;; [unrolled: 2-line block ×8, first 2 shown]
	s_waitcnt lgkmcnt(1)
	v_pk_fma_f16 v72, v65, v8, v76 op_sel_hi:[1,0,1]
	v_pk_fma_f16 v76, v65, v8, v85 op_sel:[0,1,0]
	v_pk_fma_f16 v84, v65, v9, v86 op_sel_hi:[1,0,1]
	v_pk_fma_f16 v85, v65, v9, v87 op_sel:[0,1,0]
	;; [unrolled: 2-line block ×7, first 2 shown]
	ds_load_2addr_b64 v[57:60], v51 offset0:128 offset1:160
	v_pk_fma_f16 v97, v68, v9, v97 op_sel_hi:[1,0,1]
	v_pk_fma_f16 v98, v68, v9, v98 op_sel:[0,1,0]
	ds_load_2addr_b64 v[65:68], v51 offset0:192 offset1:224
	s_mul_hi_i32 s19, s8, s10
	s_mul_i32 s18, s8, s10
	s_waitcnt lgkmcnt(2)
	v_pk_fma_f16 v99, v53, v8, v99 op_sel_hi:[1,0,1]
	s_lshl_b64 s[18:19], s[18:19], 2
	v_pk_fma_f16 v100, v53, v8, v100 op_sel:[0,1,0]
	s_add_u32 s8, s11, s18
	v_pk_fma_f16 v101, v53, v9, v101 op_sel_hi:[1,0,1]
	v_pk_fma_f16 v53, v53, v9, v73 op_sel:[0,1,0]
	v_pk_fma_f16 v73, v54, v8, v78 op_sel_hi:[1,0,1]
	v_pk_fma_f16 v78, v54, v8, v102 op_sel:[0,1,0]
	;; [unrolled: 2-line block ×4, first 2 shown]
	s_addc_u32 s18, s17, s19
	v_add_co_u32 v8, vcc_lo, s8, v27
	v_pk_fma_f16 v182, v54, v9, v103 op_sel_hi:[1,0,1]
	v_pk_fma_f16 v183, v54, v9, v74 op_sel:[0,1,0]
	v_pk_fma_f16 v77, v55, v9, v77 op_sel_hi:[1,0,1]
	v_pk_fma_f16 v185, v55, v9, v75 op_sel:[0,1,0]
	;; [unrolled: 2-line block ×3, first 2 shown]
	v_add_co_ci_u32_e32 v9, vcc_lo, s18, v28, vcc_lo
	v_add_co_u32 v61, vcc_lo, s8, v29
	v_add_co_ci_u32_e32 v62, vcc_lo, s18, v30, vcc_lo
	v_add_co_u32 v8, vcc_lo, v8, v38
	s_delay_alu instid0(VALU_DEP_4) | instskip(NEXT) | instid1(VALU_DEP_4)
	v_add_co_ci_u32_e32 v9, vcc_lo, 0, v9, vcc_lo
	v_add_co_u32 v61, vcc_lo, v61, v38
	s_delay_alu instid0(VALU_DEP_4)
	v_add_co_ci_u32_e32 v62, vcc_lo, 0, v62, vcc_lo
	s_waitcnt lgkmcnt(1)
	v_pk_fma_f16 v190, v57, v10, v72 op_sel_hi:[1,0,1]
	v_pk_fma_f16 v191, v57, v10, v76 op_sel:[0,1,0]
	v_pk_fma_f16 v192, v57, v11, v84 op_sel_hi:[1,0,1]
	v_pk_fma_f16 v193, v57, v11, v85 op_sel:[0,1,0]
	;; [unrolled: 2-line block ×8, first 2 shown]
	s_waitcnt lgkmcnt(0)
	v_pk_fma_f16 v205, v65, v10, v99 op_sel_hi:[1,0,1]
	v_pk_fma_f16 v206, v65, v10, v100 op_sel:[0,1,0]
	v_pk_fma_f16 v207, v65, v11, v101 op_sel_hi:[1,0,1]
	v_pk_fma_f16 v65, v65, v11, v53 op_sel:[0,1,0]
	v_pk_fma_f16 v208, v66, v10, v73 op_sel_hi:[1,0,1]
	ds_load_2addr_b64 v[53:56], v52 offset1:32
	ds_load_2addr_b64 v[57:60], v52 offset0:64 offset1:96
	ds_load_2addr_b64 v[69:72], v52 offset0:128 offset1:160
	;; [unrolled: 1-line block ×3, first 2 shown]
	ds_load_2addr_b64 v[84:87], v50 offset1:32
	ds_load_2addr_b64 v[90:93], v50 offset0:64 offset1:96
	ds_load_2addr_b64 v[94:97], v50 offset0:128 offset1:160
	ds_load_2addr_b64 v[98:101], v50 offset0:192 offset1:224
	ds_load_2addr_b64 v[102:105], v49 offset1:32
	ds_load_2addr_b64 v[106:109], v49 offset0:64 offset1:96
	ds_load_b128 v[110:113], v40 offset:192
	ds_load_b128 v[114:117], v40 offset:208
	ds_load_2addr_b64 v[118:121], v49 offset0:128 offset1:160
	ds_load_2addr_b64 v[122:125], v49 offset0:192 offset1:224
	ds_load_2addr_b64 v[126:129], v48 offset1:32
	ds_load_2addr_b64 v[130:133], v48 offset0:64 offset1:96
	ds_load_2addr_b64 v[134:137], v48 offset0:128 offset1:160
	;; [unrolled: 1-line block ×3, first 2 shown]
	ds_load_2addr_b64 v[142:145], v47 offset1:32
	ds_load_2addr_b64 v[146:149], v47 offset0:64 offset1:96
	ds_load_b128 v[150:153], v40 offset:224
	ds_load_b128 v[154:157], v40 offset:240
	ds_load_2addr_b64 v[158:161], v47 offset0:128 offset1:160
	ds_load_2addr_b64 v[162:165], v47 offset0:192 offset1:224
	s_waitcnt lgkmcnt(0)
	s_barrier
	buffer_gl0_inv
	s_clause 0x3
	global_load_b128 v[166:169], v[8:9], off
	global_load_b128 v[170:173], v[8:9], off offset:512
	global_load_b128 v[174:177], v[61:62], off
	global_load_b128 v[178:181], v[61:62], off offset:512
	v_pk_fma_f16 v8, v66, v10, v78 op_sel:[0,1,0]
	v_pk_fma_f16 v9, v66, v11, v182 op_sel_hi:[1,0,1]
	v_pk_fma_f16 v61, v66, v11, v183 op_sel:[0,1,0]
	v_pk_fma_f16 v62, v67, v10, v184 op_sel_hi:[1,0,1]
	;; [unrolled: 2-line block ×24, first 2 shown]
	v_pk_fma_f16 v54, v70, v7, v54 op_sel:[0,1,0]
	v_pk_fma_f16 v55, v71, v7, v55 op_sel:[0,1,0]
	;; [unrolled: 1-line block ×4, first 2 shown]
	v_pk_fma_f16 v77, v70, v7, v185 op_sel_hi:[1,0,1]
	v_pk_fma_f16 v70, v71, v6, v186 op_sel_hi:[1,0,1]
	v_pk_fma_f16 v78, v71, v6, v187 op_sel:[0,1,0]
	v_pk_fma_f16 v79, v71, v7, v188 op_sel_hi:[1,0,1]
	v_pk_fma_f16 v71, v72, v6, v189 op_sel_hi:[1,0,1]
	v_pk_fma_f16 v182, v72, v6, v190 op_sel:[0,1,0]
	;; [unrolled: 3-line block ×3, first 2 shown]
	v_pk_fma_f16 v57, v73, v7, v57 op_sel:[0,1,0]
	v_pk_fma_f16 v65, v74, v6, v65 op_sel_hi:[1,0,1]
	v_pk_fma_f16 v8, v74, v6, v8 op_sel:[0,1,0]
	v_pk_fma_f16 v58, v74, v7, v58 op_sel:[0,1,0]
	v_pk_fma_f16 v61, v75, v6, v61 op_sel_hi:[1,0,1]
	v_pk_fma_f16 v62, v75, v6, v62 op_sel:[0,1,0]
	;; [unrolled: 3-line block ×3, first 2 shown]
	v_pk_fma_f16 v6, v76, v7, v10 op_sel_hi:[1,0,1]
	v_pk_fma_f16 v10, v84, v110, v60 op_sel:[0,1,0]
	v_pk_fma_f16 v53, v84, v111, v53 op_sel:[0,1,0]
	v_pk_fma_f16 v60, v85, v110, v69 op_sel_hi:[1,0,1]
	v_pk_fma_f16 v54, v85, v111, v54 op_sel:[0,1,0]
	v_pk_fma_f16 v55, v86, v111, v55 op_sel:[0,1,0]
	v_pk_fma_f16 v56, v87, v111, v56 op_sel:[0,1,0]
	v_pk_fma_f16 v57, v90, v111, v57 op_sel:[0,1,0]
	v_pk_fma_f16 v58, v91, v111, v58 op_sel:[0,1,0]
	v_pk_fma_f16 v59, v92, v111, v59 op_sel:[0,1,0]
	v_pk_fma_f16 v53, v94, v113, v53 op_sel:[0,1,0]
	v_pk_fma_f16 v60, v95, v112, v60 op_sel_hi:[1,0,1]
	v_pk_fma_f16 v54, v95, v113, v54 op_sel:[0,1,0]
	v_pk_fma_f16 v55, v96, v113, v55 op_sel:[0,1,0]
	;; [unrolled: 1-line block ×7, first 2 shown]
	v_pk_fma_f16 v60, v103, v114, v60 op_sel_hi:[1,0,1]
	v_pk_fma_f16 v54, v103, v115, v54 op_sel:[0,1,0]
	v_pk_fma_f16 v55, v104, v115, v55 op_sel:[0,1,0]
	;; [unrolled: 1-line block ×3, first 2 shown]
	v_pk_fma_f16 v9, v74, v7, v9 op_sel_hi:[1,0,1]
	v_pk_fma_f16 v66, v75, v7, v66 op_sel_hi:[1,0,1]
	v_pk_fma_f16 v5, v76, v7, v5 op_sel:[0,1,0]
	v_pk_fma_f16 v185, v73, v7, v194 op_sel_hi:[1,0,1]
	v_pk_fma_f16 v7, v84, v110, v11 op_sel_hi:[1,0,1]
	;; [unrolled: 1-line block ×3, first 2 shown]
	v_pk_fma_f16 v63, v85, v110, v63 op_sel:[0,1,0]
	v_pk_fma_f16 v68, v85, v111, v77 op_sel_hi:[1,0,1]
	v_pk_fma_f16 v69, v86, v110, v70 op_sel_hi:[1,0,1]
	v_pk_fma_f16 v70, v86, v110, v78 op_sel:[0,1,0]
	v_pk_fma_f16 v73, v86, v111, v79 op_sel_hi:[1,0,1]
	v_pk_fma_f16 v71, v87, v110, v71 op_sel_hi:[1,0,1]
	v_pk_fma_f16 v74, v87, v110, v182 op_sel:[0,1,0]
	v_pk_fma_f16 v75, v87, v111, v183 op_sel_hi:[1,0,1]
	v_pk_fma_f16 v57, v106, v115, v57 op_sel:[0,1,0]
	v_pk_fma_f16 v58, v107, v115, v58 op_sel:[0,1,0]
	;; [unrolled: 1-line block ×4, first 2 shown]
	v_pk_fma_f16 v60, v119, v116, v60 op_sel_hi:[1,0,1]
	v_pk_fma_f16 v54, v119, v117, v54 op_sel:[0,1,0]
	v_pk_fma_f16 v55, v120, v117, v55 op_sel:[0,1,0]
	;; [unrolled: 1-line block ×3, first 2 shown]
	v_pk_fma_f16 v72, v90, v110, v72 op_sel_hi:[1,0,1]
	v_pk_fma_f16 v65, v91, v110, v65 op_sel_hi:[1,0,1]
	v_pk_fma_f16 v8, v91, v110, v8 op_sel:[0,1,0]
	v_pk_fma_f16 v9, v91, v111, v9 op_sel_hi:[1,0,1]
	v_pk_fma_f16 v66, v92, v111, v66 op_sel_hi:[1,0,1]
	;; [unrolled: 1-line block ×3, first 2 shown]
	v_pk_fma_f16 v4, v93, v110, v4 op_sel:[0,1,0]
	v_pk_fma_f16 v6, v93, v111, v6 op_sel_hi:[1,0,1]
	v_pk_fma_f16 v5, v93, v111, v5 op_sel:[0,1,0]
	v_pk_fma_f16 v76, v90, v110, v184 op_sel:[0,1,0]
	v_pk_fma_f16 v7, v94, v112, v7 op_sel_hi:[1,0,1]
	v_pk_fma_f16 v10, v94, v112, v10 op_sel:[0,1,0]
	v_pk_fma_f16 v11, v94, v113, v11 op_sel_hi:[1,0,1]
	;; [unrolled: 2-line block ×3, first 2 shown]
	v_pk_fma_f16 v69, v96, v112, v69 op_sel_hi:[1,0,1]
	v_pk_fma_f16 v70, v96, v112, v70 op_sel:[0,1,0]
	v_pk_fma_f16 v73, v96, v113, v73 op_sel_hi:[1,0,1]
	v_pk_fma_f16 v71, v97, v112, v71 op_sel_hi:[1,0,1]
	v_pk_fma_f16 v74, v97, v112, v74 op_sel:[0,1,0]
	v_pk_fma_f16 v75, v97, v113, v75 op_sel_hi:[1,0,1]
	v_pk_fma_f16 v57, v122, v117, v57 op_sel:[0,1,0]
	v_pk_fma_f16 v58, v123, v117, v58 op_sel:[0,1,0]
	;; [unrolled: 1-line block ×4, first 2 shown]
	v_pk_fma_f16 v60, v127, v150, v60 op_sel_hi:[1,0,1]
	v_pk_fma_f16 v54, v127, v151, v54 op_sel:[0,1,0]
	v_pk_fma_f16 v55, v128, v151, v55 op_sel:[0,1,0]
	;; [unrolled: 1-line block ×3, first 2 shown]
	v_pk_fma_f16 v72, v98, v112, v72 op_sel_hi:[1,0,1]
	v_pk_fma_f16 v65, v99, v112, v65 op_sel_hi:[1,0,1]
	v_pk_fma_f16 v8, v99, v112, v8 op_sel:[0,1,0]
	v_pk_fma_f16 v9, v99, v113, v9 op_sel_hi:[1,0,1]
	v_pk_fma_f16 v66, v100, v113, v66 op_sel_hi:[1,0,1]
	;; [unrolled: 1-line block ×3, first 2 shown]
	v_pk_fma_f16 v4, v101, v112, v4 op_sel:[0,1,0]
	v_pk_fma_f16 v6, v101, v113, v6 op_sel_hi:[1,0,1]
	v_pk_fma_f16 v5, v101, v113, v5 op_sel:[0,1,0]
	v_pk_fma_f16 v76, v98, v112, v76 op_sel:[0,1,0]
	v_pk_fma_f16 v7, v102, v114, v7 op_sel_hi:[1,0,1]
	v_pk_fma_f16 v10, v102, v114, v10 op_sel:[0,1,0]
	v_pk_fma_f16 v11, v102, v115, v11 op_sel_hi:[1,0,1]
	;; [unrolled: 2-line block ×3, first 2 shown]
	v_pk_fma_f16 v69, v104, v114, v69 op_sel_hi:[1,0,1]
	v_pk_fma_f16 v70, v104, v114, v70 op_sel:[0,1,0]
	v_pk_fma_f16 v73, v104, v115, v73 op_sel_hi:[1,0,1]
	v_pk_fma_f16 v71, v105, v114, v71 op_sel_hi:[1,0,1]
	v_pk_fma_f16 v74, v105, v114, v74 op_sel:[0,1,0]
	v_pk_fma_f16 v75, v105, v115, v75 op_sel_hi:[1,0,1]
	v_pk_fma_f16 v57, v130, v151, v57 op_sel:[0,1,0]
	v_pk_fma_f16 v58, v131, v151, v58 op_sel:[0,1,0]
	;; [unrolled: 1-line block ×4, first 2 shown]
	v_pk_fma_f16 v60, v135, v152, v60 op_sel_hi:[1,0,1]
	v_pk_fma_f16 v54, v135, v153, v54 op_sel:[0,1,0]
	v_pk_fma_f16 v55, v136, v153, v55 op_sel:[0,1,0]
	;; [unrolled: 1-line block ×3, first 2 shown]
	v_pk_fma_f16 v72, v106, v114, v72 op_sel_hi:[1,0,1]
	v_pk_fma_f16 v65, v107, v114, v65 op_sel_hi:[1,0,1]
	v_pk_fma_f16 v8, v107, v114, v8 op_sel:[0,1,0]
	v_pk_fma_f16 v9, v107, v115, v9 op_sel_hi:[1,0,1]
	v_pk_fma_f16 v66, v108, v115, v66 op_sel_hi:[1,0,1]
	;; [unrolled: 1-line block ×3, first 2 shown]
	v_pk_fma_f16 v4, v109, v114, v4 op_sel:[0,1,0]
	v_pk_fma_f16 v6, v109, v115, v6 op_sel_hi:[1,0,1]
	v_pk_fma_f16 v5, v109, v115, v5 op_sel:[0,1,0]
	v_pk_fma_f16 v77, v90, v111, v185 op_sel_hi:[1,0,1]
	v_pk_fma_f16 v61, v92, v110, v61 op_sel_hi:[1,0,1]
	v_pk_fma_f16 v62, v92, v110, v62 op_sel:[0,1,0]
	v_pk_fma_f16 v76, v106, v114, v76 op_sel:[0,1,0]
	v_pk_fma_f16 v7, v118, v116, v7 op_sel_hi:[1,0,1]
	v_pk_fma_f16 v10, v118, v116, v10 op_sel:[0,1,0]
	v_pk_fma_f16 v11, v118, v117, v11 op_sel_hi:[1,0,1]
	;; [unrolled: 2-line block ×3, first 2 shown]
	v_pk_fma_f16 v69, v120, v116, v69 op_sel_hi:[1,0,1]
	v_pk_fma_f16 v70, v120, v116, v70 op_sel:[0,1,0]
	v_pk_fma_f16 v73, v120, v117, v73 op_sel_hi:[1,0,1]
	v_pk_fma_f16 v71, v121, v116, v71 op_sel_hi:[1,0,1]
	v_pk_fma_f16 v74, v121, v116, v74 op_sel:[0,1,0]
	v_pk_fma_f16 v75, v121, v117, v75 op_sel_hi:[1,0,1]
	v_pk_fma_f16 v57, v138, v153, v57 op_sel:[0,1,0]
	v_pk_fma_f16 v58, v139, v153, v58 op_sel:[0,1,0]
	;; [unrolled: 1-line block ×4, first 2 shown]
	v_pk_fma_f16 v60, v143, v154, v60 op_sel_hi:[1,0,1]
	v_pk_fma_f16 v54, v143, v155, v54 op_sel:[0,1,0]
	v_pk_fma_f16 v55, v144, v155, v55 op_sel:[0,1,0]
	;; [unrolled: 1-line block ×3, first 2 shown]
	v_pk_fma_f16 v72, v122, v116, v72 op_sel_hi:[1,0,1]
	v_pk_fma_f16 v65, v123, v116, v65 op_sel_hi:[1,0,1]
	v_pk_fma_f16 v8, v123, v116, v8 op_sel:[0,1,0]
	v_pk_fma_f16 v9, v123, v117, v9 op_sel_hi:[1,0,1]
	v_pk_fma_f16 v66, v124, v117, v66 op_sel_hi:[1,0,1]
	;; [unrolled: 1-line block ×3, first 2 shown]
	v_pk_fma_f16 v4, v125, v116, v4 op_sel:[0,1,0]
	v_pk_fma_f16 v6, v125, v117, v6 op_sel_hi:[1,0,1]
	v_pk_fma_f16 v5, v125, v117, v5 op_sel:[0,1,0]
	v_pk_fma_f16 v77, v98, v113, v77 op_sel_hi:[1,0,1]
	v_pk_fma_f16 v61, v100, v112, v61 op_sel_hi:[1,0,1]
	v_pk_fma_f16 v62, v100, v112, v62 op_sel:[0,1,0]
	v_pk_fma_f16 v76, v122, v116, v76 op_sel:[0,1,0]
	v_pk_fma_f16 v7, v126, v150, v7 op_sel_hi:[1,0,1]
	v_pk_fma_f16 v10, v126, v150, v10 op_sel:[0,1,0]
	v_pk_fma_f16 v11, v126, v151, v11 op_sel_hi:[1,0,1]
	;; [unrolled: 2-line block ×3, first 2 shown]
	v_pk_fma_f16 v69, v128, v150, v69 op_sel_hi:[1,0,1]
	v_pk_fma_f16 v70, v128, v150, v70 op_sel:[0,1,0]
	v_pk_fma_f16 v73, v128, v151, v73 op_sel_hi:[1,0,1]
	v_pk_fma_f16 v71, v129, v150, v71 op_sel_hi:[1,0,1]
	v_pk_fma_f16 v74, v129, v150, v74 op_sel:[0,1,0]
	v_pk_fma_f16 v75, v129, v151, v75 op_sel_hi:[1,0,1]
	v_pk_fma_f16 v78, v146, v155, v57 op_sel:[0,1,0]
	v_pk_fma_f16 v79, v147, v155, v58 op_sel:[0,1,0]
	;; [unrolled: 1-line block ×4, first 2 shown]
	v_pk_fma_f16 v91, v159, v156, v60 op_sel_hi:[1,0,1]
	v_pk_fma_f16 v93, v159, v157, v54 op_sel:[0,1,0]
	v_pk_fma_f16 v96, v160, v157, v55 op_sel:[0,1,0]
	;; [unrolled: 1-line block ×3, first 2 shown]
	s_waitcnt vmcnt(3)
	ds_store_b128 v42, v[166:169]
	s_waitcnt vmcnt(2)
	ds_store_b128 v43, v[170:173]
	;; [unrolled: 2-line block ×4, first 2 shown]
	s_waitcnt lgkmcnt(0)
	s_barrier
	buffer_gl0_inv
	ds_load_2addr_b64 v[53:56], v89 offset1:32
	ds_load_b128 v[57:60], v40 offset:256
	v_pk_fma_f16 v72, v130, v150, v72 op_sel_hi:[1,0,1]
	v_pk_fma_f16 v65, v131, v150, v65 op_sel_hi:[1,0,1]
	v_pk_fma_f16 v8, v131, v150, v8 op_sel:[0,1,0]
	v_pk_fma_f16 v9, v131, v151, v9 op_sel_hi:[1,0,1]
	v_pk_fma_f16 v66, v132, v151, v66 op_sel_hi:[1,0,1]
	v_pk_fma_f16 v67, v133, v150, v67 op_sel_hi:[1,0,1]
	v_pk_fma_f16 v4, v133, v150, v4 op_sel:[0,1,0]
	v_pk_fma_f16 v6, v133, v151, v6 op_sel_hi:[1,0,1]
	v_pk_fma_f16 v5, v133, v151, v5 op_sel:[0,1,0]
	v_pk_fma_f16 v77, v106, v115, v77 op_sel_hi:[1,0,1]
	v_pk_fma_f16 v61, v108, v114, v61 op_sel_hi:[1,0,1]
	v_pk_fma_f16 v62, v108, v114, v62 op_sel:[0,1,0]
	v_pk_fma_f16 v76, v130, v150, v76 op_sel:[0,1,0]
	v_pk_fma_f16 v7, v134, v152, v7 op_sel_hi:[1,0,1]
	v_pk_fma_f16 v10, v134, v152, v10 op_sel:[0,1,0]
	v_pk_fma_f16 v11, v134, v153, v11 op_sel_hi:[1,0,1]
	v_pk_fma_f16 v63, v135, v152, v63 op_sel:[0,1,0]
	v_pk_fma_f16 v68, v135, v153, v68 op_sel_hi:[1,0,1]
	v_pk_fma_f16 v69, v136, v152, v69 op_sel_hi:[1,0,1]
	v_pk_fma_f16 v70, v136, v152, v70 op_sel:[0,1,0]
	v_pk_fma_f16 v73, v136, v153, v73 op_sel_hi:[1,0,1]
	v_pk_fma_f16 v71, v137, v152, v71 op_sel_hi:[1,0,1]
	v_pk_fma_f16 v74, v137, v152, v74 op_sel:[0,1,0]
	v_pk_fma_f16 v75, v137, v153, v75 op_sel_hi:[1,0,1]
	v_pk_fma_f16 v72, v138, v152, v72 op_sel_hi:[1,0,1]
	v_pk_fma_f16 v65, v139, v152, v65 op_sel_hi:[1,0,1]
	v_pk_fma_f16 v8, v139, v152, v8 op_sel:[0,1,0]
	v_pk_fma_f16 v9, v139, v153, v9 op_sel_hi:[1,0,1]
	v_pk_fma_f16 v66, v140, v153, v66 op_sel_hi:[1,0,1]
	v_pk_fma_f16 v67, v141, v152, v67 op_sel_hi:[1,0,1]
	v_pk_fma_f16 v4, v141, v152, v4 op_sel:[0,1,0]
	v_pk_fma_f16 v6, v141, v153, v6 op_sel_hi:[1,0,1]
	v_pk_fma_f16 v5, v141, v153, v5 op_sel:[0,1,0]
	v_pk_fma_f16 v77, v122, v117, v77 op_sel_hi:[1,0,1]
	v_pk_fma_f16 v61, v124, v116, v61 op_sel_hi:[1,0,1]
	v_pk_fma_f16 v62, v124, v116, v62 op_sel:[0,1,0]
	v_pk_fma_f16 v76, v138, v152, v76 op_sel:[0,1,0]
	v_pk_fma_f16 v7, v142, v154, v7 op_sel_hi:[1,0,1]
	v_pk_fma_f16 v10, v142, v154, v10 op_sel:[0,1,0]
	v_pk_fma_f16 v11, v142, v155, v11 op_sel_hi:[1,0,1]
	v_pk_fma_f16 v63, v143, v154, v63 op_sel:[0,1,0]
	v_pk_fma_f16 v68, v143, v155, v68 op_sel_hi:[1,0,1]
	v_pk_fma_f16 v69, v144, v154, v69 op_sel_hi:[1,0,1]
	v_pk_fma_f16 v70, v144, v154, v70 op_sel:[0,1,0]
	v_pk_fma_f16 v73, v144, v155, v73 op_sel_hi:[1,0,1]
	v_pk_fma_f16 v71, v145, v154, v71 op_sel_hi:[1,0,1]
	v_pk_fma_f16 v74, v145, v154, v74 op_sel:[0,1,0]
	v_pk_fma_f16 v75, v145, v155, v75 op_sel_hi:[1,0,1]
	;; [unrolled: 24-line block ×3, first 2 shown]
	v_pk_fma_f16 v100, v162, v156, v72 op_sel_hi:[1,0,1]
	v_pk_fma_f16 v102, v163, v156, v65 op_sel_hi:[1,0,1]
	v_pk_fma_f16 v103, v163, v156, v8 op_sel:[0,1,0]
	v_pk_fma_f16 v104, v163, v157, v9 op_sel_hi:[1,0,1]
	v_pk_fma_f16 v105, v164, v157, v66 op_sel_hi:[1,0,1]
	;; [unrolled: 1-line block ×3, first 2 shown]
	v_pk_fma_f16 v107, v165, v156, v4 op_sel:[0,1,0]
	v_pk_fma_f16 v108, v165, v157, v6 op_sel_hi:[1,0,1]
	v_pk_fma_f16 v109, v165, v157, v5 op_sel:[0,1,0]
	ds_load_2addr_b64 v[65:68], v89 offset0:64 offset1:96
	ds_load_b128 v[69:72], v40 offset:272
	ds_load_b128 v[8:11], v40 offset:288
	;; [unrolled: 1-line block ×3, first 2 shown]
	v_pk_fma_f16 v77, v138, v153, v77 op_sel_hi:[1,0,1]
	v_pk_fma_f16 v61, v140, v152, v61 op_sel_hi:[1,0,1]
	v_pk_fma_f16 v62, v140, v152, v62 op_sel:[0,1,0]
	v_pk_fma_f16 v101, v162, v156, v76 op_sel:[0,1,0]
	s_waitcnt lgkmcnt(4)
	v_pk_fma_f16 v85, v53, v57, v85 op_sel_hi:[1,0,1]
	v_pk_fma_f16 v86, v53, v57, v86 op_sel:[0,1,0]
	v_pk_fma_f16 v87, v53, v58, v87 op_sel_hi:[1,0,1]
	v_pk_fma_f16 v90, v53, v58, v90 op_sel:[0,1,0]
	v_pk_fma_f16 v91, v54, v57, v91 op_sel_hi:[1,0,1]
	v_pk_fma_f16 v63, v54, v57, v63 op_sel:[0,1,0]
	v_pk_fma_f16 v92, v54, v58, v92 op_sel_hi:[1,0,1]
	v_pk_fma_f16 v93, v54, v58, v93 op_sel:[0,1,0]
	v_pk_fma_f16 v94, v55, v57, v94 op_sel_hi:[1,0,1]
	v_pk_fma_f16 v95, v55, v57, v95 op_sel:[0,1,0]
	v_pk_fma_f16 v110, v55, v58, v73 op_sel_hi:[1,0,1]
	v_pk_fma_f16 v96, v55, v58, v96 op_sel:[0,1,0]
	v_pk_fma_f16 v97, v56, v57, v97 op_sel_hi:[1,0,1]
	v_pk_fma_f16 v111, v56, v57, v74 op_sel:[0,1,0]
	ds_load_2addr_b64 v[73:76], v89 offset0:128 offset1:160
	v_pk_fma_f16 v98, v56, v58, v98 op_sel_hi:[1,0,1]
	v_pk_fma_f16 v99, v56, v58, v99 op_sel:[0,1,0]
	ds_load_2addr_b64 v[53:56], v89 offset0:192 offset1:224
	v_pk_fma_f16 v77, v146, v155, v77 op_sel_hi:[1,0,1]
	v_pk_fma_f16 v61, v148, v154, v61 op_sel_hi:[1,0,1]
	v_pk_fma_f16 v62, v148, v154, v62 op_sel:[0,1,0]
	v_pk_fma_f16 v78, v162, v157, v78 op_sel:[0,1,0]
	;; [unrolled: 1-line block ×3, first 2 shown]
	v_pk_fma_f16 v77, v162, v157, v77 op_sel_hi:[1,0,1]
	v_pk_fma_f16 v61, v164, v156, v61 op_sel_hi:[1,0,1]
	v_pk_fma_f16 v62, v164, v156, v62 op_sel:[0,1,0]
	v_pk_fma_f16 v84, v164, v157, v84 op_sel:[0,1,0]
	s_waitcnt lgkmcnt(5)
	v_pk_fma_f16 v100, v65, v57, v100 op_sel_hi:[1,0,1]
	v_pk_fma_f16 v101, v65, v57, v101 op_sel:[0,1,0]
	v_pk_fma_f16 v77, v65, v58, v77 op_sel_hi:[1,0,1]
	v_pk_fma_f16 v78, v65, v58, v78 op_sel:[0,1,0]
	v_pk_fma_f16 v102, v66, v57, v102 op_sel_hi:[1,0,1]
	v_pk_fma_f16 v103, v66, v57, v103 op_sel:[0,1,0]
	v_pk_fma_f16 v104, v66, v58, v104 op_sel_hi:[1,0,1]
	v_pk_fma_f16 v79, v66, v58, v79 op_sel:[0,1,0]
	v_pk_fma_f16 v61, v67, v57, v61 op_sel_hi:[1,0,1]
	v_pk_fma_f16 v62, v67, v57, v62 op_sel:[0,1,0]
	v_pk_fma_f16 v105, v67, v58, v105 op_sel_hi:[1,0,1]
	v_pk_fma_f16 v84, v67, v58, v84 op_sel:[0,1,0]
	v_pk_fma_f16 v106, v68, v57, v106 op_sel_hi:[1,0,1]
	v_pk_fma_f16 v57, v68, v57, v107 op_sel:[0,1,0]
	v_pk_fma_f16 v107, v68, v58, v108 op_sel_hi:[1,0,1]
	v_pk_fma_f16 v58, v68, v58, v109 op_sel:[0,1,0]
	ds_load_2addr_b64 v[65:68], v88 offset1:32
	s_waitcnt lgkmcnt(2)
	v_pk_fma_f16 v85, v73, v59, v85 op_sel_hi:[1,0,1]
	v_pk_fma_f16 v86, v73, v59, v86 op_sel:[0,1,0]
	v_pk_fma_f16 v87, v73, v60, v87 op_sel_hi:[1,0,1]
	v_pk_fma_f16 v90, v73, v60, v90 op_sel:[0,1,0]
	;; [unrolled: 2-line block ×8, first 2 shown]
	s_waitcnt lgkmcnt(1)
	v_pk_fma_f16 v100, v53, v59, v100 op_sel_hi:[1,0,1]
	v_pk_fma_f16 v101, v53, v59, v101 op_sel:[0,1,0]
	v_pk_fma_f16 v77, v53, v60, v77 op_sel_hi:[1,0,1]
	v_pk_fma_f16 v78, v53, v60, v78 op_sel:[0,1,0]
	;; [unrolled: 2-line block ×7, first 2 shown]
	ds_load_2addr_b64 v[73:76], v88 offset0:64 offset1:96
	v_pk_fma_f16 v107, v56, v60, v107 op_sel_hi:[1,0,1]
	v_pk_fma_f16 v110, v56, v60, v58 op_sel:[0,1,0]
	ds_load_2addr_b64 v[53:56], v88 offset0:128 offset1:160
	s_waitcnt lgkmcnt(2)
	v_pk_fma_f16 v85, v65, v69, v85 op_sel_hi:[1,0,1]
	v_pk_fma_f16 v86, v65, v69, v86 op_sel:[0,1,0]
	v_pk_fma_f16 v87, v65, v70, v87 op_sel_hi:[1,0,1]
	v_pk_fma_f16 v65, v65, v70, v90 op_sel:[0,1,0]
	;; [unrolled: 2-line block ×8, first 2 shown]
	s_waitcnt lgkmcnt(1)
	v_pk_fma_f16 v99, v73, v69, v100 op_sel_hi:[1,0,1]
	v_pk_fma_f16 v100, v73, v69, v101 op_sel:[0,1,0]
	v_pk_fma_f16 v77, v73, v70, v77 op_sel_hi:[1,0,1]
	v_pk_fma_f16 v73, v73, v70, v78 op_sel:[0,1,0]
	;; [unrolled: 2-line block ×7, first 2 shown]
	ds_load_2addr_b64 v[57:60], v88 offset0:192 offset1:224
	v_pk_fma_f16 v103, v76, v70, v107 op_sel_hi:[1,0,1]
	v_pk_fma_f16 v70, v76, v70, v110 op_sel:[0,1,0]
	s_waitcnt lgkmcnt(1)
	v_pk_fma_f16 v76, v53, v71, v85 op_sel_hi:[1,0,1]
	v_pk_fma_f16 v85, v53, v71, v86 op_sel:[0,1,0]
	v_pk_fma_f16 v86, v53, v72, v87 op_sel_hi:[1,0,1]
	v_pk_fma_f16 v87, v53, v72, v65 op_sel:[0,1,0]
	v_pk_fma_f16 v104, v54, v72, v66 op_sel:[0,1,0]
	v_pk_fma_f16 v105, v55, v72, v67 op_sel:[0,1,0]
	ds_load_2addr_b64 v[65:68], v51 offset1:32
	v_pk_fma_f16 v90, v54, v71, v90 op_sel_hi:[1,0,1]
	v_pk_fma_f16 v63, v54, v71, v63 op_sel:[0,1,0]
	v_pk_fma_f16 v91, v54, v72, v91 op_sel_hi:[1,0,1]
	v_pk_fma_f16 v92, v55, v71, v92 op_sel_hi:[1,0,1]
	v_pk_fma_f16 v93, v55, v71, v93 op_sel:[0,1,0]
	v_pk_fma_f16 v94, v55, v72, v94 op_sel_hi:[1,0,1]
	;; [unrolled: 3-line block ×3, first 2 shown]
	v_pk_fma_f16 v98, v56, v72, v98 op_sel:[0,1,0]
	ds_load_2addr_b64 v[53:56], v51 offset0:64 offset1:96
	s_or_b32 s8, s3, 48
	s_waitcnt lgkmcnt(2)
	v_pk_fma_f16 v99, v57, v71, v99 op_sel_hi:[1,0,1]
	v_pk_fma_f16 v100, v57, v71, v100 op_sel:[0,1,0]
	v_pk_fma_f16 v77, v57, v72, v77 op_sel_hi:[1,0,1]
	v_pk_fma_f16 v73, v57, v72, v73 op_sel:[0,1,0]
	;; [unrolled: 2-line block ×8, first 2 shown]
	s_waitcnt lgkmcnt(1)
	v_pk_fma_f16 v72, v65, v8, v76 op_sel_hi:[1,0,1]
	v_pk_fma_f16 v76, v65, v8, v85 op_sel:[0,1,0]
	v_pk_fma_f16 v85, v65, v9, v86 op_sel_hi:[1,0,1]
	v_pk_fma_f16 v86, v65, v9, v87 op_sel:[0,1,0]
	;; [unrolled: 2-line block ×7, first 2 shown]
	ds_load_2addr_b64 v[57:60], v51 offset0:128 offset1:160
	v_pk_fma_f16 v97, v68, v9, v97 op_sel_hi:[1,0,1]
	v_pk_fma_f16 v98, v68, v9, v98 op_sel:[0,1,0]
	ds_load_2addr_b64 v[65:68], v51 offset0:192 offset1:224
	s_mul_hi_i32 s19, s8, s10
	s_mul_i32 s18, s8, s10
	s_waitcnt lgkmcnt(2)
	v_pk_fma_f16 v99, v53, v8, v99 op_sel_hi:[1,0,1]
	s_lshl_b64 s[18:19], s[18:19], 2
	v_pk_fma_f16 v100, v53, v8, v100 op_sel:[0,1,0]
	s_add_u32 s8, s11, s18
	v_pk_fma_f16 v77, v53, v9, v77 op_sel_hi:[1,0,1]
	v_pk_fma_f16 v53, v53, v9, v73 op_sel:[0,1,0]
	v_pk_fma_f16 v73, v54, v8, v78 op_sel_hi:[1,0,1]
	v_pk_fma_f16 v78, v54, v8, v101 op_sel:[0,1,0]
	;; [unrolled: 2-line block ×4, first 2 shown]
	s_addc_u32 s18, s17, s19
	v_add_co_u32 v8, vcc_lo, s8, v27
	v_pk_fma_f16 v182, v54, v9, v102 op_sel_hi:[1,0,1]
	v_pk_fma_f16 v183, v54, v9, v74 op_sel:[0,1,0]
	v_pk_fma_f16 v79, v55, v9, v79 op_sel_hi:[1,0,1]
	v_pk_fma_f16 v186, v55, v9, v75 op_sel:[0,1,0]
	;; [unrolled: 2-line block ×3, first 2 shown]
	v_add_co_ci_u32_e32 v9, vcc_lo, s18, v28, vcc_lo
	v_add_co_u32 v61, vcc_lo, s8, v29
	v_add_co_ci_u32_e32 v62, vcc_lo, s18, v30, vcc_lo
	v_add_co_u32 v8, vcc_lo, v8, v38
	s_delay_alu instid0(VALU_DEP_4) | instskip(NEXT) | instid1(VALU_DEP_4)
	v_add_co_ci_u32_e32 v9, vcc_lo, 0, v9, vcc_lo
	v_add_co_u32 v61, vcc_lo, v61, v38
	s_delay_alu instid0(VALU_DEP_4)
	v_add_co_ci_u32_e32 v62, vcc_lo, 0, v62, vcc_lo
	s_waitcnt lgkmcnt(1)
	v_pk_fma_f16 v191, v57, v10, v72 op_sel_hi:[1,0,1]
	v_pk_fma_f16 v192, v57, v10, v76 op_sel:[0,1,0]
	v_pk_fma_f16 v193, v57, v11, v85 op_sel_hi:[1,0,1]
	v_pk_fma_f16 v194, v57, v11, v86 op_sel:[0,1,0]
	;; [unrolled: 2-line block ×8, first 2 shown]
	s_waitcnt lgkmcnt(0)
	v_pk_fma_f16 v206, v65, v10, v99 op_sel_hi:[1,0,1]
	v_pk_fma_f16 v207, v65, v10, v100 op_sel:[0,1,0]
	v_pk_fma_f16 v77, v65, v11, v77 op_sel_hi:[1,0,1]
	v_pk_fma_f16 v65, v65, v11, v53 op_sel:[0,1,0]
	v_pk_fma_f16 v208, v66, v10, v73 op_sel_hi:[1,0,1]
	ds_load_2addr_b64 v[53:56], v52 offset1:32
	ds_load_2addr_b64 v[57:60], v52 offset0:64 offset1:96
	ds_load_2addr_b64 v[69:72], v52 offset0:128 offset1:160
	;; [unrolled: 1-line block ×3, first 2 shown]
	ds_load_2addr_b64 v[84:87], v50 offset1:32
	ds_load_2addr_b64 v[90:93], v50 offset0:64 offset1:96
	ds_load_2addr_b64 v[94:97], v50 offset0:128 offset1:160
	;; [unrolled: 1-line block ×3, first 2 shown]
	ds_load_2addr_b64 v[102:105], v49 offset1:32
	ds_load_2addr_b64 v[106:109], v49 offset0:64 offset1:96
	ds_load_b128 v[110:113], v40 offset:320
	ds_load_b128 v[114:117], v40 offset:336
	ds_load_2addr_b64 v[118:121], v49 offset0:128 offset1:160
	ds_load_2addr_b64 v[122:125], v49 offset0:192 offset1:224
	ds_load_2addr_b64 v[126:129], v48 offset1:32
	ds_load_2addr_b64 v[130:133], v48 offset0:64 offset1:96
	ds_load_2addr_b64 v[134:137], v48 offset0:128 offset1:160
	;; [unrolled: 1-line block ×3, first 2 shown]
	ds_load_2addr_b64 v[142:145], v47 offset1:32
	ds_load_2addr_b64 v[146:149], v47 offset0:64 offset1:96
	ds_load_b128 v[150:153], v40 offset:352
	ds_load_b128 v[154:157], v40 offset:368
	ds_load_2addr_b64 v[158:161], v47 offset0:128 offset1:160
	ds_load_2addr_b64 v[162:165], v47 offset0:192 offset1:224
	s_waitcnt lgkmcnt(0)
	s_barrier
	buffer_gl0_inv
	s_clause 0x3
	global_load_b128 v[166:169], v[8:9], off
	global_load_b128 v[170:173], v[8:9], off offset:512
	global_load_b128 v[174:177], v[61:62], off
	global_load_b128 v[178:181], v[61:62], off offset:512
	v_pk_fma_f16 v8, v66, v10, v78 op_sel:[0,1,0]
	v_pk_fma_f16 v9, v66, v11, v182 op_sel_hi:[1,0,1]
	v_pk_fma_f16 v61, v66, v11, v183 op_sel:[0,1,0]
	v_pk_fma_f16 v62, v67, v10, v184 op_sel_hi:[1,0,1]
	;; [unrolled: 2-line block ×24, first 2 shown]
	v_pk_fma_f16 v54, v70, v7, v54 op_sel:[0,1,0]
	v_pk_fma_f16 v55, v71, v7, v55 op_sel:[0,1,0]
	;; [unrolled: 1-line block ×4, first 2 shown]
	v_pk_fma_f16 v78, v70, v7, v186 op_sel_hi:[1,0,1]
	v_pk_fma_f16 v70, v71, v6, v187 op_sel_hi:[1,0,1]
	v_pk_fma_f16 v79, v71, v6, v188 op_sel:[0,1,0]
	v_pk_fma_f16 v182, v71, v7, v189 op_sel_hi:[1,0,1]
	v_pk_fma_f16 v71, v72, v6, v190 op_sel_hi:[1,0,1]
	v_pk_fma_f16 v183, v72, v6, v191 op_sel:[0,1,0]
	;; [unrolled: 3-line block ×3, first 2 shown]
	v_pk_fma_f16 v57, v73, v7, v57 op_sel:[0,1,0]
	v_pk_fma_f16 v65, v74, v6, v65 op_sel_hi:[1,0,1]
	v_pk_fma_f16 v8, v74, v6, v8 op_sel:[0,1,0]
	v_pk_fma_f16 v58, v74, v7, v58 op_sel:[0,1,0]
	v_pk_fma_f16 v61, v75, v6, v61 op_sel_hi:[1,0,1]
	v_pk_fma_f16 v62, v75, v6, v62 op_sel:[0,1,0]
	;; [unrolled: 3-line block ×3, first 2 shown]
	v_pk_fma_f16 v6, v76, v7, v10 op_sel_hi:[1,0,1]
	v_pk_fma_f16 v10, v84, v110, v60 op_sel:[0,1,0]
	v_pk_fma_f16 v53, v84, v111, v53 op_sel:[0,1,0]
	v_pk_fma_f16 v60, v85, v110, v69 op_sel_hi:[1,0,1]
	v_pk_fma_f16 v54, v85, v111, v54 op_sel:[0,1,0]
	v_pk_fma_f16 v55, v86, v111, v55 op_sel:[0,1,0]
	v_pk_fma_f16 v56, v87, v111, v56 op_sel:[0,1,0]
	v_pk_fma_f16 v57, v90, v111, v57 op_sel:[0,1,0]
	v_pk_fma_f16 v58, v91, v111, v58 op_sel:[0,1,0]
	v_pk_fma_f16 v59, v92, v111, v59 op_sel:[0,1,0]
	v_pk_fma_f16 v53, v94, v113, v53 op_sel:[0,1,0]
	v_pk_fma_f16 v60, v95, v112, v60 op_sel_hi:[1,0,1]
	v_pk_fma_f16 v54, v95, v113, v54 op_sel:[0,1,0]
	v_pk_fma_f16 v55, v96, v113, v55 op_sel:[0,1,0]
	;; [unrolled: 1-line block ×7, first 2 shown]
	v_pk_fma_f16 v60, v103, v114, v60 op_sel_hi:[1,0,1]
	v_pk_fma_f16 v54, v103, v115, v54 op_sel:[0,1,0]
	v_pk_fma_f16 v55, v104, v115, v55 op_sel:[0,1,0]
	;; [unrolled: 1-line block ×3, first 2 shown]
	v_pk_fma_f16 v9, v74, v7, v9 op_sel_hi:[1,0,1]
	v_pk_fma_f16 v66, v75, v7, v66 op_sel_hi:[1,0,1]
	v_pk_fma_f16 v5, v76, v7, v5 op_sel:[0,1,0]
	v_pk_fma_f16 v77, v73, v7, v77 op_sel_hi:[1,0,1]
	v_pk_fma_f16 v7, v84, v110, v11 op_sel_hi:[1,0,1]
	;; [unrolled: 1-line block ×3, first 2 shown]
	v_pk_fma_f16 v63, v85, v110, v63 op_sel:[0,1,0]
	v_pk_fma_f16 v68, v85, v111, v78 op_sel_hi:[1,0,1]
	v_pk_fma_f16 v69, v86, v110, v70 op_sel_hi:[1,0,1]
	v_pk_fma_f16 v70, v86, v110, v79 op_sel:[0,1,0]
	v_pk_fma_f16 v73, v86, v111, v182 op_sel_hi:[1,0,1]
	v_pk_fma_f16 v71, v87, v110, v71 op_sel_hi:[1,0,1]
	v_pk_fma_f16 v74, v87, v110, v183 op_sel:[0,1,0]
	v_pk_fma_f16 v75, v87, v111, v184 op_sel_hi:[1,0,1]
	v_pk_fma_f16 v57, v106, v115, v57 op_sel:[0,1,0]
	v_pk_fma_f16 v58, v107, v115, v58 op_sel:[0,1,0]
	;; [unrolled: 1-line block ×4, first 2 shown]
	v_pk_fma_f16 v60, v119, v116, v60 op_sel_hi:[1,0,1]
	v_pk_fma_f16 v54, v119, v117, v54 op_sel:[0,1,0]
	v_pk_fma_f16 v55, v120, v117, v55 op_sel:[0,1,0]
	v_pk_fma_f16 v56, v121, v117, v56 op_sel:[0,1,0]
	v_pk_fma_f16 v72, v90, v110, v72 op_sel_hi:[1,0,1]
	v_pk_fma_f16 v65, v91, v110, v65 op_sel_hi:[1,0,1]
	v_pk_fma_f16 v8, v91, v110, v8 op_sel:[0,1,0]
	v_pk_fma_f16 v9, v91, v111, v9 op_sel_hi:[1,0,1]
	v_pk_fma_f16 v66, v92, v111, v66 op_sel_hi:[1,0,1]
	;; [unrolled: 1-line block ×3, first 2 shown]
	v_pk_fma_f16 v4, v93, v110, v4 op_sel:[0,1,0]
	v_pk_fma_f16 v6, v93, v111, v6 op_sel_hi:[1,0,1]
	v_pk_fma_f16 v5, v93, v111, v5 op_sel:[0,1,0]
	v_pk_fma_f16 v76, v90, v110, v185 op_sel:[0,1,0]
	v_pk_fma_f16 v7, v94, v112, v7 op_sel_hi:[1,0,1]
	v_pk_fma_f16 v10, v94, v112, v10 op_sel:[0,1,0]
	v_pk_fma_f16 v11, v94, v113, v11 op_sel_hi:[1,0,1]
	;; [unrolled: 2-line block ×3, first 2 shown]
	v_pk_fma_f16 v69, v96, v112, v69 op_sel_hi:[1,0,1]
	v_pk_fma_f16 v70, v96, v112, v70 op_sel:[0,1,0]
	v_pk_fma_f16 v73, v96, v113, v73 op_sel_hi:[1,0,1]
	v_pk_fma_f16 v71, v97, v112, v71 op_sel_hi:[1,0,1]
	v_pk_fma_f16 v74, v97, v112, v74 op_sel:[0,1,0]
	v_pk_fma_f16 v75, v97, v113, v75 op_sel_hi:[1,0,1]
	v_pk_fma_f16 v57, v122, v117, v57 op_sel:[0,1,0]
	v_pk_fma_f16 v58, v123, v117, v58 op_sel:[0,1,0]
	;; [unrolled: 1-line block ×4, first 2 shown]
	v_pk_fma_f16 v60, v127, v150, v60 op_sel_hi:[1,0,1]
	v_pk_fma_f16 v54, v127, v151, v54 op_sel:[0,1,0]
	v_pk_fma_f16 v55, v128, v151, v55 op_sel:[0,1,0]
	v_pk_fma_f16 v56, v129, v151, v56 op_sel:[0,1,0]
	v_pk_fma_f16 v72, v98, v112, v72 op_sel_hi:[1,0,1]
	v_pk_fma_f16 v65, v99, v112, v65 op_sel_hi:[1,0,1]
	v_pk_fma_f16 v8, v99, v112, v8 op_sel:[0,1,0]
	v_pk_fma_f16 v9, v99, v113, v9 op_sel_hi:[1,0,1]
	v_pk_fma_f16 v66, v100, v113, v66 op_sel_hi:[1,0,1]
	v_pk_fma_f16 v67, v101, v112, v67 op_sel_hi:[1,0,1]
	v_pk_fma_f16 v4, v101, v112, v4 op_sel:[0,1,0]
	v_pk_fma_f16 v6, v101, v113, v6 op_sel_hi:[1,0,1]
	v_pk_fma_f16 v5, v101, v113, v5 op_sel:[0,1,0]
	v_pk_fma_f16 v76, v98, v112, v76 op_sel:[0,1,0]
	v_pk_fma_f16 v7, v102, v114, v7 op_sel_hi:[1,0,1]
	v_pk_fma_f16 v10, v102, v114, v10 op_sel:[0,1,0]
	v_pk_fma_f16 v11, v102, v115, v11 op_sel_hi:[1,0,1]
	;; [unrolled: 2-line block ×3, first 2 shown]
	v_pk_fma_f16 v69, v104, v114, v69 op_sel_hi:[1,0,1]
	v_pk_fma_f16 v70, v104, v114, v70 op_sel:[0,1,0]
	v_pk_fma_f16 v73, v104, v115, v73 op_sel_hi:[1,0,1]
	v_pk_fma_f16 v71, v105, v114, v71 op_sel_hi:[1,0,1]
	v_pk_fma_f16 v74, v105, v114, v74 op_sel:[0,1,0]
	v_pk_fma_f16 v75, v105, v115, v75 op_sel_hi:[1,0,1]
	v_pk_fma_f16 v57, v130, v151, v57 op_sel:[0,1,0]
	v_pk_fma_f16 v58, v131, v151, v58 op_sel:[0,1,0]
	;; [unrolled: 1-line block ×4, first 2 shown]
	v_pk_fma_f16 v60, v135, v152, v60 op_sel_hi:[1,0,1]
	v_pk_fma_f16 v54, v135, v153, v54 op_sel:[0,1,0]
	v_pk_fma_f16 v55, v136, v153, v55 op_sel:[0,1,0]
	;; [unrolled: 1-line block ×3, first 2 shown]
	v_pk_fma_f16 v72, v106, v114, v72 op_sel_hi:[1,0,1]
	v_pk_fma_f16 v65, v107, v114, v65 op_sel_hi:[1,0,1]
	v_pk_fma_f16 v8, v107, v114, v8 op_sel:[0,1,0]
	v_pk_fma_f16 v9, v107, v115, v9 op_sel_hi:[1,0,1]
	v_pk_fma_f16 v66, v108, v115, v66 op_sel_hi:[1,0,1]
	;; [unrolled: 1-line block ×3, first 2 shown]
	v_pk_fma_f16 v4, v109, v114, v4 op_sel:[0,1,0]
	v_pk_fma_f16 v6, v109, v115, v6 op_sel_hi:[1,0,1]
	v_pk_fma_f16 v5, v109, v115, v5 op_sel:[0,1,0]
	v_pk_fma_f16 v77, v90, v111, v77 op_sel_hi:[1,0,1]
	v_pk_fma_f16 v61, v92, v110, v61 op_sel_hi:[1,0,1]
	v_pk_fma_f16 v62, v92, v110, v62 op_sel:[0,1,0]
	v_pk_fma_f16 v76, v106, v114, v76 op_sel:[0,1,0]
	v_pk_fma_f16 v7, v118, v116, v7 op_sel_hi:[1,0,1]
	v_pk_fma_f16 v10, v118, v116, v10 op_sel:[0,1,0]
	v_pk_fma_f16 v11, v118, v117, v11 op_sel_hi:[1,0,1]
	;; [unrolled: 2-line block ×3, first 2 shown]
	v_pk_fma_f16 v69, v120, v116, v69 op_sel_hi:[1,0,1]
	v_pk_fma_f16 v70, v120, v116, v70 op_sel:[0,1,0]
	v_pk_fma_f16 v73, v120, v117, v73 op_sel_hi:[1,0,1]
	v_pk_fma_f16 v71, v121, v116, v71 op_sel_hi:[1,0,1]
	v_pk_fma_f16 v74, v121, v116, v74 op_sel:[0,1,0]
	v_pk_fma_f16 v75, v121, v117, v75 op_sel_hi:[1,0,1]
	v_pk_fma_f16 v57, v138, v153, v57 op_sel:[0,1,0]
	v_pk_fma_f16 v58, v139, v153, v58 op_sel:[0,1,0]
	;; [unrolled: 1-line block ×4, first 2 shown]
	v_pk_fma_f16 v60, v143, v154, v60 op_sel_hi:[1,0,1]
	v_pk_fma_f16 v54, v143, v155, v54 op_sel:[0,1,0]
	v_pk_fma_f16 v55, v144, v155, v55 op_sel:[0,1,0]
	;; [unrolled: 1-line block ×3, first 2 shown]
	v_pk_fma_f16 v72, v122, v116, v72 op_sel_hi:[1,0,1]
	v_pk_fma_f16 v65, v123, v116, v65 op_sel_hi:[1,0,1]
	v_pk_fma_f16 v8, v123, v116, v8 op_sel:[0,1,0]
	v_pk_fma_f16 v9, v123, v117, v9 op_sel_hi:[1,0,1]
	v_pk_fma_f16 v66, v124, v117, v66 op_sel_hi:[1,0,1]
	;; [unrolled: 1-line block ×3, first 2 shown]
	v_pk_fma_f16 v4, v125, v116, v4 op_sel:[0,1,0]
	v_pk_fma_f16 v6, v125, v117, v6 op_sel_hi:[1,0,1]
	v_pk_fma_f16 v5, v125, v117, v5 op_sel:[0,1,0]
	v_pk_fma_f16 v77, v98, v113, v77 op_sel_hi:[1,0,1]
	v_pk_fma_f16 v61, v100, v112, v61 op_sel_hi:[1,0,1]
	v_pk_fma_f16 v62, v100, v112, v62 op_sel:[0,1,0]
	v_pk_fma_f16 v76, v122, v116, v76 op_sel:[0,1,0]
	v_pk_fma_f16 v7, v126, v150, v7 op_sel_hi:[1,0,1]
	v_pk_fma_f16 v10, v126, v150, v10 op_sel:[0,1,0]
	v_pk_fma_f16 v11, v126, v151, v11 op_sel_hi:[1,0,1]
	;; [unrolled: 2-line block ×3, first 2 shown]
	v_pk_fma_f16 v69, v128, v150, v69 op_sel_hi:[1,0,1]
	v_pk_fma_f16 v70, v128, v150, v70 op_sel:[0,1,0]
	v_pk_fma_f16 v73, v128, v151, v73 op_sel_hi:[1,0,1]
	v_pk_fma_f16 v71, v129, v150, v71 op_sel_hi:[1,0,1]
	v_pk_fma_f16 v74, v129, v150, v74 op_sel:[0,1,0]
	v_pk_fma_f16 v75, v129, v151, v75 op_sel_hi:[1,0,1]
	v_pk_fma_f16 v78, v146, v155, v57 op_sel:[0,1,0]
	v_pk_fma_f16 v79, v147, v155, v58 op_sel:[0,1,0]
	;; [unrolled: 1-line block ×4, first 2 shown]
	v_pk_fma_f16 v91, v159, v156, v60 op_sel_hi:[1,0,1]
	v_pk_fma_f16 v93, v159, v157, v54 op_sel:[0,1,0]
	v_pk_fma_f16 v96, v160, v157, v55 op_sel:[0,1,0]
	;; [unrolled: 1-line block ×3, first 2 shown]
	s_waitcnt vmcnt(3)
	ds_store_b128 v42, v[166:169]
	s_waitcnt vmcnt(2)
	ds_store_b128 v43, v[170:173]
	;; [unrolled: 2-line block ×4, first 2 shown]
	s_waitcnt lgkmcnt(0)
	s_barrier
	buffer_gl0_inv
	ds_load_2addr_b64 v[53:56], v89 offset1:32
	ds_load_b128 v[57:60], v40 offset:384
	v_pk_fma_f16 v72, v130, v150, v72 op_sel_hi:[1,0,1]
	v_pk_fma_f16 v65, v131, v150, v65 op_sel_hi:[1,0,1]
	v_pk_fma_f16 v8, v131, v150, v8 op_sel:[0,1,0]
	v_pk_fma_f16 v9, v131, v151, v9 op_sel_hi:[1,0,1]
	v_pk_fma_f16 v66, v132, v151, v66 op_sel_hi:[1,0,1]
	v_pk_fma_f16 v67, v133, v150, v67 op_sel_hi:[1,0,1]
	v_pk_fma_f16 v4, v133, v150, v4 op_sel:[0,1,0]
	v_pk_fma_f16 v6, v133, v151, v6 op_sel_hi:[1,0,1]
	v_pk_fma_f16 v5, v133, v151, v5 op_sel:[0,1,0]
	v_pk_fma_f16 v77, v106, v115, v77 op_sel_hi:[1,0,1]
	v_pk_fma_f16 v61, v108, v114, v61 op_sel_hi:[1,0,1]
	v_pk_fma_f16 v62, v108, v114, v62 op_sel:[0,1,0]
	v_pk_fma_f16 v76, v130, v150, v76 op_sel:[0,1,0]
	v_pk_fma_f16 v7, v134, v152, v7 op_sel_hi:[1,0,1]
	v_pk_fma_f16 v10, v134, v152, v10 op_sel:[0,1,0]
	v_pk_fma_f16 v11, v134, v153, v11 op_sel_hi:[1,0,1]
	v_pk_fma_f16 v63, v135, v152, v63 op_sel:[0,1,0]
	v_pk_fma_f16 v68, v135, v153, v68 op_sel_hi:[1,0,1]
	v_pk_fma_f16 v69, v136, v152, v69 op_sel_hi:[1,0,1]
	v_pk_fma_f16 v70, v136, v152, v70 op_sel:[0,1,0]
	v_pk_fma_f16 v73, v136, v153, v73 op_sel_hi:[1,0,1]
	v_pk_fma_f16 v71, v137, v152, v71 op_sel_hi:[1,0,1]
	v_pk_fma_f16 v74, v137, v152, v74 op_sel:[0,1,0]
	v_pk_fma_f16 v75, v137, v153, v75 op_sel_hi:[1,0,1]
	v_pk_fma_f16 v72, v138, v152, v72 op_sel_hi:[1,0,1]
	v_pk_fma_f16 v65, v139, v152, v65 op_sel_hi:[1,0,1]
	v_pk_fma_f16 v8, v139, v152, v8 op_sel:[0,1,0]
	v_pk_fma_f16 v9, v139, v153, v9 op_sel_hi:[1,0,1]
	v_pk_fma_f16 v66, v140, v153, v66 op_sel_hi:[1,0,1]
	v_pk_fma_f16 v67, v141, v152, v67 op_sel_hi:[1,0,1]
	v_pk_fma_f16 v4, v141, v152, v4 op_sel:[0,1,0]
	v_pk_fma_f16 v6, v141, v153, v6 op_sel_hi:[1,0,1]
	v_pk_fma_f16 v5, v141, v153, v5 op_sel:[0,1,0]
	v_pk_fma_f16 v77, v122, v117, v77 op_sel_hi:[1,0,1]
	v_pk_fma_f16 v61, v124, v116, v61 op_sel_hi:[1,0,1]
	v_pk_fma_f16 v62, v124, v116, v62 op_sel:[0,1,0]
	v_pk_fma_f16 v76, v138, v152, v76 op_sel:[0,1,0]
	v_pk_fma_f16 v7, v142, v154, v7 op_sel_hi:[1,0,1]
	v_pk_fma_f16 v10, v142, v154, v10 op_sel:[0,1,0]
	v_pk_fma_f16 v11, v142, v155, v11 op_sel_hi:[1,0,1]
	v_pk_fma_f16 v63, v143, v154, v63 op_sel:[0,1,0]
	v_pk_fma_f16 v68, v143, v155, v68 op_sel_hi:[1,0,1]
	v_pk_fma_f16 v69, v144, v154, v69 op_sel_hi:[1,0,1]
	v_pk_fma_f16 v70, v144, v154, v70 op_sel:[0,1,0]
	v_pk_fma_f16 v73, v144, v155, v73 op_sel_hi:[1,0,1]
	v_pk_fma_f16 v71, v145, v154, v71 op_sel_hi:[1,0,1]
	v_pk_fma_f16 v74, v145, v154, v74 op_sel:[0,1,0]
	v_pk_fma_f16 v75, v145, v155, v75 op_sel_hi:[1,0,1]
	;; [unrolled: 24-line block ×3, first 2 shown]
	v_pk_fma_f16 v100, v162, v156, v72 op_sel_hi:[1,0,1]
	v_pk_fma_f16 v102, v163, v156, v65 op_sel_hi:[1,0,1]
	v_pk_fma_f16 v103, v163, v156, v8 op_sel:[0,1,0]
	v_pk_fma_f16 v104, v163, v157, v9 op_sel_hi:[1,0,1]
	v_pk_fma_f16 v105, v164, v157, v66 op_sel_hi:[1,0,1]
	v_pk_fma_f16 v106, v165, v156, v67 op_sel_hi:[1,0,1]
	v_pk_fma_f16 v107, v165, v156, v4 op_sel:[0,1,0]
	v_pk_fma_f16 v108, v165, v157, v6 op_sel_hi:[1,0,1]
	v_pk_fma_f16 v109, v165, v157, v5 op_sel:[0,1,0]
	ds_load_2addr_b64 v[65:68], v89 offset0:64 offset1:96
	ds_load_b128 v[69:72], v40 offset:400
	ds_load_b128 v[8:11], v40 offset:416
	;; [unrolled: 1-line block ×3, first 2 shown]
	v_pk_fma_f16 v77, v138, v153, v77 op_sel_hi:[1,0,1]
	v_pk_fma_f16 v61, v140, v152, v61 op_sel_hi:[1,0,1]
	v_pk_fma_f16 v62, v140, v152, v62 op_sel:[0,1,0]
	v_pk_fma_f16 v101, v162, v156, v76 op_sel:[0,1,0]
	s_waitcnt lgkmcnt(4)
	v_pk_fma_f16 v85, v53, v57, v85 op_sel_hi:[1,0,1]
	v_pk_fma_f16 v86, v53, v57, v86 op_sel:[0,1,0]
	v_pk_fma_f16 v87, v53, v58, v87 op_sel_hi:[1,0,1]
	v_pk_fma_f16 v90, v53, v58, v90 op_sel:[0,1,0]
	;; [unrolled: 2-line block ×7, first 2 shown]
	ds_load_2addr_b64 v[73:76], v89 offset0:128 offset1:160
	v_pk_fma_f16 v98, v56, v58, v98 op_sel_hi:[1,0,1]
	v_pk_fma_f16 v99, v56, v58, v99 op_sel:[0,1,0]
	ds_load_2addr_b64 v[53:56], v89 offset0:192 offset1:224
	v_pk_fma_f16 v77, v146, v155, v77 op_sel_hi:[1,0,1]
	v_pk_fma_f16 v61, v148, v154, v61 op_sel_hi:[1,0,1]
	v_pk_fma_f16 v62, v148, v154, v62 op_sel:[0,1,0]
	v_pk_fma_f16 v78, v162, v157, v78 op_sel:[0,1,0]
	;; [unrolled: 1-line block ×3, first 2 shown]
	v_pk_fma_f16 v77, v162, v157, v77 op_sel_hi:[1,0,1]
	v_pk_fma_f16 v61, v164, v156, v61 op_sel_hi:[1,0,1]
	v_pk_fma_f16 v62, v164, v156, v62 op_sel:[0,1,0]
	v_pk_fma_f16 v84, v164, v157, v84 op_sel:[0,1,0]
	s_waitcnt lgkmcnt(5)
	v_pk_fma_f16 v100, v65, v57, v100 op_sel_hi:[1,0,1]
	v_pk_fma_f16 v101, v65, v57, v101 op_sel:[0,1,0]
	v_pk_fma_f16 v77, v65, v58, v77 op_sel_hi:[1,0,1]
	v_pk_fma_f16 v78, v65, v58, v78 op_sel:[0,1,0]
	;; [unrolled: 2-line block ×8, first 2 shown]
	ds_load_2addr_b64 v[65:68], v88 offset1:32
	s_waitcnt lgkmcnt(2)
	v_pk_fma_f16 v85, v73, v59, v85 op_sel_hi:[1,0,1]
	v_pk_fma_f16 v86, v73, v59, v86 op_sel:[0,1,0]
	v_pk_fma_f16 v87, v73, v60, v87 op_sel_hi:[1,0,1]
	v_pk_fma_f16 v90, v73, v60, v90 op_sel:[0,1,0]
	;; [unrolled: 2-line block ×8, first 2 shown]
	s_waitcnt lgkmcnt(1)
	v_pk_fma_f16 v100, v53, v59, v100 op_sel_hi:[1,0,1]
	v_pk_fma_f16 v101, v53, v59, v101 op_sel:[0,1,0]
	v_pk_fma_f16 v77, v53, v60, v77 op_sel_hi:[1,0,1]
	v_pk_fma_f16 v78, v53, v60, v78 op_sel:[0,1,0]
	;; [unrolled: 2-line block ×7, first 2 shown]
	ds_load_2addr_b64 v[73:76], v88 offset0:64 offset1:96
	v_pk_fma_f16 v107, v56, v60, v107 op_sel_hi:[1,0,1]
	v_pk_fma_f16 v110, v56, v60, v58 op_sel:[0,1,0]
	ds_load_2addr_b64 v[53:56], v88 offset0:128 offset1:160
	s_waitcnt lgkmcnt(2)
	v_pk_fma_f16 v85, v65, v69, v85 op_sel_hi:[1,0,1]
	v_pk_fma_f16 v86, v65, v69, v86 op_sel:[0,1,0]
	v_pk_fma_f16 v87, v65, v70, v87 op_sel_hi:[1,0,1]
	v_pk_fma_f16 v65, v65, v70, v90 op_sel:[0,1,0]
	;; [unrolled: 2-line block ×8, first 2 shown]
	s_waitcnt lgkmcnt(1)
	v_pk_fma_f16 v99, v73, v69, v100 op_sel_hi:[1,0,1]
	v_pk_fma_f16 v100, v73, v69, v101 op_sel:[0,1,0]
	v_pk_fma_f16 v77, v73, v70, v77 op_sel_hi:[1,0,1]
	v_pk_fma_f16 v73, v73, v70, v78 op_sel:[0,1,0]
	;; [unrolled: 2-line block ×7, first 2 shown]
	ds_load_2addr_b64 v[57:60], v88 offset0:192 offset1:224
	v_pk_fma_f16 v103, v76, v70, v107 op_sel_hi:[1,0,1]
	v_pk_fma_f16 v70, v76, v70, v110 op_sel:[0,1,0]
	s_waitcnt lgkmcnt(1)
	v_pk_fma_f16 v76, v53, v71, v85 op_sel_hi:[1,0,1]
	v_pk_fma_f16 v85, v53, v71, v86 op_sel:[0,1,0]
	v_pk_fma_f16 v86, v53, v72, v87 op_sel_hi:[1,0,1]
	v_pk_fma_f16 v87, v53, v72, v65 op_sel:[0,1,0]
	v_pk_fma_f16 v104, v54, v72, v66 op_sel:[0,1,0]
	;; [unrolled: 1-line block ×3, first 2 shown]
	ds_load_2addr_b64 v[65:68], v51 offset1:32
	v_pk_fma_f16 v90, v54, v71, v90 op_sel_hi:[1,0,1]
	v_pk_fma_f16 v63, v54, v71, v63 op_sel:[0,1,0]
	v_pk_fma_f16 v91, v54, v72, v91 op_sel_hi:[1,0,1]
	v_pk_fma_f16 v92, v55, v71, v92 op_sel_hi:[1,0,1]
	v_pk_fma_f16 v93, v55, v71, v93 op_sel:[0,1,0]
	v_pk_fma_f16 v94, v55, v72, v94 op_sel_hi:[1,0,1]
	;; [unrolled: 3-line block ×3, first 2 shown]
	v_pk_fma_f16 v98, v56, v72, v98 op_sel:[0,1,0]
	ds_load_2addr_b64 v[53:56], v51 offset0:64 offset1:96
	s_or_b32 s8, s3, 64
	s_waitcnt lgkmcnt(2)
	v_pk_fma_f16 v99, v57, v71, v99 op_sel_hi:[1,0,1]
	v_pk_fma_f16 v100, v57, v71, v100 op_sel:[0,1,0]
	v_pk_fma_f16 v77, v57, v72, v77 op_sel_hi:[1,0,1]
	v_pk_fma_f16 v73, v57, v72, v73 op_sel:[0,1,0]
	;; [unrolled: 2-line block ×8, first 2 shown]
	s_waitcnt lgkmcnt(1)
	v_pk_fma_f16 v72, v65, v8, v76 op_sel_hi:[1,0,1]
	v_pk_fma_f16 v76, v65, v8, v85 op_sel:[0,1,0]
	v_pk_fma_f16 v85, v65, v9, v86 op_sel_hi:[1,0,1]
	v_pk_fma_f16 v86, v65, v9, v87 op_sel:[0,1,0]
	;; [unrolled: 2-line block ×7, first 2 shown]
	ds_load_2addr_b64 v[57:60], v51 offset0:128 offset1:160
	v_pk_fma_f16 v97, v68, v9, v97 op_sel_hi:[1,0,1]
	v_pk_fma_f16 v98, v68, v9, v98 op_sel:[0,1,0]
	ds_load_2addr_b64 v[65:68], v51 offset0:192 offset1:224
	s_mul_hi_i32 s19, s8, s10
	s_mul_i32 s18, s8, s10
	s_waitcnt lgkmcnt(2)
	v_pk_fma_f16 v99, v53, v8, v99 op_sel_hi:[1,0,1]
	s_lshl_b64 s[18:19], s[18:19], 2
	v_pk_fma_f16 v100, v53, v8, v100 op_sel:[0,1,0]
	s_add_u32 s8, s11, s18
	v_pk_fma_f16 v77, v53, v9, v77 op_sel_hi:[1,0,1]
	v_pk_fma_f16 v53, v53, v9, v73 op_sel:[0,1,0]
	v_pk_fma_f16 v73, v54, v8, v78 op_sel_hi:[1,0,1]
	v_pk_fma_f16 v78, v54, v8, v101 op_sel:[0,1,0]
	;; [unrolled: 2-line block ×4, first 2 shown]
	s_addc_u32 s18, s17, s19
	v_add_co_u32 v8, vcc_lo, s8, v27
	v_pk_fma_f16 v182, v54, v9, v102 op_sel_hi:[1,0,1]
	v_pk_fma_f16 v183, v54, v9, v74 op_sel:[0,1,0]
	v_pk_fma_f16 v79, v55, v9, v79 op_sel_hi:[1,0,1]
	v_pk_fma_f16 v186, v55, v9, v75 op_sel:[0,1,0]
	;; [unrolled: 2-line block ×3, first 2 shown]
	v_add_co_ci_u32_e32 v9, vcc_lo, s18, v28, vcc_lo
	v_add_co_u32 v61, vcc_lo, s8, v29
	v_add_co_ci_u32_e32 v62, vcc_lo, s18, v30, vcc_lo
	v_add_co_u32 v8, vcc_lo, v8, v38
	s_delay_alu instid0(VALU_DEP_4) | instskip(NEXT) | instid1(VALU_DEP_4)
	v_add_co_ci_u32_e32 v9, vcc_lo, 0, v9, vcc_lo
	v_add_co_u32 v61, vcc_lo, v61, v38
	s_delay_alu instid0(VALU_DEP_4)
	v_add_co_ci_u32_e32 v62, vcc_lo, 0, v62, vcc_lo
	s_waitcnt lgkmcnt(1)
	v_pk_fma_f16 v191, v57, v10, v72 op_sel_hi:[1,0,1]
	v_pk_fma_f16 v192, v57, v10, v76 op_sel:[0,1,0]
	v_pk_fma_f16 v193, v57, v11, v85 op_sel_hi:[1,0,1]
	v_pk_fma_f16 v194, v57, v11, v86 op_sel:[0,1,0]
	;; [unrolled: 2-line block ×8, first 2 shown]
	s_waitcnt lgkmcnt(0)
	v_pk_fma_f16 v206, v65, v10, v99 op_sel_hi:[1,0,1]
	v_pk_fma_f16 v207, v65, v10, v100 op_sel:[0,1,0]
	v_pk_fma_f16 v77, v65, v11, v77 op_sel_hi:[1,0,1]
	v_pk_fma_f16 v65, v65, v11, v53 op_sel:[0,1,0]
	v_pk_fma_f16 v208, v66, v10, v73 op_sel_hi:[1,0,1]
	ds_load_2addr_b64 v[53:56], v52 offset1:32
	ds_load_2addr_b64 v[57:60], v52 offset0:64 offset1:96
	ds_load_2addr_b64 v[69:72], v52 offset0:128 offset1:160
	;; [unrolled: 1-line block ×3, first 2 shown]
	ds_load_2addr_b64 v[84:87], v50 offset1:32
	ds_load_2addr_b64 v[90:93], v50 offset0:64 offset1:96
	ds_load_2addr_b64 v[94:97], v50 offset0:128 offset1:160
	;; [unrolled: 1-line block ×3, first 2 shown]
	ds_load_2addr_b64 v[102:105], v49 offset1:32
	ds_load_2addr_b64 v[106:109], v49 offset0:64 offset1:96
	ds_load_b128 v[110:113], v40 offset:448
	ds_load_b128 v[114:117], v40 offset:464
	ds_load_2addr_b64 v[118:121], v49 offset0:128 offset1:160
	ds_load_2addr_b64 v[122:125], v49 offset0:192 offset1:224
	ds_load_2addr_b64 v[126:129], v48 offset1:32
	ds_load_2addr_b64 v[130:133], v48 offset0:64 offset1:96
	ds_load_2addr_b64 v[134:137], v48 offset0:128 offset1:160
	;; [unrolled: 1-line block ×3, first 2 shown]
	ds_load_2addr_b64 v[142:145], v47 offset1:32
	ds_load_2addr_b64 v[146:149], v47 offset0:64 offset1:96
	ds_load_b128 v[150:153], v40 offset:480
	ds_load_b128 v[154:157], v40 offset:496
	ds_load_2addr_b64 v[158:161], v47 offset0:128 offset1:160
	ds_load_2addr_b64 v[162:165], v47 offset0:192 offset1:224
	s_waitcnt lgkmcnt(0)
	s_barrier
	buffer_gl0_inv
	s_clause 0x3
	global_load_b128 v[166:169], v[8:9], off
	global_load_b128 v[170:173], v[8:9], off offset:512
	global_load_b128 v[174:177], v[61:62], off
	global_load_b128 v[178:181], v[61:62], off offset:512
	v_pk_fma_f16 v8, v66, v10, v78 op_sel:[0,1,0]
	v_pk_fma_f16 v9, v66, v11, v182 op_sel_hi:[1,0,1]
	v_pk_fma_f16 v61, v66, v11, v183 op_sel:[0,1,0]
	v_pk_fma_f16 v62, v67, v10, v184 op_sel_hi:[1,0,1]
	;; [unrolled: 2-line block ×24, first 2 shown]
	v_pk_fma_f16 v54, v70, v7, v54 op_sel:[0,1,0]
	v_pk_fma_f16 v55, v71, v7, v55 op_sel:[0,1,0]
	;; [unrolled: 1-line block ×4, first 2 shown]
	v_pk_fma_f16 v78, v70, v7, v186 op_sel_hi:[1,0,1]
	v_pk_fma_f16 v70, v71, v6, v187 op_sel_hi:[1,0,1]
	v_pk_fma_f16 v79, v71, v6, v188 op_sel:[0,1,0]
	v_pk_fma_f16 v182, v71, v7, v189 op_sel_hi:[1,0,1]
	v_pk_fma_f16 v71, v72, v6, v190 op_sel_hi:[1,0,1]
	v_pk_fma_f16 v183, v72, v6, v191 op_sel:[0,1,0]
	;; [unrolled: 3-line block ×3, first 2 shown]
	v_pk_fma_f16 v57, v73, v7, v57 op_sel:[0,1,0]
	v_pk_fma_f16 v65, v74, v6, v65 op_sel_hi:[1,0,1]
	v_pk_fma_f16 v8, v74, v6, v8 op_sel:[0,1,0]
	v_pk_fma_f16 v58, v74, v7, v58 op_sel:[0,1,0]
	v_pk_fma_f16 v61, v75, v6, v61 op_sel_hi:[1,0,1]
	v_pk_fma_f16 v62, v75, v6, v62 op_sel:[0,1,0]
	;; [unrolled: 3-line block ×3, first 2 shown]
	v_pk_fma_f16 v6, v76, v7, v10 op_sel_hi:[1,0,1]
	v_pk_fma_f16 v10, v84, v110, v60 op_sel:[0,1,0]
	v_pk_fma_f16 v53, v84, v111, v53 op_sel:[0,1,0]
	v_pk_fma_f16 v60, v85, v110, v69 op_sel_hi:[1,0,1]
	v_pk_fma_f16 v54, v85, v111, v54 op_sel:[0,1,0]
	v_pk_fma_f16 v55, v86, v111, v55 op_sel:[0,1,0]
	;; [unrolled: 1-line block ×7, first 2 shown]
	v_pk_fma_f16 v60, v95, v112, v60 op_sel_hi:[1,0,1]
	v_pk_fma_f16 v54, v95, v113, v54 op_sel:[0,1,0]
	v_pk_fma_f16 v55, v96, v113, v55 op_sel:[0,1,0]
	;; [unrolled: 1-line block ×7, first 2 shown]
	v_pk_fma_f16 v60, v103, v114, v60 op_sel_hi:[1,0,1]
	v_pk_fma_f16 v54, v103, v115, v54 op_sel:[0,1,0]
	v_pk_fma_f16 v55, v104, v115, v55 op_sel:[0,1,0]
	;; [unrolled: 1-line block ×3, first 2 shown]
	v_pk_fma_f16 v9, v74, v7, v9 op_sel_hi:[1,0,1]
	v_pk_fma_f16 v66, v75, v7, v66 op_sel_hi:[1,0,1]
	v_pk_fma_f16 v5, v76, v7, v5 op_sel:[0,1,0]
	v_pk_fma_f16 v77, v73, v7, v77 op_sel_hi:[1,0,1]
	v_pk_fma_f16 v7, v84, v110, v11 op_sel_hi:[1,0,1]
	;; [unrolled: 1-line block ×3, first 2 shown]
	v_pk_fma_f16 v63, v85, v110, v63 op_sel:[0,1,0]
	v_pk_fma_f16 v68, v85, v111, v78 op_sel_hi:[1,0,1]
	v_pk_fma_f16 v69, v86, v110, v70 op_sel_hi:[1,0,1]
	v_pk_fma_f16 v70, v86, v110, v79 op_sel:[0,1,0]
	v_pk_fma_f16 v73, v86, v111, v182 op_sel_hi:[1,0,1]
	v_pk_fma_f16 v71, v87, v110, v71 op_sel_hi:[1,0,1]
	v_pk_fma_f16 v74, v87, v110, v183 op_sel:[0,1,0]
	v_pk_fma_f16 v75, v87, v111, v184 op_sel_hi:[1,0,1]
	v_pk_fma_f16 v57, v106, v115, v57 op_sel:[0,1,0]
	v_pk_fma_f16 v58, v107, v115, v58 op_sel:[0,1,0]
	;; [unrolled: 1-line block ×4, first 2 shown]
	v_pk_fma_f16 v60, v119, v116, v60 op_sel_hi:[1,0,1]
	v_pk_fma_f16 v54, v119, v117, v54 op_sel:[0,1,0]
	v_pk_fma_f16 v55, v120, v117, v55 op_sel:[0,1,0]
	;; [unrolled: 1-line block ×3, first 2 shown]
	v_pk_fma_f16 v72, v90, v110, v72 op_sel_hi:[1,0,1]
	v_pk_fma_f16 v65, v91, v110, v65 op_sel_hi:[1,0,1]
	v_pk_fma_f16 v8, v91, v110, v8 op_sel:[0,1,0]
	v_pk_fma_f16 v9, v91, v111, v9 op_sel_hi:[1,0,1]
	v_pk_fma_f16 v66, v92, v111, v66 op_sel_hi:[1,0,1]
	;; [unrolled: 1-line block ×3, first 2 shown]
	v_pk_fma_f16 v4, v93, v110, v4 op_sel:[0,1,0]
	v_pk_fma_f16 v6, v93, v111, v6 op_sel_hi:[1,0,1]
	v_pk_fma_f16 v5, v93, v111, v5 op_sel:[0,1,0]
	v_pk_fma_f16 v76, v90, v110, v185 op_sel:[0,1,0]
	v_pk_fma_f16 v7, v94, v112, v7 op_sel_hi:[1,0,1]
	v_pk_fma_f16 v10, v94, v112, v10 op_sel:[0,1,0]
	v_pk_fma_f16 v11, v94, v113, v11 op_sel_hi:[1,0,1]
	;; [unrolled: 2-line block ×3, first 2 shown]
	v_pk_fma_f16 v69, v96, v112, v69 op_sel_hi:[1,0,1]
	v_pk_fma_f16 v70, v96, v112, v70 op_sel:[0,1,0]
	v_pk_fma_f16 v73, v96, v113, v73 op_sel_hi:[1,0,1]
	v_pk_fma_f16 v71, v97, v112, v71 op_sel_hi:[1,0,1]
	v_pk_fma_f16 v74, v97, v112, v74 op_sel:[0,1,0]
	v_pk_fma_f16 v75, v97, v113, v75 op_sel_hi:[1,0,1]
	v_pk_fma_f16 v57, v122, v117, v57 op_sel:[0,1,0]
	v_pk_fma_f16 v58, v123, v117, v58 op_sel:[0,1,0]
	;; [unrolled: 1-line block ×4, first 2 shown]
	v_pk_fma_f16 v60, v127, v150, v60 op_sel_hi:[1,0,1]
	v_pk_fma_f16 v54, v127, v151, v54 op_sel:[0,1,0]
	v_pk_fma_f16 v55, v128, v151, v55 op_sel:[0,1,0]
	;; [unrolled: 1-line block ×3, first 2 shown]
	v_pk_fma_f16 v72, v98, v112, v72 op_sel_hi:[1,0,1]
	v_pk_fma_f16 v65, v99, v112, v65 op_sel_hi:[1,0,1]
	v_pk_fma_f16 v8, v99, v112, v8 op_sel:[0,1,0]
	v_pk_fma_f16 v9, v99, v113, v9 op_sel_hi:[1,0,1]
	v_pk_fma_f16 v66, v100, v113, v66 op_sel_hi:[1,0,1]
	;; [unrolled: 1-line block ×3, first 2 shown]
	v_pk_fma_f16 v4, v101, v112, v4 op_sel:[0,1,0]
	v_pk_fma_f16 v6, v101, v113, v6 op_sel_hi:[1,0,1]
	v_pk_fma_f16 v5, v101, v113, v5 op_sel:[0,1,0]
	v_pk_fma_f16 v76, v98, v112, v76 op_sel:[0,1,0]
	v_pk_fma_f16 v7, v102, v114, v7 op_sel_hi:[1,0,1]
	v_pk_fma_f16 v10, v102, v114, v10 op_sel:[0,1,0]
	v_pk_fma_f16 v11, v102, v115, v11 op_sel_hi:[1,0,1]
	;; [unrolled: 2-line block ×3, first 2 shown]
	v_pk_fma_f16 v69, v104, v114, v69 op_sel_hi:[1,0,1]
	v_pk_fma_f16 v70, v104, v114, v70 op_sel:[0,1,0]
	v_pk_fma_f16 v73, v104, v115, v73 op_sel_hi:[1,0,1]
	v_pk_fma_f16 v71, v105, v114, v71 op_sel_hi:[1,0,1]
	v_pk_fma_f16 v74, v105, v114, v74 op_sel:[0,1,0]
	v_pk_fma_f16 v75, v105, v115, v75 op_sel_hi:[1,0,1]
	v_pk_fma_f16 v57, v130, v151, v57 op_sel:[0,1,0]
	v_pk_fma_f16 v58, v131, v151, v58 op_sel:[0,1,0]
	v_pk_fma_f16 v59, v132, v151, v59 op_sel:[0,1,0]
	v_pk_fma_f16 v53, v134, v153, v53 op_sel:[0,1,0]
	v_pk_fma_f16 v60, v135, v152, v60 op_sel_hi:[1,0,1]
	v_pk_fma_f16 v54, v135, v153, v54 op_sel:[0,1,0]
	v_pk_fma_f16 v55, v136, v153, v55 op_sel:[0,1,0]
	;; [unrolled: 1-line block ×3, first 2 shown]
	v_pk_fma_f16 v72, v106, v114, v72 op_sel_hi:[1,0,1]
	v_pk_fma_f16 v65, v107, v114, v65 op_sel_hi:[1,0,1]
	v_pk_fma_f16 v8, v107, v114, v8 op_sel:[0,1,0]
	v_pk_fma_f16 v9, v107, v115, v9 op_sel_hi:[1,0,1]
	v_pk_fma_f16 v66, v108, v115, v66 op_sel_hi:[1,0,1]
	;; [unrolled: 1-line block ×3, first 2 shown]
	v_pk_fma_f16 v4, v109, v114, v4 op_sel:[0,1,0]
	v_pk_fma_f16 v6, v109, v115, v6 op_sel_hi:[1,0,1]
	v_pk_fma_f16 v5, v109, v115, v5 op_sel:[0,1,0]
	v_pk_fma_f16 v77, v90, v111, v77 op_sel_hi:[1,0,1]
	v_pk_fma_f16 v61, v92, v110, v61 op_sel_hi:[1,0,1]
	v_pk_fma_f16 v62, v92, v110, v62 op_sel:[0,1,0]
	v_pk_fma_f16 v76, v106, v114, v76 op_sel:[0,1,0]
	v_pk_fma_f16 v7, v118, v116, v7 op_sel_hi:[1,0,1]
	v_pk_fma_f16 v10, v118, v116, v10 op_sel:[0,1,0]
	v_pk_fma_f16 v11, v118, v117, v11 op_sel_hi:[1,0,1]
	;; [unrolled: 2-line block ×3, first 2 shown]
	v_pk_fma_f16 v69, v120, v116, v69 op_sel_hi:[1,0,1]
	v_pk_fma_f16 v70, v120, v116, v70 op_sel:[0,1,0]
	v_pk_fma_f16 v73, v120, v117, v73 op_sel_hi:[1,0,1]
	v_pk_fma_f16 v71, v121, v116, v71 op_sel_hi:[1,0,1]
	v_pk_fma_f16 v74, v121, v116, v74 op_sel:[0,1,0]
	v_pk_fma_f16 v75, v121, v117, v75 op_sel_hi:[1,0,1]
	v_pk_fma_f16 v57, v138, v153, v57 op_sel:[0,1,0]
	v_pk_fma_f16 v58, v139, v153, v58 op_sel:[0,1,0]
	;; [unrolled: 1-line block ×4, first 2 shown]
	v_pk_fma_f16 v60, v143, v154, v60 op_sel_hi:[1,0,1]
	v_pk_fma_f16 v54, v143, v155, v54 op_sel:[0,1,0]
	v_pk_fma_f16 v55, v144, v155, v55 op_sel:[0,1,0]
	;; [unrolled: 1-line block ×3, first 2 shown]
	v_pk_fma_f16 v72, v122, v116, v72 op_sel_hi:[1,0,1]
	v_pk_fma_f16 v65, v123, v116, v65 op_sel_hi:[1,0,1]
	v_pk_fma_f16 v8, v123, v116, v8 op_sel:[0,1,0]
	v_pk_fma_f16 v9, v123, v117, v9 op_sel_hi:[1,0,1]
	v_pk_fma_f16 v66, v124, v117, v66 op_sel_hi:[1,0,1]
	;; [unrolled: 1-line block ×3, first 2 shown]
	v_pk_fma_f16 v4, v125, v116, v4 op_sel:[0,1,0]
	v_pk_fma_f16 v6, v125, v117, v6 op_sel_hi:[1,0,1]
	v_pk_fma_f16 v5, v125, v117, v5 op_sel:[0,1,0]
	v_pk_fma_f16 v77, v98, v113, v77 op_sel_hi:[1,0,1]
	v_pk_fma_f16 v61, v100, v112, v61 op_sel_hi:[1,0,1]
	v_pk_fma_f16 v62, v100, v112, v62 op_sel:[0,1,0]
	v_pk_fma_f16 v76, v122, v116, v76 op_sel:[0,1,0]
	v_pk_fma_f16 v7, v126, v150, v7 op_sel_hi:[1,0,1]
	v_pk_fma_f16 v10, v126, v150, v10 op_sel:[0,1,0]
	v_pk_fma_f16 v11, v126, v151, v11 op_sel_hi:[1,0,1]
	;; [unrolled: 2-line block ×3, first 2 shown]
	v_pk_fma_f16 v69, v128, v150, v69 op_sel_hi:[1,0,1]
	v_pk_fma_f16 v70, v128, v150, v70 op_sel:[0,1,0]
	v_pk_fma_f16 v73, v128, v151, v73 op_sel_hi:[1,0,1]
	v_pk_fma_f16 v71, v129, v150, v71 op_sel_hi:[1,0,1]
	v_pk_fma_f16 v74, v129, v150, v74 op_sel:[0,1,0]
	v_pk_fma_f16 v75, v129, v151, v75 op_sel_hi:[1,0,1]
	v_pk_fma_f16 v78, v146, v155, v57 op_sel:[0,1,0]
	v_pk_fma_f16 v79, v147, v155, v58 op_sel:[0,1,0]
	;; [unrolled: 1-line block ×4, first 2 shown]
	v_pk_fma_f16 v91, v159, v156, v60 op_sel_hi:[1,0,1]
	v_pk_fma_f16 v93, v159, v157, v54 op_sel:[0,1,0]
	v_pk_fma_f16 v96, v160, v157, v55 op_sel:[0,1,0]
	;; [unrolled: 1-line block ×3, first 2 shown]
	s_waitcnt vmcnt(3)
	ds_store_b128 v42, v[166:169]
	s_waitcnt vmcnt(2)
	ds_store_b128 v43, v[170:173]
	;; [unrolled: 2-line block ×4, first 2 shown]
	s_waitcnt lgkmcnt(0)
	s_barrier
	buffer_gl0_inv
	ds_load_2addr_b64 v[53:56], v89 offset1:32
	ds_load_b128 v[57:60], v40 offset:512
	v_pk_fma_f16 v72, v130, v150, v72 op_sel_hi:[1,0,1]
	v_pk_fma_f16 v65, v131, v150, v65 op_sel_hi:[1,0,1]
	v_pk_fma_f16 v8, v131, v150, v8 op_sel:[0,1,0]
	v_pk_fma_f16 v9, v131, v151, v9 op_sel_hi:[1,0,1]
	v_pk_fma_f16 v66, v132, v151, v66 op_sel_hi:[1,0,1]
	v_pk_fma_f16 v67, v133, v150, v67 op_sel_hi:[1,0,1]
	v_pk_fma_f16 v4, v133, v150, v4 op_sel:[0,1,0]
	v_pk_fma_f16 v6, v133, v151, v6 op_sel_hi:[1,0,1]
	v_pk_fma_f16 v5, v133, v151, v5 op_sel:[0,1,0]
	v_pk_fma_f16 v77, v106, v115, v77 op_sel_hi:[1,0,1]
	v_pk_fma_f16 v61, v108, v114, v61 op_sel_hi:[1,0,1]
	v_pk_fma_f16 v62, v108, v114, v62 op_sel:[0,1,0]
	v_pk_fma_f16 v76, v130, v150, v76 op_sel:[0,1,0]
	v_pk_fma_f16 v7, v134, v152, v7 op_sel_hi:[1,0,1]
	v_pk_fma_f16 v10, v134, v152, v10 op_sel:[0,1,0]
	v_pk_fma_f16 v11, v134, v153, v11 op_sel_hi:[1,0,1]
	v_pk_fma_f16 v63, v135, v152, v63 op_sel:[0,1,0]
	v_pk_fma_f16 v68, v135, v153, v68 op_sel_hi:[1,0,1]
	v_pk_fma_f16 v69, v136, v152, v69 op_sel_hi:[1,0,1]
	v_pk_fma_f16 v70, v136, v152, v70 op_sel:[0,1,0]
	v_pk_fma_f16 v73, v136, v153, v73 op_sel_hi:[1,0,1]
	v_pk_fma_f16 v71, v137, v152, v71 op_sel_hi:[1,0,1]
	v_pk_fma_f16 v74, v137, v152, v74 op_sel:[0,1,0]
	v_pk_fma_f16 v75, v137, v153, v75 op_sel_hi:[1,0,1]
	v_pk_fma_f16 v72, v138, v152, v72 op_sel_hi:[1,0,1]
	v_pk_fma_f16 v65, v139, v152, v65 op_sel_hi:[1,0,1]
	v_pk_fma_f16 v8, v139, v152, v8 op_sel:[0,1,0]
	v_pk_fma_f16 v9, v139, v153, v9 op_sel_hi:[1,0,1]
	v_pk_fma_f16 v66, v140, v153, v66 op_sel_hi:[1,0,1]
	v_pk_fma_f16 v67, v141, v152, v67 op_sel_hi:[1,0,1]
	v_pk_fma_f16 v4, v141, v152, v4 op_sel:[0,1,0]
	v_pk_fma_f16 v6, v141, v153, v6 op_sel_hi:[1,0,1]
	v_pk_fma_f16 v5, v141, v153, v5 op_sel:[0,1,0]
	v_pk_fma_f16 v77, v122, v117, v77 op_sel_hi:[1,0,1]
	v_pk_fma_f16 v61, v124, v116, v61 op_sel_hi:[1,0,1]
	v_pk_fma_f16 v62, v124, v116, v62 op_sel:[0,1,0]
	v_pk_fma_f16 v76, v138, v152, v76 op_sel:[0,1,0]
	v_pk_fma_f16 v7, v142, v154, v7 op_sel_hi:[1,0,1]
	v_pk_fma_f16 v10, v142, v154, v10 op_sel:[0,1,0]
	v_pk_fma_f16 v11, v142, v155, v11 op_sel_hi:[1,0,1]
	v_pk_fma_f16 v63, v143, v154, v63 op_sel:[0,1,0]
	v_pk_fma_f16 v68, v143, v155, v68 op_sel_hi:[1,0,1]
	v_pk_fma_f16 v69, v144, v154, v69 op_sel_hi:[1,0,1]
	v_pk_fma_f16 v70, v144, v154, v70 op_sel:[0,1,0]
	v_pk_fma_f16 v73, v144, v155, v73 op_sel_hi:[1,0,1]
	v_pk_fma_f16 v71, v145, v154, v71 op_sel_hi:[1,0,1]
	v_pk_fma_f16 v74, v145, v154, v74 op_sel:[0,1,0]
	v_pk_fma_f16 v75, v145, v155, v75 op_sel_hi:[1,0,1]
	;; [unrolled: 24-line block ×3, first 2 shown]
	v_pk_fma_f16 v100, v162, v156, v72 op_sel_hi:[1,0,1]
	v_pk_fma_f16 v102, v163, v156, v65 op_sel_hi:[1,0,1]
	v_pk_fma_f16 v103, v163, v156, v8 op_sel:[0,1,0]
	v_pk_fma_f16 v104, v163, v157, v9 op_sel_hi:[1,0,1]
	v_pk_fma_f16 v105, v164, v157, v66 op_sel_hi:[1,0,1]
	;; [unrolled: 1-line block ×3, first 2 shown]
	v_pk_fma_f16 v107, v165, v156, v4 op_sel:[0,1,0]
	v_pk_fma_f16 v108, v165, v157, v6 op_sel_hi:[1,0,1]
	v_pk_fma_f16 v109, v165, v157, v5 op_sel:[0,1,0]
	ds_load_2addr_b64 v[65:68], v89 offset0:64 offset1:96
	ds_load_b128 v[69:72], v40 offset:528
	ds_load_b128 v[8:11], v40 offset:544
	;; [unrolled: 1-line block ×3, first 2 shown]
	v_pk_fma_f16 v77, v138, v153, v77 op_sel_hi:[1,0,1]
	v_pk_fma_f16 v61, v140, v152, v61 op_sel_hi:[1,0,1]
	v_pk_fma_f16 v62, v140, v152, v62 op_sel:[0,1,0]
	v_pk_fma_f16 v101, v162, v156, v76 op_sel:[0,1,0]
	s_waitcnt lgkmcnt(4)
	v_pk_fma_f16 v85, v53, v57, v85 op_sel_hi:[1,0,1]
	v_pk_fma_f16 v86, v53, v57, v86 op_sel:[0,1,0]
	v_pk_fma_f16 v87, v53, v58, v87 op_sel_hi:[1,0,1]
	v_pk_fma_f16 v90, v53, v58, v90 op_sel:[0,1,0]
	;; [unrolled: 2-line block ×7, first 2 shown]
	ds_load_2addr_b64 v[73:76], v89 offset0:128 offset1:160
	v_pk_fma_f16 v98, v56, v58, v98 op_sel_hi:[1,0,1]
	v_pk_fma_f16 v99, v56, v58, v99 op_sel:[0,1,0]
	ds_load_2addr_b64 v[53:56], v89 offset0:192 offset1:224
	v_pk_fma_f16 v77, v146, v155, v77 op_sel_hi:[1,0,1]
	v_pk_fma_f16 v61, v148, v154, v61 op_sel_hi:[1,0,1]
	v_pk_fma_f16 v62, v148, v154, v62 op_sel:[0,1,0]
	v_pk_fma_f16 v78, v162, v157, v78 op_sel:[0,1,0]
	;; [unrolled: 1-line block ×3, first 2 shown]
	v_pk_fma_f16 v77, v162, v157, v77 op_sel_hi:[1,0,1]
	v_pk_fma_f16 v61, v164, v156, v61 op_sel_hi:[1,0,1]
	v_pk_fma_f16 v62, v164, v156, v62 op_sel:[0,1,0]
	v_pk_fma_f16 v84, v164, v157, v84 op_sel:[0,1,0]
	s_waitcnt lgkmcnt(5)
	v_pk_fma_f16 v100, v65, v57, v100 op_sel_hi:[1,0,1]
	v_pk_fma_f16 v101, v65, v57, v101 op_sel:[0,1,0]
	v_pk_fma_f16 v77, v65, v58, v77 op_sel_hi:[1,0,1]
	v_pk_fma_f16 v78, v65, v58, v78 op_sel:[0,1,0]
	;; [unrolled: 2-line block ×8, first 2 shown]
	ds_load_2addr_b64 v[65:68], v88 offset1:32
	s_waitcnt lgkmcnt(2)
	v_pk_fma_f16 v85, v73, v59, v85 op_sel_hi:[1,0,1]
	v_pk_fma_f16 v86, v73, v59, v86 op_sel:[0,1,0]
	v_pk_fma_f16 v87, v73, v60, v87 op_sel_hi:[1,0,1]
	v_pk_fma_f16 v90, v73, v60, v90 op_sel:[0,1,0]
	;; [unrolled: 2-line block ×8, first 2 shown]
	s_waitcnt lgkmcnt(1)
	v_pk_fma_f16 v100, v53, v59, v100 op_sel_hi:[1,0,1]
	v_pk_fma_f16 v101, v53, v59, v101 op_sel:[0,1,0]
	v_pk_fma_f16 v77, v53, v60, v77 op_sel_hi:[1,0,1]
	v_pk_fma_f16 v78, v53, v60, v78 op_sel:[0,1,0]
	;; [unrolled: 2-line block ×7, first 2 shown]
	ds_load_2addr_b64 v[73:76], v88 offset0:64 offset1:96
	v_pk_fma_f16 v107, v56, v60, v107 op_sel_hi:[1,0,1]
	v_pk_fma_f16 v110, v56, v60, v58 op_sel:[0,1,0]
	ds_load_2addr_b64 v[53:56], v88 offset0:128 offset1:160
	s_waitcnt lgkmcnt(2)
	v_pk_fma_f16 v85, v65, v69, v85 op_sel_hi:[1,0,1]
	v_pk_fma_f16 v86, v65, v69, v86 op_sel:[0,1,0]
	v_pk_fma_f16 v87, v65, v70, v87 op_sel_hi:[1,0,1]
	v_pk_fma_f16 v65, v65, v70, v90 op_sel:[0,1,0]
	v_pk_fma_f16 v90, v66, v69, v91 op_sel_hi:[1,0,1]
	v_pk_fma_f16 v63, v66, v69, v63 op_sel:[0,1,0]
	v_pk_fma_f16 v91, v66, v70, v92 op_sel_hi:[1,0,1]
	v_pk_fma_f16 v66, v66, v70, v93 op_sel:[0,1,0]
	v_pk_fma_f16 v92, v67, v69, v94 op_sel_hi:[1,0,1]
	v_pk_fma_f16 v93, v67, v69, v95 op_sel:[0,1,0]
	v_pk_fma_f16 v94, v67, v70, v108 op_sel_hi:[1,0,1]
	v_pk_fma_f16 v67, v67, v70, v96 op_sel:[0,1,0]
	v_pk_fma_f16 v95, v68, v69, v97 op_sel_hi:[1,0,1]
	v_pk_fma_f16 v96, v68, v69, v109 op_sel:[0,1,0]
	v_pk_fma_f16 v97, v68, v70, v98 op_sel_hi:[1,0,1]
	v_pk_fma_f16 v98, v68, v70, v99 op_sel:[0,1,0]
	s_waitcnt lgkmcnt(1)
	v_pk_fma_f16 v99, v73, v69, v100 op_sel_hi:[1,0,1]
	v_pk_fma_f16 v100, v73, v69, v101 op_sel:[0,1,0]
	v_pk_fma_f16 v77, v73, v70, v77 op_sel_hi:[1,0,1]
	v_pk_fma_f16 v73, v73, v70, v78 op_sel:[0,1,0]
	;; [unrolled: 2-line block ×7, first 2 shown]
	ds_load_2addr_b64 v[57:60], v88 offset0:192 offset1:224
	v_pk_fma_f16 v103, v76, v70, v107 op_sel_hi:[1,0,1]
	v_pk_fma_f16 v70, v76, v70, v110 op_sel:[0,1,0]
	s_waitcnt lgkmcnt(1)
	v_pk_fma_f16 v76, v53, v71, v85 op_sel_hi:[1,0,1]
	v_pk_fma_f16 v85, v53, v71, v86 op_sel:[0,1,0]
	v_pk_fma_f16 v86, v53, v72, v87 op_sel_hi:[1,0,1]
	v_pk_fma_f16 v87, v53, v72, v65 op_sel:[0,1,0]
	v_pk_fma_f16 v104, v54, v72, v66 op_sel:[0,1,0]
	;; [unrolled: 1-line block ×3, first 2 shown]
	ds_load_2addr_b64 v[65:68], v51 offset1:32
	v_pk_fma_f16 v90, v54, v71, v90 op_sel_hi:[1,0,1]
	v_pk_fma_f16 v63, v54, v71, v63 op_sel:[0,1,0]
	v_pk_fma_f16 v91, v54, v72, v91 op_sel_hi:[1,0,1]
	v_pk_fma_f16 v92, v55, v71, v92 op_sel_hi:[1,0,1]
	v_pk_fma_f16 v93, v55, v71, v93 op_sel:[0,1,0]
	v_pk_fma_f16 v94, v55, v72, v94 op_sel_hi:[1,0,1]
	;; [unrolled: 3-line block ×3, first 2 shown]
	v_pk_fma_f16 v98, v56, v72, v98 op_sel:[0,1,0]
	ds_load_2addr_b64 v[53:56], v51 offset0:64 offset1:96
	s_or_b32 s8, s3, 0x50
	s_waitcnt lgkmcnt(2)
	v_pk_fma_f16 v99, v57, v71, v99 op_sel_hi:[1,0,1]
	v_pk_fma_f16 v100, v57, v71, v100 op_sel:[0,1,0]
	v_pk_fma_f16 v77, v57, v72, v77 op_sel_hi:[1,0,1]
	v_pk_fma_f16 v73, v57, v72, v73 op_sel:[0,1,0]
	;; [unrolled: 2-line block ×8, first 2 shown]
	s_waitcnt lgkmcnt(1)
	v_pk_fma_f16 v72, v65, v8, v76 op_sel_hi:[1,0,1]
	v_pk_fma_f16 v76, v65, v8, v85 op_sel:[0,1,0]
	v_pk_fma_f16 v85, v65, v9, v86 op_sel_hi:[1,0,1]
	v_pk_fma_f16 v86, v65, v9, v87 op_sel:[0,1,0]
	;; [unrolled: 2-line block ×7, first 2 shown]
	ds_load_2addr_b64 v[57:60], v51 offset0:128 offset1:160
	v_pk_fma_f16 v97, v68, v9, v97 op_sel_hi:[1,0,1]
	v_pk_fma_f16 v98, v68, v9, v98 op_sel:[0,1,0]
	ds_load_2addr_b64 v[65:68], v51 offset0:192 offset1:224
	s_mul_hi_i32 s19, s8, s10
	s_mul_i32 s18, s8, s10
	s_waitcnt lgkmcnt(2)
	v_pk_fma_f16 v99, v53, v8, v99 op_sel_hi:[1,0,1]
	s_lshl_b64 s[18:19], s[18:19], 2
	v_pk_fma_f16 v100, v53, v8, v100 op_sel:[0,1,0]
	s_add_u32 s8, s11, s18
	v_pk_fma_f16 v77, v53, v9, v77 op_sel_hi:[1,0,1]
	v_pk_fma_f16 v53, v53, v9, v73 op_sel:[0,1,0]
	v_pk_fma_f16 v73, v54, v8, v78 op_sel_hi:[1,0,1]
	v_pk_fma_f16 v78, v54, v8, v101 op_sel:[0,1,0]
	;; [unrolled: 2-line block ×4, first 2 shown]
	s_addc_u32 s18, s17, s19
	v_add_co_u32 v8, vcc_lo, s8, v27
	v_pk_fma_f16 v182, v54, v9, v102 op_sel_hi:[1,0,1]
	v_pk_fma_f16 v183, v54, v9, v74 op_sel:[0,1,0]
	v_pk_fma_f16 v79, v55, v9, v79 op_sel_hi:[1,0,1]
	v_pk_fma_f16 v186, v55, v9, v75 op_sel:[0,1,0]
	v_pk_fma_f16 v189, v56, v9, v71 op_sel_hi:[1,0,1]
	v_pk_fma_f16 v190, v56, v9, v70 op_sel:[0,1,0]
	v_add_co_ci_u32_e32 v9, vcc_lo, s18, v28, vcc_lo
	v_add_co_u32 v61, vcc_lo, s8, v29
	v_add_co_ci_u32_e32 v62, vcc_lo, s18, v30, vcc_lo
	v_add_co_u32 v8, vcc_lo, v8, v38
	s_delay_alu instid0(VALU_DEP_4) | instskip(NEXT) | instid1(VALU_DEP_4)
	v_add_co_ci_u32_e32 v9, vcc_lo, 0, v9, vcc_lo
	v_add_co_u32 v61, vcc_lo, v61, v38
	s_delay_alu instid0(VALU_DEP_4)
	v_add_co_ci_u32_e32 v62, vcc_lo, 0, v62, vcc_lo
	s_waitcnt lgkmcnt(1)
	v_pk_fma_f16 v191, v57, v10, v72 op_sel_hi:[1,0,1]
	v_pk_fma_f16 v192, v57, v10, v76 op_sel:[0,1,0]
	v_pk_fma_f16 v193, v57, v11, v85 op_sel_hi:[1,0,1]
	v_pk_fma_f16 v194, v57, v11, v86 op_sel:[0,1,0]
	;; [unrolled: 2-line block ×8, first 2 shown]
	s_waitcnt lgkmcnt(0)
	v_pk_fma_f16 v206, v65, v10, v99 op_sel_hi:[1,0,1]
	v_pk_fma_f16 v207, v65, v10, v100 op_sel:[0,1,0]
	v_pk_fma_f16 v77, v65, v11, v77 op_sel_hi:[1,0,1]
	v_pk_fma_f16 v65, v65, v11, v53 op_sel:[0,1,0]
	v_pk_fma_f16 v208, v66, v10, v73 op_sel_hi:[1,0,1]
	ds_load_2addr_b64 v[53:56], v52 offset1:32
	ds_load_2addr_b64 v[57:60], v52 offset0:64 offset1:96
	ds_load_2addr_b64 v[69:72], v52 offset0:128 offset1:160
	;; [unrolled: 1-line block ×3, first 2 shown]
	ds_load_2addr_b64 v[84:87], v50 offset1:32
	ds_load_2addr_b64 v[90:93], v50 offset0:64 offset1:96
	ds_load_2addr_b64 v[94:97], v50 offset0:128 offset1:160
	;; [unrolled: 1-line block ×3, first 2 shown]
	ds_load_2addr_b64 v[102:105], v49 offset1:32
	ds_load_2addr_b64 v[106:109], v49 offset0:64 offset1:96
	ds_load_b128 v[110:113], v40 offset:576
	ds_load_b128 v[114:117], v40 offset:592
	ds_load_2addr_b64 v[118:121], v49 offset0:128 offset1:160
	ds_load_2addr_b64 v[122:125], v49 offset0:192 offset1:224
	ds_load_2addr_b64 v[126:129], v48 offset1:32
	ds_load_2addr_b64 v[130:133], v48 offset0:64 offset1:96
	ds_load_2addr_b64 v[134:137], v48 offset0:128 offset1:160
	ds_load_2addr_b64 v[138:141], v48 offset0:192 offset1:224
	ds_load_2addr_b64 v[142:145], v47 offset1:32
	ds_load_2addr_b64 v[146:149], v47 offset0:64 offset1:96
	ds_load_b128 v[150:153], v40 offset:608
	ds_load_b128 v[154:157], v40 offset:624
	ds_load_2addr_b64 v[158:161], v47 offset0:128 offset1:160
	ds_load_2addr_b64 v[162:165], v47 offset0:192 offset1:224
	s_waitcnt lgkmcnt(0)
	s_barrier
	buffer_gl0_inv
	s_clause 0x3
	global_load_b128 v[166:169], v[8:9], off
	global_load_b128 v[170:173], v[8:9], off offset:512
	global_load_b128 v[174:177], v[61:62], off
	global_load_b128 v[178:181], v[61:62], off offset:512
	v_pk_fma_f16 v8, v66, v10, v78 op_sel:[0,1,0]
	v_pk_fma_f16 v9, v66, v11, v182 op_sel_hi:[1,0,1]
	v_pk_fma_f16 v61, v66, v11, v183 op_sel:[0,1,0]
	v_pk_fma_f16 v62, v67, v10, v184 op_sel_hi:[1,0,1]
	;; [unrolled: 2-line block ×24, first 2 shown]
	v_pk_fma_f16 v54, v70, v7, v54 op_sel:[0,1,0]
	v_pk_fma_f16 v55, v71, v7, v55 op_sel:[0,1,0]
	;; [unrolled: 1-line block ×4, first 2 shown]
	v_pk_fma_f16 v78, v70, v7, v186 op_sel_hi:[1,0,1]
	v_pk_fma_f16 v70, v71, v6, v187 op_sel_hi:[1,0,1]
	v_pk_fma_f16 v79, v71, v6, v188 op_sel:[0,1,0]
	v_pk_fma_f16 v182, v71, v7, v189 op_sel_hi:[1,0,1]
	v_pk_fma_f16 v71, v72, v6, v190 op_sel_hi:[1,0,1]
	v_pk_fma_f16 v183, v72, v6, v191 op_sel:[0,1,0]
	;; [unrolled: 3-line block ×3, first 2 shown]
	v_pk_fma_f16 v57, v73, v7, v57 op_sel:[0,1,0]
	v_pk_fma_f16 v65, v74, v6, v65 op_sel_hi:[1,0,1]
	v_pk_fma_f16 v8, v74, v6, v8 op_sel:[0,1,0]
	v_pk_fma_f16 v58, v74, v7, v58 op_sel:[0,1,0]
	v_pk_fma_f16 v61, v75, v6, v61 op_sel_hi:[1,0,1]
	v_pk_fma_f16 v62, v75, v6, v62 op_sel:[0,1,0]
	;; [unrolled: 3-line block ×3, first 2 shown]
	v_pk_fma_f16 v6, v76, v7, v10 op_sel_hi:[1,0,1]
	v_pk_fma_f16 v10, v84, v110, v60 op_sel:[0,1,0]
	v_pk_fma_f16 v53, v84, v111, v53 op_sel:[0,1,0]
	v_pk_fma_f16 v60, v85, v110, v69 op_sel_hi:[1,0,1]
	v_pk_fma_f16 v54, v85, v111, v54 op_sel:[0,1,0]
	v_pk_fma_f16 v55, v86, v111, v55 op_sel:[0,1,0]
	;; [unrolled: 1-line block ×7, first 2 shown]
	v_pk_fma_f16 v60, v95, v112, v60 op_sel_hi:[1,0,1]
	v_pk_fma_f16 v54, v95, v113, v54 op_sel:[0,1,0]
	v_pk_fma_f16 v55, v96, v113, v55 op_sel:[0,1,0]
	;; [unrolled: 1-line block ×7, first 2 shown]
	v_pk_fma_f16 v60, v103, v114, v60 op_sel_hi:[1,0,1]
	v_pk_fma_f16 v54, v103, v115, v54 op_sel:[0,1,0]
	v_pk_fma_f16 v55, v104, v115, v55 op_sel:[0,1,0]
	;; [unrolled: 1-line block ×3, first 2 shown]
	v_pk_fma_f16 v9, v74, v7, v9 op_sel_hi:[1,0,1]
	v_pk_fma_f16 v66, v75, v7, v66 op_sel_hi:[1,0,1]
	v_pk_fma_f16 v5, v76, v7, v5 op_sel:[0,1,0]
	v_pk_fma_f16 v77, v73, v7, v77 op_sel_hi:[1,0,1]
	v_pk_fma_f16 v7, v84, v110, v11 op_sel_hi:[1,0,1]
	;; [unrolled: 1-line block ×3, first 2 shown]
	v_pk_fma_f16 v63, v85, v110, v63 op_sel:[0,1,0]
	v_pk_fma_f16 v68, v85, v111, v78 op_sel_hi:[1,0,1]
	v_pk_fma_f16 v69, v86, v110, v70 op_sel_hi:[1,0,1]
	v_pk_fma_f16 v70, v86, v110, v79 op_sel:[0,1,0]
	v_pk_fma_f16 v73, v86, v111, v182 op_sel_hi:[1,0,1]
	v_pk_fma_f16 v71, v87, v110, v71 op_sel_hi:[1,0,1]
	v_pk_fma_f16 v74, v87, v110, v183 op_sel:[0,1,0]
	v_pk_fma_f16 v75, v87, v111, v184 op_sel_hi:[1,0,1]
	v_pk_fma_f16 v57, v106, v115, v57 op_sel:[0,1,0]
	v_pk_fma_f16 v58, v107, v115, v58 op_sel:[0,1,0]
	;; [unrolled: 1-line block ×4, first 2 shown]
	v_pk_fma_f16 v60, v119, v116, v60 op_sel_hi:[1,0,1]
	v_pk_fma_f16 v54, v119, v117, v54 op_sel:[0,1,0]
	v_pk_fma_f16 v55, v120, v117, v55 op_sel:[0,1,0]
	;; [unrolled: 1-line block ×3, first 2 shown]
	v_pk_fma_f16 v72, v90, v110, v72 op_sel_hi:[1,0,1]
	v_pk_fma_f16 v65, v91, v110, v65 op_sel_hi:[1,0,1]
	v_pk_fma_f16 v8, v91, v110, v8 op_sel:[0,1,0]
	v_pk_fma_f16 v9, v91, v111, v9 op_sel_hi:[1,0,1]
	v_pk_fma_f16 v66, v92, v111, v66 op_sel_hi:[1,0,1]
	;; [unrolled: 1-line block ×3, first 2 shown]
	v_pk_fma_f16 v4, v93, v110, v4 op_sel:[0,1,0]
	v_pk_fma_f16 v6, v93, v111, v6 op_sel_hi:[1,0,1]
	v_pk_fma_f16 v5, v93, v111, v5 op_sel:[0,1,0]
	v_pk_fma_f16 v76, v90, v110, v185 op_sel:[0,1,0]
	v_pk_fma_f16 v7, v94, v112, v7 op_sel_hi:[1,0,1]
	v_pk_fma_f16 v10, v94, v112, v10 op_sel:[0,1,0]
	v_pk_fma_f16 v11, v94, v113, v11 op_sel_hi:[1,0,1]
	;; [unrolled: 2-line block ×3, first 2 shown]
	v_pk_fma_f16 v69, v96, v112, v69 op_sel_hi:[1,0,1]
	v_pk_fma_f16 v70, v96, v112, v70 op_sel:[0,1,0]
	v_pk_fma_f16 v73, v96, v113, v73 op_sel_hi:[1,0,1]
	v_pk_fma_f16 v71, v97, v112, v71 op_sel_hi:[1,0,1]
	v_pk_fma_f16 v74, v97, v112, v74 op_sel:[0,1,0]
	v_pk_fma_f16 v75, v97, v113, v75 op_sel_hi:[1,0,1]
	v_pk_fma_f16 v57, v122, v117, v57 op_sel:[0,1,0]
	v_pk_fma_f16 v58, v123, v117, v58 op_sel:[0,1,0]
	v_pk_fma_f16 v59, v124, v117, v59 op_sel:[0,1,0]
	v_pk_fma_f16 v53, v126, v151, v53 op_sel:[0,1,0]
	v_pk_fma_f16 v60, v127, v150, v60 op_sel_hi:[1,0,1]
	v_pk_fma_f16 v54, v127, v151, v54 op_sel:[0,1,0]
	v_pk_fma_f16 v55, v128, v151, v55 op_sel:[0,1,0]
	;; [unrolled: 1-line block ×3, first 2 shown]
	v_pk_fma_f16 v72, v98, v112, v72 op_sel_hi:[1,0,1]
	v_pk_fma_f16 v65, v99, v112, v65 op_sel_hi:[1,0,1]
	v_pk_fma_f16 v8, v99, v112, v8 op_sel:[0,1,0]
	v_pk_fma_f16 v9, v99, v113, v9 op_sel_hi:[1,0,1]
	v_pk_fma_f16 v66, v100, v113, v66 op_sel_hi:[1,0,1]
	;; [unrolled: 1-line block ×3, first 2 shown]
	v_pk_fma_f16 v4, v101, v112, v4 op_sel:[0,1,0]
	v_pk_fma_f16 v6, v101, v113, v6 op_sel_hi:[1,0,1]
	v_pk_fma_f16 v5, v101, v113, v5 op_sel:[0,1,0]
	v_pk_fma_f16 v76, v98, v112, v76 op_sel:[0,1,0]
	v_pk_fma_f16 v7, v102, v114, v7 op_sel_hi:[1,0,1]
	v_pk_fma_f16 v10, v102, v114, v10 op_sel:[0,1,0]
	v_pk_fma_f16 v11, v102, v115, v11 op_sel_hi:[1,0,1]
	;; [unrolled: 2-line block ×3, first 2 shown]
	v_pk_fma_f16 v69, v104, v114, v69 op_sel_hi:[1,0,1]
	v_pk_fma_f16 v70, v104, v114, v70 op_sel:[0,1,0]
	v_pk_fma_f16 v73, v104, v115, v73 op_sel_hi:[1,0,1]
	v_pk_fma_f16 v71, v105, v114, v71 op_sel_hi:[1,0,1]
	v_pk_fma_f16 v74, v105, v114, v74 op_sel:[0,1,0]
	v_pk_fma_f16 v75, v105, v115, v75 op_sel_hi:[1,0,1]
	v_pk_fma_f16 v57, v130, v151, v57 op_sel:[0,1,0]
	v_pk_fma_f16 v58, v131, v151, v58 op_sel:[0,1,0]
	;; [unrolled: 1-line block ×4, first 2 shown]
	v_pk_fma_f16 v60, v135, v152, v60 op_sel_hi:[1,0,1]
	v_pk_fma_f16 v54, v135, v153, v54 op_sel:[0,1,0]
	v_pk_fma_f16 v55, v136, v153, v55 op_sel:[0,1,0]
	;; [unrolled: 1-line block ×3, first 2 shown]
	v_pk_fma_f16 v72, v106, v114, v72 op_sel_hi:[1,0,1]
	v_pk_fma_f16 v65, v107, v114, v65 op_sel_hi:[1,0,1]
	v_pk_fma_f16 v8, v107, v114, v8 op_sel:[0,1,0]
	v_pk_fma_f16 v9, v107, v115, v9 op_sel_hi:[1,0,1]
	v_pk_fma_f16 v66, v108, v115, v66 op_sel_hi:[1,0,1]
	;; [unrolled: 1-line block ×3, first 2 shown]
	v_pk_fma_f16 v4, v109, v114, v4 op_sel:[0,1,0]
	v_pk_fma_f16 v6, v109, v115, v6 op_sel_hi:[1,0,1]
	v_pk_fma_f16 v5, v109, v115, v5 op_sel:[0,1,0]
	v_pk_fma_f16 v77, v90, v111, v77 op_sel_hi:[1,0,1]
	v_pk_fma_f16 v61, v92, v110, v61 op_sel_hi:[1,0,1]
	v_pk_fma_f16 v62, v92, v110, v62 op_sel:[0,1,0]
	v_pk_fma_f16 v76, v106, v114, v76 op_sel:[0,1,0]
	v_pk_fma_f16 v7, v118, v116, v7 op_sel_hi:[1,0,1]
	v_pk_fma_f16 v10, v118, v116, v10 op_sel:[0,1,0]
	v_pk_fma_f16 v11, v118, v117, v11 op_sel_hi:[1,0,1]
	;; [unrolled: 2-line block ×3, first 2 shown]
	v_pk_fma_f16 v69, v120, v116, v69 op_sel_hi:[1,0,1]
	v_pk_fma_f16 v70, v120, v116, v70 op_sel:[0,1,0]
	v_pk_fma_f16 v73, v120, v117, v73 op_sel_hi:[1,0,1]
	v_pk_fma_f16 v71, v121, v116, v71 op_sel_hi:[1,0,1]
	v_pk_fma_f16 v74, v121, v116, v74 op_sel:[0,1,0]
	v_pk_fma_f16 v75, v121, v117, v75 op_sel_hi:[1,0,1]
	v_pk_fma_f16 v57, v138, v153, v57 op_sel:[0,1,0]
	v_pk_fma_f16 v58, v139, v153, v58 op_sel:[0,1,0]
	;; [unrolled: 1-line block ×4, first 2 shown]
	v_pk_fma_f16 v60, v143, v154, v60 op_sel_hi:[1,0,1]
	v_pk_fma_f16 v54, v143, v155, v54 op_sel:[0,1,0]
	v_pk_fma_f16 v55, v144, v155, v55 op_sel:[0,1,0]
	;; [unrolled: 1-line block ×3, first 2 shown]
	v_pk_fma_f16 v72, v122, v116, v72 op_sel_hi:[1,0,1]
	v_pk_fma_f16 v65, v123, v116, v65 op_sel_hi:[1,0,1]
	v_pk_fma_f16 v8, v123, v116, v8 op_sel:[0,1,0]
	v_pk_fma_f16 v9, v123, v117, v9 op_sel_hi:[1,0,1]
	v_pk_fma_f16 v66, v124, v117, v66 op_sel_hi:[1,0,1]
	;; [unrolled: 1-line block ×3, first 2 shown]
	v_pk_fma_f16 v4, v125, v116, v4 op_sel:[0,1,0]
	v_pk_fma_f16 v6, v125, v117, v6 op_sel_hi:[1,0,1]
	v_pk_fma_f16 v5, v125, v117, v5 op_sel:[0,1,0]
	v_pk_fma_f16 v77, v98, v113, v77 op_sel_hi:[1,0,1]
	v_pk_fma_f16 v61, v100, v112, v61 op_sel_hi:[1,0,1]
	v_pk_fma_f16 v62, v100, v112, v62 op_sel:[0,1,0]
	v_pk_fma_f16 v76, v122, v116, v76 op_sel:[0,1,0]
	v_pk_fma_f16 v7, v126, v150, v7 op_sel_hi:[1,0,1]
	v_pk_fma_f16 v10, v126, v150, v10 op_sel:[0,1,0]
	v_pk_fma_f16 v11, v126, v151, v11 op_sel_hi:[1,0,1]
	;; [unrolled: 2-line block ×3, first 2 shown]
	v_pk_fma_f16 v69, v128, v150, v69 op_sel_hi:[1,0,1]
	v_pk_fma_f16 v70, v128, v150, v70 op_sel:[0,1,0]
	v_pk_fma_f16 v73, v128, v151, v73 op_sel_hi:[1,0,1]
	v_pk_fma_f16 v71, v129, v150, v71 op_sel_hi:[1,0,1]
	v_pk_fma_f16 v74, v129, v150, v74 op_sel:[0,1,0]
	v_pk_fma_f16 v75, v129, v151, v75 op_sel_hi:[1,0,1]
	v_pk_fma_f16 v78, v146, v155, v57 op_sel:[0,1,0]
	v_pk_fma_f16 v79, v147, v155, v58 op_sel:[0,1,0]
	v_pk_fma_f16 v84, v148, v155, v59 op_sel:[0,1,0]
	v_pk_fma_f16 v90, v158, v157, v53 op_sel:[0,1,0]
	v_pk_fma_f16 v91, v159, v156, v60 op_sel_hi:[1,0,1]
	v_pk_fma_f16 v93, v159, v157, v54 op_sel:[0,1,0]
	v_pk_fma_f16 v96, v160, v157, v55 op_sel:[0,1,0]
	;; [unrolled: 1-line block ×3, first 2 shown]
	s_waitcnt vmcnt(3)
	ds_store_b128 v42, v[166:169]
	s_waitcnt vmcnt(2)
	ds_store_b128 v43, v[170:173]
	;; [unrolled: 2-line block ×4, first 2 shown]
	s_waitcnt lgkmcnt(0)
	s_barrier
	buffer_gl0_inv
	ds_load_2addr_b64 v[53:56], v89 offset1:32
	ds_load_b128 v[57:60], v40 offset:640
	v_pk_fma_f16 v72, v130, v150, v72 op_sel_hi:[1,0,1]
	v_pk_fma_f16 v65, v131, v150, v65 op_sel_hi:[1,0,1]
	v_pk_fma_f16 v8, v131, v150, v8 op_sel:[0,1,0]
	v_pk_fma_f16 v9, v131, v151, v9 op_sel_hi:[1,0,1]
	v_pk_fma_f16 v66, v132, v151, v66 op_sel_hi:[1,0,1]
	v_pk_fma_f16 v67, v133, v150, v67 op_sel_hi:[1,0,1]
	v_pk_fma_f16 v4, v133, v150, v4 op_sel:[0,1,0]
	v_pk_fma_f16 v6, v133, v151, v6 op_sel_hi:[1,0,1]
	v_pk_fma_f16 v5, v133, v151, v5 op_sel:[0,1,0]
	v_pk_fma_f16 v77, v106, v115, v77 op_sel_hi:[1,0,1]
	v_pk_fma_f16 v61, v108, v114, v61 op_sel_hi:[1,0,1]
	v_pk_fma_f16 v62, v108, v114, v62 op_sel:[0,1,0]
	v_pk_fma_f16 v76, v130, v150, v76 op_sel:[0,1,0]
	v_pk_fma_f16 v7, v134, v152, v7 op_sel_hi:[1,0,1]
	v_pk_fma_f16 v10, v134, v152, v10 op_sel:[0,1,0]
	v_pk_fma_f16 v11, v134, v153, v11 op_sel_hi:[1,0,1]
	v_pk_fma_f16 v63, v135, v152, v63 op_sel:[0,1,0]
	v_pk_fma_f16 v68, v135, v153, v68 op_sel_hi:[1,0,1]
	v_pk_fma_f16 v69, v136, v152, v69 op_sel_hi:[1,0,1]
	v_pk_fma_f16 v70, v136, v152, v70 op_sel:[0,1,0]
	v_pk_fma_f16 v73, v136, v153, v73 op_sel_hi:[1,0,1]
	v_pk_fma_f16 v71, v137, v152, v71 op_sel_hi:[1,0,1]
	v_pk_fma_f16 v74, v137, v152, v74 op_sel:[0,1,0]
	v_pk_fma_f16 v75, v137, v153, v75 op_sel_hi:[1,0,1]
	v_pk_fma_f16 v72, v138, v152, v72 op_sel_hi:[1,0,1]
	v_pk_fma_f16 v65, v139, v152, v65 op_sel_hi:[1,0,1]
	v_pk_fma_f16 v8, v139, v152, v8 op_sel:[0,1,0]
	v_pk_fma_f16 v9, v139, v153, v9 op_sel_hi:[1,0,1]
	v_pk_fma_f16 v66, v140, v153, v66 op_sel_hi:[1,0,1]
	v_pk_fma_f16 v67, v141, v152, v67 op_sel_hi:[1,0,1]
	v_pk_fma_f16 v4, v141, v152, v4 op_sel:[0,1,0]
	v_pk_fma_f16 v6, v141, v153, v6 op_sel_hi:[1,0,1]
	v_pk_fma_f16 v5, v141, v153, v5 op_sel:[0,1,0]
	v_pk_fma_f16 v77, v122, v117, v77 op_sel_hi:[1,0,1]
	v_pk_fma_f16 v61, v124, v116, v61 op_sel_hi:[1,0,1]
	v_pk_fma_f16 v62, v124, v116, v62 op_sel:[0,1,0]
	v_pk_fma_f16 v76, v138, v152, v76 op_sel:[0,1,0]
	v_pk_fma_f16 v7, v142, v154, v7 op_sel_hi:[1,0,1]
	v_pk_fma_f16 v10, v142, v154, v10 op_sel:[0,1,0]
	v_pk_fma_f16 v11, v142, v155, v11 op_sel_hi:[1,0,1]
	v_pk_fma_f16 v63, v143, v154, v63 op_sel:[0,1,0]
	v_pk_fma_f16 v68, v143, v155, v68 op_sel_hi:[1,0,1]
	v_pk_fma_f16 v69, v144, v154, v69 op_sel_hi:[1,0,1]
	v_pk_fma_f16 v70, v144, v154, v70 op_sel:[0,1,0]
	v_pk_fma_f16 v73, v144, v155, v73 op_sel_hi:[1,0,1]
	v_pk_fma_f16 v71, v145, v154, v71 op_sel_hi:[1,0,1]
	v_pk_fma_f16 v74, v145, v154, v74 op_sel:[0,1,0]
	v_pk_fma_f16 v75, v145, v155, v75 op_sel_hi:[1,0,1]
	v_pk_fma_f16 v72, v146, v154, v72 op_sel_hi:[1,0,1]
	v_pk_fma_f16 v65, v147, v154, v65 op_sel_hi:[1,0,1]
	v_pk_fma_f16 v8, v147, v154, v8 op_sel:[0,1,0]
	v_pk_fma_f16 v9, v147, v155, v9 op_sel_hi:[1,0,1]
	v_pk_fma_f16 v66, v148, v155, v66 op_sel_hi:[1,0,1]
	v_pk_fma_f16 v67, v149, v154, v67 op_sel_hi:[1,0,1]
	v_pk_fma_f16 v4, v149, v154, v4 op_sel:[0,1,0]
	v_pk_fma_f16 v6, v149, v155, v6 op_sel_hi:[1,0,1]
	v_pk_fma_f16 v5, v149, v155, v5 op_sel:[0,1,0]
	v_pk_fma_f16 v77, v130, v151, v77 op_sel_hi:[1,0,1]
	v_pk_fma_f16 v61, v132, v150, v61 op_sel_hi:[1,0,1]
	v_pk_fma_f16 v62, v132, v150, v62 op_sel:[0,1,0]
	v_pk_fma_f16 v76, v146, v154, v76 op_sel:[0,1,0]
	v_pk_fma_f16 v85, v158, v156, v7 op_sel_hi:[1,0,1]
	v_pk_fma_f16 v86, v158, v156, v10 op_sel:[0,1,0]
	v_pk_fma_f16 v87, v158, v157, v11 op_sel_hi:[1,0,1]
	v_pk_fma_f16 v63, v159, v156, v63 op_sel:[0,1,0]
	v_pk_fma_f16 v92, v159, v157, v68 op_sel_hi:[1,0,1]
	v_pk_fma_f16 v94, v160, v156, v69 op_sel_hi:[1,0,1]
	v_pk_fma_f16 v95, v160, v156, v70 op_sel:[0,1,0]
	v_pk_fma_f16 v73, v160, v157, v73 op_sel_hi:[1,0,1]
	v_pk_fma_f16 v97, v161, v156, v71 op_sel_hi:[1,0,1]
	v_pk_fma_f16 v74, v161, v156, v74 op_sel:[0,1,0]
	v_pk_fma_f16 v98, v161, v157, v75 op_sel_hi:[1,0,1]
	v_pk_fma_f16 v100, v162, v156, v72 op_sel_hi:[1,0,1]
	v_pk_fma_f16 v102, v163, v156, v65 op_sel_hi:[1,0,1]
	v_pk_fma_f16 v103, v163, v156, v8 op_sel:[0,1,0]
	v_pk_fma_f16 v104, v163, v157, v9 op_sel_hi:[1,0,1]
	v_pk_fma_f16 v105, v164, v157, v66 op_sel_hi:[1,0,1]
	;; [unrolled: 1-line block ×3, first 2 shown]
	v_pk_fma_f16 v107, v165, v156, v4 op_sel:[0,1,0]
	v_pk_fma_f16 v108, v165, v157, v6 op_sel_hi:[1,0,1]
	v_pk_fma_f16 v109, v165, v157, v5 op_sel:[0,1,0]
	ds_load_2addr_b64 v[65:68], v89 offset0:64 offset1:96
	ds_load_b128 v[69:72], v40 offset:656
	ds_load_b128 v[8:11], v40 offset:672
	;; [unrolled: 1-line block ×3, first 2 shown]
	v_pk_fma_f16 v77, v138, v153, v77 op_sel_hi:[1,0,1]
	v_pk_fma_f16 v61, v140, v152, v61 op_sel_hi:[1,0,1]
	v_pk_fma_f16 v62, v140, v152, v62 op_sel:[0,1,0]
	v_pk_fma_f16 v101, v162, v156, v76 op_sel:[0,1,0]
	s_waitcnt lgkmcnt(4)
	v_pk_fma_f16 v85, v53, v57, v85 op_sel_hi:[1,0,1]
	v_pk_fma_f16 v86, v53, v57, v86 op_sel:[0,1,0]
	v_pk_fma_f16 v87, v53, v58, v87 op_sel_hi:[1,0,1]
	v_pk_fma_f16 v90, v53, v58, v90 op_sel:[0,1,0]
	;; [unrolled: 2-line block ×7, first 2 shown]
	ds_load_2addr_b64 v[73:76], v89 offset0:128 offset1:160
	v_pk_fma_f16 v98, v56, v58, v98 op_sel_hi:[1,0,1]
	v_pk_fma_f16 v99, v56, v58, v99 op_sel:[0,1,0]
	ds_load_2addr_b64 v[53:56], v89 offset0:192 offset1:224
	v_pk_fma_f16 v77, v146, v155, v77 op_sel_hi:[1,0,1]
	v_pk_fma_f16 v61, v148, v154, v61 op_sel_hi:[1,0,1]
	v_pk_fma_f16 v62, v148, v154, v62 op_sel:[0,1,0]
	v_pk_fma_f16 v78, v162, v157, v78 op_sel:[0,1,0]
	;; [unrolled: 1-line block ×3, first 2 shown]
	v_pk_fma_f16 v77, v162, v157, v77 op_sel_hi:[1,0,1]
	v_pk_fma_f16 v61, v164, v156, v61 op_sel_hi:[1,0,1]
	v_pk_fma_f16 v62, v164, v156, v62 op_sel:[0,1,0]
	v_pk_fma_f16 v84, v164, v157, v84 op_sel:[0,1,0]
	s_waitcnt lgkmcnt(5)
	v_pk_fma_f16 v100, v65, v57, v100 op_sel_hi:[1,0,1]
	v_pk_fma_f16 v101, v65, v57, v101 op_sel:[0,1,0]
	v_pk_fma_f16 v77, v65, v58, v77 op_sel_hi:[1,0,1]
	v_pk_fma_f16 v78, v65, v58, v78 op_sel:[0,1,0]
	;; [unrolled: 2-line block ×8, first 2 shown]
	ds_load_2addr_b64 v[65:68], v88 offset1:32
	s_waitcnt lgkmcnt(2)
	v_pk_fma_f16 v85, v73, v59, v85 op_sel_hi:[1,0,1]
	v_pk_fma_f16 v86, v73, v59, v86 op_sel:[0,1,0]
	v_pk_fma_f16 v87, v73, v60, v87 op_sel_hi:[1,0,1]
	v_pk_fma_f16 v90, v73, v60, v90 op_sel:[0,1,0]
	;; [unrolled: 2-line block ×8, first 2 shown]
	s_waitcnt lgkmcnt(1)
	v_pk_fma_f16 v100, v53, v59, v100 op_sel_hi:[1,0,1]
	v_pk_fma_f16 v101, v53, v59, v101 op_sel:[0,1,0]
	v_pk_fma_f16 v77, v53, v60, v77 op_sel_hi:[1,0,1]
	v_pk_fma_f16 v78, v53, v60, v78 op_sel:[0,1,0]
	;; [unrolled: 2-line block ×7, first 2 shown]
	ds_load_2addr_b64 v[73:76], v88 offset0:64 offset1:96
	v_pk_fma_f16 v107, v56, v60, v107 op_sel_hi:[1,0,1]
	v_pk_fma_f16 v110, v56, v60, v58 op_sel:[0,1,0]
	ds_load_2addr_b64 v[53:56], v88 offset0:128 offset1:160
	s_waitcnt lgkmcnt(2)
	v_pk_fma_f16 v85, v65, v69, v85 op_sel_hi:[1,0,1]
	v_pk_fma_f16 v86, v65, v69, v86 op_sel:[0,1,0]
	v_pk_fma_f16 v87, v65, v70, v87 op_sel_hi:[1,0,1]
	v_pk_fma_f16 v65, v65, v70, v90 op_sel:[0,1,0]
	;; [unrolled: 2-line block ×8, first 2 shown]
	s_waitcnt lgkmcnt(1)
	v_pk_fma_f16 v99, v73, v69, v100 op_sel_hi:[1,0,1]
	v_pk_fma_f16 v100, v73, v69, v101 op_sel:[0,1,0]
	v_pk_fma_f16 v77, v73, v70, v77 op_sel_hi:[1,0,1]
	v_pk_fma_f16 v73, v73, v70, v78 op_sel:[0,1,0]
	;; [unrolled: 2-line block ×7, first 2 shown]
	ds_load_2addr_b64 v[57:60], v88 offset0:192 offset1:224
	v_pk_fma_f16 v103, v76, v70, v107 op_sel_hi:[1,0,1]
	v_pk_fma_f16 v70, v76, v70, v110 op_sel:[0,1,0]
	s_waitcnt lgkmcnt(1)
	v_pk_fma_f16 v76, v53, v71, v85 op_sel_hi:[1,0,1]
	v_pk_fma_f16 v85, v53, v71, v86 op_sel:[0,1,0]
	v_pk_fma_f16 v86, v53, v72, v87 op_sel_hi:[1,0,1]
	v_pk_fma_f16 v87, v53, v72, v65 op_sel:[0,1,0]
	v_pk_fma_f16 v104, v54, v72, v66 op_sel:[0,1,0]
	;; [unrolled: 1-line block ×3, first 2 shown]
	ds_load_2addr_b64 v[65:68], v51 offset1:32
	v_pk_fma_f16 v90, v54, v71, v90 op_sel_hi:[1,0,1]
	v_pk_fma_f16 v63, v54, v71, v63 op_sel:[0,1,0]
	v_pk_fma_f16 v91, v54, v72, v91 op_sel_hi:[1,0,1]
	v_pk_fma_f16 v92, v55, v71, v92 op_sel_hi:[1,0,1]
	v_pk_fma_f16 v93, v55, v71, v93 op_sel:[0,1,0]
	v_pk_fma_f16 v94, v55, v72, v94 op_sel_hi:[1,0,1]
	;; [unrolled: 3-line block ×3, first 2 shown]
	v_pk_fma_f16 v98, v56, v72, v98 op_sel:[0,1,0]
	ds_load_2addr_b64 v[53:56], v51 offset0:64 offset1:96
	s_or_b32 s8, s3, 0x60
	s_waitcnt lgkmcnt(2)
	v_pk_fma_f16 v99, v57, v71, v99 op_sel_hi:[1,0,1]
	v_pk_fma_f16 v100, v57, v71, v100 op_sel:[0,1,0]
	v_pk_fma_f16 v77, v57, v72, v77 op_sel_hi:[1,0,1]
	v_pk_fma_f16 v73, v57, v72, v73 op_sel:[0,1,0]
	;; [unrolled: 2-line block ×8, first 2 shown]
	s_waitcnt lgkmcnt(1)
	v_pk_fma_f16 v72, v65, v8, v76 op_sel_hi:[1,0,1]
	v_pk_fma_f16 v76, v65, v8, v85 op_sel:[0,1,0]
	v_pk_fma_f16 v85, v65, v9, v86 op_sel_hi:[1,0,1]
	v_pk_fma_f16 v86, v65, v9, v87 op_sel:[0,1,0]
	;; [unrolled: 2-line block ×7, first 2 shown]
	ds_load_2addr_b64 v[57:60], v51 offset0:128 offset1:160
	v_pk_fma_f16 v97, v68, v9, v97 op_sel_hi:[1,0,1]
	v_pk_fma_f16 v98, v68, v9, v98 op_sel:[0,1,0]
	ds_load_2addr_b64 v[65:68], v51 offset0:192 offset1:224
	s_mul_hi_i32 s19, s8, s10
	s_mul_i32 s18, s8, s10
	s_waitcnt lgkmcnt(2)
	v_pk_fma_f16 v99, v53, v8, v99 op_sel_hi:[1,0,1]
	s_lshl_b64 s[18:19], s[18:19], 2
	v_pk_fma_f16 v100, v53, v8, v100 op_sel:[0,1,0]
	s_add_u32 s8, s11, s18
	v_pk_fma_f16 v77, v53, v9, v77 op_sel_hi:[1,0,1]
	v_pk_fma_f16 v53, v53, v9, v73 op_sel:[0,1,0]
	v_pk_fma_f16 v73, v54, v8, v78 op_sel_hi:[1,0,1]
	v_pk_fma_f16 v78, v54, v8, v101 op_sel:[0,1,0]
	;; [unrolled: 2-line block ×4, first 2 shown]
	s_addc_u32 s18, s17, s19
	v_add_co_u32 v8, vcc_lo, s8, v27
	v_pk_fma_f16 v182, v54, v9, v102 op_sel_hi:[1,0,1]
	v_pk_fma_f16 v183, v54, v9, v74 op_sel:[0,1,0]
	v_pk_fma_f16 v79, v55, v9, v79 op_sel_hi:[1,0,1]
	v_pk_fma_f16 v186, v55, v9, v75 op_sel:[0,1,0]
	;; [unrolled: 2-line block ×3, first 2 shown]
	v_add_co_ci_u32_e32 v9, vcc_lo, s18, v28, vcc_lo
	v_add_co_u32 v61, vcc_lo, s8, v29
	v_add_co_ci_u32_e32 v62, vcc_lo, s18, v30, vcc_lo
	v_add_co_u32 v8, vcc_lo, v8, v38
	s_delay_alu instid0(VALU_DEP_4) | instskip(NEXT) | instid1(VALU_DEP_4)
	v_add_co_ci_u32_e32 v9, vcc_lo, 0, v9, vcc_lo
	v_add_co_u32 v61, vcc_lo, v61, v38
	s_delay_alu instid0(VALU_DEP_4)
	v_add_co_ci_u32_e32 v62, vcc_lo, 0, v62, vcc_lo
	s_waitcnt lgkmcnt(1)
	v_pk_fma_f16 v191, v57, v10, v72 op_sel_hi:[1,0,1]
	v_pk_fma_f16 v192, v57, v10, v76 op_sel:[0,1,0]
	v_pk_fma_f16 v193, v57, v11, v85 op_sel_hi:[1,0,1]
	v_pk_fma_f16 v194, v57, v11, v86 op_sel:[0,1,0]
	;; [unrolled: 2-line block ×8, first 2 shown]
	s_waitcnt lgkmcnt(0)
	v_pk_fma_f16 v206, v65, v10, v99 op_sel_hi:[1,0,1]
	v_pk_fma_f16 v207, v65, v10, v100 op_sel:[0,1,0]
	v_pk_fma_f16 v77, v65, v11, v77 op_sel_hi:[1,0,1]
	v_pk_fma_f16 v65, v65, v11, v53 op_sel:[0,1,0]
	v_pk_fma_f16 v208, v66, v10, v73 op_sel_hi:[1,0,1]
	ds_load_2addr_b64 v[53:56], v52 offset1:32
	ds_load_2addr_b64 v[57:60], v52 offset0:64 offset1:96
	ds_load_2addr_b64 v[69:72], v52 offset0:128 offset1:160
	;; [unrolled: 1-line block ×3, first 2 shown]
	ds_load_2addr_b64 v[84:87], v50 offset1:32
	ds_load_2addr_b64 v[90:93], v50 offset0:64 offset1:96
	ds_load_2addr_b64 v[94:97], v50 offset0:128 offset1:160
	;; [unrolled: 1-line block ×3, first 2 shown]
	ds_load_2addr_b64 v[102:105], v49 offset1:32
	ds_load_2addr_b64 v[106:109], v49 offset0:64 offset1:96
	ds_load_b128 v[110:113], v40 offset:704
	ds_load_b128 v[114:117], v40 offset:720
	ds_load_2addr_b64 v[118:121], v49 offset0:128 offset1:160
	ds_load_2addr_b64 v[122:125], v49 offset0:192 offset1:224
	ds_load_2addr_b64 v[126:129], v48 offset1:32
	ds_load_2addr_b64 v[130:133], v48 offset0:64 offset1:96
	ds_load_2addr_b64 v[134:137], v48 offset0:128 offset1:160
	;; [unrolled: 1-line block ×3, first 2 shown]
	ds_load_2addr_b64 v[142:145], v47 offset1:32
	ds_load_2addr_b64 v[146:149], v47 offset0:64 offset1:96
	ds_load_b128 v[150:153], v40 offset:736
	ds_load_b128 v[154:157], v40 offset:752
	ds_load_2addr_b64 v[158:161], v47 offset0:128 offset1:160
	ds_load_2addr_b64 v[162:165], v47 offset0:192 offset1:224
	s_waitcnt lgkmcnt(0)
	s_barrier
	buffer_gl0_inv
	s_clause 0x3
	global_load_b128 v[166:169], v[8:9], off
	global_load_b128 v[170:173], v[8:9], off offset:512
	global_load_b128 v[174:177], v[61:62], off
	global_load_b128 v[178:181], v[61:62], off offset:512
	v_pk_fma_f16 v8, v66, v10, v78 op_sel:[0,1,0]
	v_pk_fma_f16 v9, v66, v11, v182 op_sel_hi:[1,0,1]
	v_pk_fma_f16 v61, v66, v11, v183 op_sel:[0,1,0]
	v_pk_fma_f16 v62, v67, v10, v184 op_sel_hi:[1,0,1]
	;; [unrolled: 2-line block ×24, first 2 shown]
	v_pk_fma_f16 v54, v70, v7, v54 op_sel:[0,1,0]
	v_pk_fma_f16 v55, v71, v7, v55 op_sel:[0,1,0]
	;; [unrolled: 1-line block ×4, first 2 shown]
	v_pk_fma_f16 v78, v70, v7, v186 op_sel_hi:[1,0,1]
	v_pk_fma_f16 v70, v71, v6, v187 op_sel_hi:[1,0,1]
	v_pk_fma_f16 v79, v71, v6, v188 op_sel:[0,1,0]
	v_pk_fma_f16 v182, v71, v7, v189 op_sel_hi:[1,0,1]
	v_pk_fma_f16 v71, v72, v6, v190 op_sel_hi:[1,0,1]
	v_pk_fma_f16 v183, v72, v6, v191 op_sel:[0,1,0]
	;; [unrolled: 3-line block ×3, first 2 shown]
	v_pk_fma_f16 v57, v73, v7, v57 op_sel:[0,1,0]
	v_pk_fma_f16 v65, v74, v6, v65 op_sel_hi:[1,0,1]
	v_pk_fma_f16 v8, v74, v6, v8 op_sel:[0,1,0]
	v_pk_fma_f16 v58, v74, v7, v58 op_sel:[0,1,0]
	v_pk_fma_f16 v61, v75, v6, v61 op_sel_hi:[1,0,1]
	v_pk_fma_f16 v62, v75, v6, v62 op_sel:[0,1,0]
	;; [unrolled: 3-line block ×3, first 2 shown]
	v_pk_fma_f16 v6, v76, v7, v10 op_sel_hi:[1,0,1]
	v_pk_fma_f16 v10, v84, v110, v60 op_sel:[0,1,0]
	v_pk_fma_f16 v53, v84, v111, v53 op_sel:[0,1,0]
	v_pk_fma_f16 v60, v85, v110, v69 op_sel_hi:[1,0,1]
	v_pk_fma_f16 v54, v85, v111, v54 op_sel:[0,1,0]
	v_pk_fma_f16 v55, v86, v111, v55 op_sel:[0,1,0]
	;; [unrolled: 1-line block ×7, first 2 shown]
	v_pk_fma_f16 v60, v95, v112, v60 op_sel_hi:[1,0,1]
	v_pk_fma_f16 v54, v95, v113, v54 op_sel:[0,1,0]
	v_pk_fma_f16 v55, v96, v113, v55 op_sel:[0,1,0]
	;; [unrolled: 1-line block ×7, first 2 shown]
	v_pk_fma_f16 v60, v103, v114, v60 op_sel_hi:[1,0,1]
	v_pk_fma_f16 v54, v103, v115, v54 op_sel:[0,1,0]
	v_pk_fma_f16 v55, v104, v115, v55 op_sel:[0,1,0]
	;; [unrolled: 1-line block ×3, first 2 shown]
	v_pk_fma_f16 v9, v74, v7, v9 op_sel_hi:[1,0,1]
	v_pk_fma_f16 v66, v75, v7, v66 op_sel_hi:[1,0,1]
	v_pk_fma_f16 v5, v76, v7, v5 op_sel:[0,1,0]
	v_pk_fma_f16 v77, v73, v7, v77 op_sel_hi:[1,0,1]
	v_pk_fma_f16 v7, v84, v110, v11 op_sel_hi:[1,0,1]
	;; [unrolled: 1-line block ×3, first 2 shown]
	v_pk_fma_f16 v63, v85, v110, v63 op_sel:[0,1,0]
	v_pk_fma_f16 v68, v85, v111, v78 op_sel_hi:[1,0,1]
	v_pk_fma_f16 v69, v86, v110, v70 op_sel_hi:[1,0,1]
	v_pk_fma_f16 v70, v86, v110, v79 op_sel:[0,1,0]
	v_pk_fma_f16 v73, v86, v111, v182 op_sel_hi:[1,0,1]
	v_pk_fma_f16 v71, v87, v110, v71 op_sel_hi:[1,0,1]
	v_pk_fma_f16 v74, v87, v110, v183 op_sel:[0,1,0]
	v_pk_fma_f16 v75, v87, v111, v184 op_sel_hi:[1,0,1]
	v_pk_fma_f16 v57, v106, v115, v57 op_sel:[0,1,0]
	v_pk_fma_f16 v58, v107, v115, v58 op_sel:[0,1,0]
	;; [unrolled: 1-line block ×4, first 2 shown]
	v_pk_fma_f16 v60, v119, v116, v60 op_sel_hi:[1,0,1]
	v_pk_fma_f16 v54, v119, v117, v54 op_sel:[0,1,0]
	v_pk_fma_f16 v55, v120, v117, v55 op_sel:[0,1,0]
	;; [unrolled: 1-line block ×3, first 2 shown]
	v_pk_fma_f16 v72, v90, v110, v72 op_sel_hi:[1,0,1]
	v_pk_fma_f16 v65, v91, v110, v65 op_sel_hi:[1,0,1]
	v_pk_fma_f16 v8, v91, v110, v8 op_sel:[0,1,0]
	v_pk_fma_f16 v9, v91, v111, v9 op_sel_hi:[1,0,1]
	v_pk_fma_f16 v66, v92, v111, v66 op_sel_hi:[1,0,1]
	;; [unrolled: 1-line block ×3, first 2 shown]
	v_pk_fma_f16 v4, v93, v110, v4 op_sel:[0,1,0]
	v_pk_fma_f16 v6, v93, v111, v6 op_sel_hi:[1,0,1]
	v_pk_fma_f16 v5, v93, v111, v5 op_sel:[0,1,0]
	v_pk_fma_f16 v76, v90, v110, v185 op_sel:[0,1,0]
	v_pk_fma_f16 v7, v94, v112, v7 op_sel_hi:[1,0,1]
	v_pk_fma_f16 v10, v94, v112, v10 op_sel:[0,1,0]
	v_pk_fma_f16 v11, v94, v113, v11 op_sel_hi:[1,0,1]
	;; [unrolled: 2-line block ×3, first 2 shown]
	v_pk_fma_f16 v69, v96, v112, v69 op_sel_hi:[1,0,1]
	v_pk_fma_f16 v70, v96, v112, v70 op_sel:[0,1,0]
	v_pk_fma_f16 v73, v96, v113, v73 op_sel_hi:[1,0,1]
	v_pk_fma_f16 v71, v97, v112, v71 op_sel_hi:[1,0,1]
	v_pk_fma_f16 v74, v97, v112, v74 op_sel:[0,1,0]
	v_pk_fma_f16 v75, v97, v113, v75 op_sel_hi:[1,0,1]
	v_pk_fma_f16 v57, v122, v117, v57 op_sel:[0,1,0]
	v_pk_fma_f16 v58, v123, v117, v58 op_sel:[0,1,0]
	;; [unrolled: 1-line block ×4, first 2 shown]
	v_pk_fma_f16 v60, v127, v150, v60 op_sel_hi:[1,0,1]
	v_pk_fma_f16 v54, v127, v151, v54 op_sel:[0,1,0]
	v_pk_fma_f16 v55, v128, v151, v55 op_sel:[0,1,0]
	;; [unrolled: 1-line block ×3, first 2 shown]
	v_pk_fma_f16 v72, v98, v112, v72 op_sel_hi:[1,0,1]
	v_pk_fma_f16 v65, v99, v112, v65 op_sel_hi:[1,0,1]
	v_pk_fma_f16 v8, v99, v112, v8 op_sel:[0,1,0]
	v_pk_fma_f16 v9, v99, v113, v9 op_sel_hi:[1,0,1]
	v_pk_fma_f16 v66, v100, v113, v66 op_sel_hi:[1,0,1]
	;; [unrolled: 1-line block ×3, first 2 shown]
	v_pk_fma_f16 v4, v101, v112, v4 op_sel:[0,1,0]
	v_pk_fma_f16 v6, v101, v113, v6 op_sel_hi:[1,0,1]
	v_pk_fma_f16 v5, v101, v113, v5 op_sel:[0,1,0]
	v_pk_fma_f16 v76, v98, v112, v76 op_sel:[0,1,0]
	v_pk_fma_f16 v7, v102, v114, v7 op_sel_hi:[1,0,1]
	v_pk_fma_f16 v10, v102, v114, v10 op_sel:[0,1,0]
	v_pk_fma_f16 v11, v102, v115, v11 op_sel_hi:[1,0,1]
	;; [unrolled: 2-line block ×3, first 2 shown]
	v_pk_fma_f16 v69, v104, v114, v69 op_sel_hi:[1,0,1]
	v_pk_fma_f16 v70, v104, v114, v70 op_sel:[0,1,0]
	v_pk_fma_f16 v73, v104, v115, v73 op_sel_hi:[1,0,1]
	v_pk_fma_f16 v71, v105, v114, v71 op_sel_hi:[1,0,1]
	v_pk_fma_f16 v74, v105, v114, v74 op_sel:[0,1,0]
	v_pk_fma_f16 v75, v105, v115, v75 op_sel_hi:[1,0,1]
	v_pk_fma_f16 v57, v130, v151, v57 op_sel:[0,1,0]
	v_pk_fma_f16 v58, v131, v151, v58 op_sel:[0,1,0]
	;; [unrolled: 1-line block ×4, first 2 shown]
	v_pk_fma_f16 v60, v135, v152, v60 op_sel_hi:[1,0,1]
	v_pk_fma_f16 v54, v135, v153, v54 op_sel:[0,1,0]
	v_pk_fma_f16 v55, v136, v153, v55 op_sel:[0,1,0]
	;; [unrolled: 1-line block ×3, first 2 shown]
	v_pk_fma_f16 v72, v106, v114, v72 op_sel_hi:[1,0,1]
	v_pk_fma_f16 v65, v107, v114, v65 op_sel_hi:[1,0,1]
	v_pk_fma_f16 v8, v107, v114, v8 op_sel:[0,1,0]
	v_pk_fma_f16 v9, v107, v115, v9 op_sel_hi:[1,0,1]
	v_pk_fma_f16 v66, v108, v115, v66 op_sel_hi:[1,0,1]
	;; [unrolled: 1-line block ×3, first 2 shown]
	v_pk_fma_f16 v4, v109, v114, v4 op_sel:[0,1,0]
	v_pk_fma_f16 v6, v109, v115, v6 op_sel_hi:[1,0,1]
	v_pk_fma_f16 v5, v109, v115, v5 op_sel:[0,1,0]
	v_pk_fma_f16 v77, v90, v111, v77 op_sel_hi:[1,0,1]
	v_pk_fma_f16 v61, v92, v110, v61 op_sel_hi:[1,0,1]
	v_pk_fma_f16 v62, v92, v110, v62 op_sel:[0,1,0]
	v_pk_fma_f16 v76, v106, v114, v76 op_sel:[0,1,0]
	v_pk_fma_f16 v7, v118, v116, v7 op_sel_hi:[1,0,1]
	v_pk_fma_f16 v10, v118, v116, v10 op_sel:[0,1,0]
	v_pk_fma_f16 v11, v118, v117, v11 op_sel_hi:[1,0,1]
	;; [unrolled: 2-line block ×3, first 2 shown]
	v_pk_fma_f16 v69, v120, v116, v69 op_sel_hi:[1,0,1]
	v_pk_fma_f16 v70, v120, v116, v70 op_sel:[0,1,0]
	v_pk_fma_f16 v73, v120, v117, v73 op_sel_hi:[1,0,1]
	v_pk_fma_f16 v71, v121, v116, v71 op_sel_hi:[1,0,1]
	v_pk_fma_f16 v74, v121, v116, v74 op_sel:[0,1,0]
	v_pk_fma_f16 v75, v121, v117, v75 op_sel_hi:[1,0,1]
	v_pk_fma_f16 v57, v138, v153, v57 op_sel:[0,1,0]
	v_pk_fma_f16 v58, v139, v153, v58 op_sel:[0,1,0]
	;; [unrolled: 1-line block ×4, first 2 shown]
	v_pk_fma_f16 v60, v143, v154, v60 op_sel_hi:[1,0,1]
	v_pk_fma_f16 v54, v143, v155, v54 op_sel:[0,1,0]
	v_pk_fma_f16 v55, v144, v155, v55 op_sel:[0,1,0]
	;; [unrolled: 1-line block ×3, first 2 shown]
	v_pk_fma_f16 v72, v122, v116, v72 op_sel_hi:[1,0,1]
	v_pk_fma_f16 v65, v123, v116, v65 op_sel_hi:[1,0,1]
	v_pk_fma_f16 v8, v123, v116, v8 op_sel:[0,1,0]
	v_pk_fma_f16 v9, v123, v117, v9 op_sel_hi:[1,0,1]
	v_pk_fma_f16 v66, v124, v117, v66 op_sel_hi:[1,0,1]
	;; [unrolled: 1-line block ×3, first 2 shown]
	v_pk_fma_f16 v4, v125, v116, v4 op_sel:[0,1,0]
	v_pk_fma_f16 v6, v125, v117, v6 op_sel_hi:[1,0,1]
	v_pk_fma_f16 v5, v125, v117, v5 op_sel:[0,1,0]
	v_pk_fma_f16 v77, v98, v113, v77 op_sel_hi:[1,0,1]
	v_pk_fma_f16 v61, v100, v112, v61 op_sel_hi:[1,0,1]
	v_pk_fma_f16 v62, v100, v112, v62 op_sel:[0,1,0]
	v_pk_fma_f16 v76, v122, v116, v76 op_sel:[0,1,0]
	v_pk_fma_f16 v7, v126, v150, v7 op_sel_hi:[1,0,1]
	v_pk_fma_f16 v10, v126, v150, v10 op_sel:[0,1,0]
	v_pk_fma_f16 v11, v126, v151, v11 op_sel_hi:[1,0,1]
	;; [unrolled: 2-line block ×3, first 2 shown]
	v_pk_fma_f16 v69, v128, v150, v69 op_sel_hi:[1,0,1]
	v_pk_fma_f16 v70, v128, v150, v70 op_sel:[0,1,0]
	v_pk_fma_f16 v73, v128, v151, v73 op_sel_hi:[1,0,1]
	v_pk_fma_f16 v71, v129, v150, v71 op_sel_hi:[1,0,1]
	v_pk_fma_f16 v74, v129, v150, v74 op_sel:[0,1,0]
	v_pk_fma_f16 v75, v129, v151, v75 op_sel_hi:[1,0,1]
	v_pk_fma_f16 v78, v146, v155, v57 op_sel:[0,1,0]
	v_pk_fma_f16 v79, v147, v155, v58 op_sel:[0,1,0]
	;; [unrolled: 1-line block ×4, first 2 shown]
	v_pk_fma_f16 v91, v159, v156, v60 op_sel_hi:[1,0,1]
	v_pk_fma_f16 v93, v159, v157, v54 op_sel:[0,1,0]
	v_pk_fma_f16 v96, v160, v157, v55 op_sel:[0,1,0]
	;; [unrolled: 1-line block ×3, first 2 shown]
	s_waitcnt vmcnt(3)
	ds_store_b128 v42, v[166:169]
	s_waitcnt vmcnt(2)
	ds_store_b128 v43, v[170:173]
	;; [unrolled: 2-line block ×4, first 2 shown]
	s_waitcnt lgkmcnt(0)
	s_barrier
	buffer_gl0_inv
	ds_load_2addr_b64 v[53:56], v89 offset1:32
	ds_load_b128 v[57:60], v40 offset:768
	v_pk_fma_f16 v72, v130, v150, v72 op_sel_hi:[1,0,1]
	v_pk_fma_f16 v65, v131, v150, v65 op_sel_hi:[1,0,1]
	v_pk_fma_f16 v8, v131, v150, v8 op_sel:[0,1,0]
	v_pk_fma_f16 v9, v131, v151, v9 op_sel_hi:[1,0,1]
	v_pk_fma_f16 v66, v132, v151, v66 op_sel_hi:[1,0,1]
	v_pk_fma_f16 v67, v133, v150, v67 op_sel_hi:[1,0,1]
	v_pk_fma_f16 v4, v133, v150, v4 op_sel:[0,1,0]
	v_pk_fma_f16 v6, v133, v151, v6 op_sel_hi:[1,0,1]
	v_pk_fma_f16 v5, v133, v151, v5 op_sel:[0,1,0]
	v_pk_fma_f16 v77, v106, v115, v77 op_sel_hi:[1,0,1]
	v_pk_fma_f16 v61, v108, v114, v61 op_sel_hi:[1,0,1]
	v_pk_fma_f16 v62, v108, v114, v62 op_sel:[0,1,0]
	v_pk_fma_f16 v76, v130, v150, v76 op_sel:[0,1,0]
	v_pk_fma_f16 v7, v134, v152, v7 op_sel_hi:[1,0,1]
	v_pk_fma_f16 v10, v134, v152, v10 op_sel:[0,1,0]
	v_pk_fma_f16 v11, v134, v153, v11 op_sel_hi:[1,0,1]
	v_pk_fma_f16 v63, v135, v152, v63 op_sel:[0,1,0]
	v_pk_fma_f16 v68, v135, v153, v68 op_sel_hi:[1,0,1]
	v_pk_fma_f16 v69, v136, v152, v69 op_sel_hi:[1,0,1]
	v_pk_fma_f16 v70, v136, v152, v70 op_sel:[0,1,0]
	v_pk_fma_f16 v73, v136, v153, v73 op_sel_hi:[1,0,1]
	v_pk_fma_f16 v71, v137, v152, v71 op_sel_hi:[1,0,1]
	v_pk_fma_f16 v74, v137, v152, v74 op_sel:[0,1,0]
	v_pk_fma_f16 v75, v137, v153, v75 op_sel_hi:[1,0,1]
	v_pk_fma_f16 v72, v138, v152, v72 op_sel_hi:[1,0,1]
	v_pk_fma_f16 v65, v139, v152, v65 op_sel_hi:[1,0,1]
	v_pk_fma_f16 v8, v139, v152, v8 op_sel:[0,1,0]
	v_pk_fma_f16 v9, v139, v153, v9 op_sel_hi:[1,0,1]
	v_pk_fma_f16 v66, v140, v153, v66 op_sel_hi:[1,0,1]
	v_pk_fma_f16 v67, v141, v152, v67 op_sel_hi:[1,0,1]
	v_pk_fma_f16 v4, v141, v152, v4 op_sel:[0,1,0]
	v_pk_fma_f16 v6, v141, v153, v6 op_sel_hi:[1,0,1]
	v_pk_fma_f16 v5, v141, v153, v5 op_sel:[0,1,0]
	v_pk_fma_f16 v77, v122, v117, v77 op_sel_hi:[1,0,1]
	v_pk_fma_f16 v61, v124, v116, v61 op_sel_hi:[1,0,1]
	v_pk_fma_f16 v62, v124, v116, v62 op_sel:[0,1,0]
	v_pk_fma_f16 v76, v138, v152, v76 op_sel:[0,1,0]
	v_pk_fma_f16 v7, v142, v154, v7 op_sel_hi:[1,0,1]
	v_pk_fma_f16 v10, v142, v154, v10 op_sel:[0,1,0]
	v_pk_fma_f16 v11, v142, v155, v11 op_sel_hi:[1,0,1]
	v_pk_fma_f16 v63, v143, v154, v63 op_sel:[0,1,0]
	v_pk_fma_f16 v68, v143, v155, v68 op_sel_hi:[1,0,1]
	v_pk_fma_f16 v69, v144, v154, v69 op_sel_hi:[1,0,1]
	v_pk_fma_f16 v70, v144, v154, v70 op_sel:[0,1,0]
	v_pk_fma_f16 v73, v144, v155, v73 op_sel_hi:[1,0,1]
	v_pk_fma_f16 v71, v145, v154, v71 op_sel_hi:[1,0,1]
	v_pk_fma_f16 v74, v145, v154, v74 op_sel:[0,1,0]
	v_pk_fma_f16 v75, v145, v155, v75 op_sel_hi:[1,0,1]
	;; [unrolled: 24-line block ×3, first 2 shown]
	v_pk_fma_f16 v100, v162, v156, v72 op_sel_hi:[1,0,1]
	v_pk_fma_f16 v102, v163, v156, v65 op_sel_hi:[1,0,1]
	v_pk_fma_f16 v103, v163, v156, v8 op_sel:[0,1,0]
	v_pk_fma_f16 v104, v163, v157, v9 op_sel_hi:[1,0,1]
	v_pk_fma_f16 v105, v164, v157, v66 op_sel_hi:[1,0,1]
	;; [unrolled: 1-line block ×3, first 2 shown]
	v_pk_fma_f16 v107, v165, v156, v4 op_sel:[0,1,0]
	v_pk_fma_f16 v108, v165, v157, v6 op_sel_hi:[1,0,1]
	v_pk_fma_f16 v109, v165, v157, v5 op_sel:[0,1,0]
	ds_load_2addr_b64 v[65:68], v89 offset0:64 offset1:96
	ds_load_b128 v[69:72], v40 offset:784
	ds_load_b128 v[8:11], v40 offset:800
	;; [unrolled: 1-line block ×3, first 2 shown]
	v_pk_fma_f16 v77, v138, v153, v77 op_sel_hi:[1,0,1]
	v_pk_fma_f16 v61, v140, v152, v61 op_sel_hi:[1,0,1]
	v_pk_fma_f16 v62, v140, v152, v62 op_sel:[0,1,0]
	v_pk_fma_f16 v101, v162, v156, v76 op_sel:[0,1,0]
	s_waitcnt lgkmcnt(4)
	v_pk_fma_f16 v85, v53, v57, v85 op_sel_hi:[1,0,1]
	v_pk_fma_f16 v86, v53, v57, v86 op_sel:[0,1,0]
	v_pk_fma_f16 v87, v53, v58, v87 op_sel_hi:[1,0,1]
	v_pk_fma_f16 v90, v53, v58, v90 op_sel:[0,1,0]
	;; [unrolled: 2-line block ×7, first 2 shown]
	ds_load_2addr_b64 v[73:76], v89 offset0:128 offset1:160
	v_pk_fma_f16 v98, v56, v58, v98 op_sel_hi:[1,0,1]
	v_pk_fma_f16 v99, v56, v58, v99 op_sel:[0,1,0]
	ds_load_2addr_b64 v[53:56], v89 offset0:192 offset1:224
	v_pk_fma_f16 v77, v146, v155, v77 op_sel_hi:[1,0,1]
	v_pk_fma_f16 v61, v148, v154, v61 op_sel_hi:[1,0,1]
	v_pk_fma_f16 v62, v148, v154, v62 op_sel:[0,1,0]
	v_pk_fma_f16 v78, v162, v157, v78 op_sel:[0,1,0]
	;; [unrolled: 1-line block ×3, first 2 shown]
	v_pk_fma_f16 v77, v162, v157, v77 op_sel_hi:[1,0,1]
	v_pk_fma_f16 v61, v164, v156, v61 op_sel_hi:[1,0,1]
	v_pk_fma_f16 v62, v164, v156, v62 op_sel:[0,1,0]
	v_pk_fma_f16 v84, v164, v157, v84 op_sel:[0,1,0]
	s_waitcnt lgkmcnt(5)
	v_pk_fma_f16 v100, v65, v57, v100 op_sel_hi:[1,0,1]
	v_pk_fma_f16 v101, v65, v57, v101 op_sel:[0,1,0]
	v_pk_fma_f16 v77, v65, v58, v77 op_sel_hi:[1,0,1]
	v_pk_fma_f16 v78, v65, v58, v78 op_sel:[0,1,0]
	;; [unrolled: 2-line block ×8, first 2 shown]
	ds_load_2addr_b64 v[65:68], v88 offset1:32
	s_waitcnt lgkmcnt(2)
	v_pk_fma_f16 v85, v73, v59, v85 op_sel_hi:[1,0,1]
	v_pk_fma_f16 v86, v73, v59, v86 op_sel:[0,1,0]
	v_pk_fma_f16 v87, v73, v60, v87 op_sel_hi:[1,0,1]
	v_pk_fma_f16 v90, v73, v60, v90 op_sel:[0,1,0]
	v_pk_fma_f16 v91, v74, v59, v91 op_sel_hi:[1,0,1]
	v_pk_fma_f16 v63, v74, v59, v63 op_sel:[0,1,0]
	v_pk_fma_f16 v92, v74, v60, v92 op_sel_hi:[1,0,1]
	v_pk_fma_f16 v93, v74, v60, v93 op_sel:[0,1,0]
	v_pk_fma_f16 v94, v75, v59, v94 op_sel_hi:[1,0,1]
	v_pk_fma_f16 v95, v75, v59, v95 op_sel:[0,1,0]
	v_pk_fma_f16 v108, v75, v60, v110 op_sel_hi:[1,0,1]
	v_pk_fma_f16 v96, v75, v60, v96 op_sel:[0,1,0]
	v_pk_fma_f16 v97, v76, v59, v97 op_sel_hi:[1,0,1]
	v_pk_fma_f16 v109, v76, v59, v111 op_sel:[0,1,0]
	v_pk_fma_f16 v98, v76, v60, v98 op_sel_hi:[1,0,1]
	v_pk_fma_f16 v99, v76, v60, v99 op_sel:[0,1,0]
	s_waitcnt lgkmcnt(1)
	v_pk_fma_f16 v100, v53, v59, v100 op_sel_hi:[1,0,1]
	v_pk_fma_f16 v101, v53, v59, v101 op_sel:[0,1,0]
	v_pk_fma_f16 v77, v53, v60, v77 op_sel_hi:[1,0,1]
	v_pk_fma_f16 v78, v53, v60, v78 op_sel:[0,1,0]
	;; [unrolled: 2-line block ×7, first 2 shown]
	ds_load_2addr_b64 v[73:76], v88 offset0:64 offset1:96
	v_pk_fma_f16 v107, v56, v60, v107 op_sel_hi:[1,0,1]
	v_pk_fma_f16 v110, v56, v60, v58 op_sel:[0,1,0]
	ds_load_2addr_b64 v[53:56], v88 offset0:128 offset1:160
	s_waitcnt lgkmcnt(2)
	v_pk_fma_f16 v85, v65, v69, v85 op_sel_hi:[1,0,1]
	v_pk_fma_f16 v86, v65, v69, v86 op_sel:[0,1,0]
	v_pk_fma_f16 v87, v65, v70, v87 op_sel_hi:[1,0,1]
	v_pk_fma_f16 v65, v65, v70, v90 op_sel:[0,1,0]
	;; [unrolled: 2-line block ×8, first 2 shown]
	s_waitcnt lgkmcnt(1)
	v_pk_fma_f16 v99, v73, v69, v100 op_sel_hi:[1,0,1]
	v_pk_fma_f16 v100, v73, v69, v101 op_sel:[0,1,0]
	v_pk_fma_f16 v77, v73, v70, v77 op_sel_hi:[1,0,1]
	v_pk_fma_f16 v73, v73, v70, v78 op_sel:[0,1,0]
	;; [unrolled: 2-line block ×7, first 2 shown]
	ds_load_2addr_b64 v[57:60], v88 offset0:192 offset1:224
	v_pk_fma_f16 v103, v76, v70, v107 op_sel_hi:[1,0,1]
	v_pk_fma_f16 v70, v76, v70, v110 op_sel:[0,1,0]
	s_waitcnt lgkmcnt(1)
	v_pk_fma_f16 v76, v53, v71, v85 op_sel_hi:[1,0,1]
	v_pk_fma_f16 v85, v53, v71, v86 op_sel:[0,1,0]
	v_pk_fma_f16 v86, v53, v72, v87 op_sel_hi:[1,0,1]
	v_pk_fma_f16 v87, v53, v72, v65 op_sel:[0,1,0]
	v_pk_fma_f16 v104, v54, v72, v66 op_sel:[0,1,0]
	;; [unrolled: 1-line block ×3, first 2 shown]
	ds_load_2addr_b64 v[65:68], v51 offset1:32
	v_pk_fma_f16 v90, v54, v71, v90 op_sel_hi:[1,0,1]
	v_pk_fma_f16 v63, v54, v71, v63 op_sel:[0,1,0]
	v_pk_fma_f16 v91, v54, v72, v91 op_sel_hi:[1,0,1]
	v_pk_fma_f16 v92, v55, v71, v92 op_sel_hi:[1,0,1]
	v_pk_fma_f16 v93, v55, v71, v93 op_sel:[0,1,0]
	v_pk_fma_f16 v94, v55, v72, v94 op_sel_hi:[1,0,1]
	;; [unrolled: 3-line block ×3, first 2 shown]
	v_pk_fma_f16 v98, v56, v72, v98 op_sel:[0,1,0]
	ds_load_2addr_b64 v[53:56], v51 offset0:64 offset1:96
	s_or_b32 s8, s3, 0x70
	s_waitcnt lgkmcnt(2)
	v_pk_fma_f16 v99, v57, v71, v99 op_sel_hi:[1,0,1]
	v_pk_fma_f16 v100, v57, v71, v100 op_sel:[0,1,0]
	v_pk_fma_f16 v77, v57, v72, v77 op_sel_hi:[1,0,1]
	v_pk_fma_f16 v73, v57, v72, v73 op_sel:[0,1,0]
	;; [unrolled: 2-line block ×8, first 2 shown]
	s_waitcnt lgkmcnt(1)
	v_pk_fma_f16 v72, v65, v8, v76 op_sel_hi:[1,0,1]
	v_pk_fma_f16 v76, v65, v8, v85 op_sel:[0,1,0]
	v_pk_fma_f16 v85, v65, v9, v86 op_sel_hi:[1,0,1]
	v_pk_fma_f16 v86, v65, v9, v87 op_sel:[0,1,0]
	;; [unrolled: 2-line block ×7, first 2 shown]
	ds_load_2addr_b64 v[57:60], v51 offset0:128 offset1:160
	v_pk_fma_f16 v97, v68, v9, v97 op_sel_hi:[1,0,1]
	v_pk_fma_f16 v98, v68, v9, v98 op_sel:[0,1,0]
	ds_load_2addr_b64 v[65:68], v51 offset0:192 offset1:224
	s_mul_hi_i32 s19, s8, s10
	s_mul_i32 s18, s8, s10
	s_waitcnt lgkmcnt(2)
	v_pk_fma_f16 v99, v53, v8, v99 op_sel_hi:[1,0,1]
	s_lshl_b64 s[18:19], s[18:19], 2
	v_pk_fma_f16 v100, v53, v8, v100 op_sel:[0,1,0]
	s_add_u32 s8, s11, s18
	v_pk_fma_f16 v77, v53, v9, v77 op_sel_hi:[1,0,1]
	v_pk_fma_f16 v53, v53, v9, v73 op_sel:[0,1,0]
	v_pk_fma_f16 v73, v54, v8, v78 op_sel_hi:[1,0,1]
	v_pk_fma_f16 v78, v54, v8, v101 op_sel:[0,1,0]
	;; [unrolled: 2-line block ×4, first 2 shown]
	s_addc_u32 s18, s17, s19
	v_add_co_u32 v8, vcc_lo, s8, v27
	v_pk_fma_f16 v182, v54, v9, v102 op_sel_hi:[1,0,1]
	v_pk_fma_f16 v183, v54, v9, v74 op_sel:[0,1,0]
	v_pk_fma_f16 v79, v55, v9, v79 op_sel_hi:[1,0,1]
	v_pk_fma_f16 v186, v55, v9, v75 op_sel:[0,1,0]
	;; [unrolled: 2-line block ×3, first 2 shown]
	v_add_co_ci_u32_e32 v9, vcc_lo, s18, v28, vcc_lo
	v_add_co_u32 v61, vcc_lo, s8, v29
	v_add_co_ci_u32_e32 v62, vcc_lo, s18, v30, vcc_lo
	v_add_co_u32 v8, vcc_lo, v8, v38
	s_delay_alu instid0(VALU_DEP_4) | instskip(NEXT) | instid1(VALU_DEP_4)
	v_add_co_ci_u32_e32 v9, vcc_lo, 0, v9, vcc_lo
	v_add_co_u32 v61, vcc_lo, v61, v38
	s_delay_alu instid0(VALU_DEP_4)
	v_add_co_ci_u32_e32 v62, vcc_lo, 0, v62, vcc_lo
	s_waitcnt lgkmcnt(1)
	v_pk_fma_f16 v191, v57, v10, v72 op_sel_hi:[1,0,1]
	v_pk_fma_f16 v192, v57, v10, v76 op_sel:[0,1,0]
	v_pk_fma_f16 v193, v57, v11, v85 op_sel_hi:[1,0,1]
	v_pk_fma_f16 v194, v57, v11, v86 op_sel:[0,1,0]
	;; [unrolled: 2-line block ×8, first 2 shown]
	s_waitcnt lgkmcnt(0)
	v_pk_fma_f16 v206, v65, v10, v99 op_sel_hi:[1,0,1]
	v_pk_fma_f16 v207, v65, v10, v100 op_sel:[0,1,0]
	v_pk_fma_f16 v77, v65, v11, v77 op_sel_hi:[1,0,1]
	v_pk_fma_f16 v65, v65, v11, v53 op_sel:[0,1,0]
	v_pk_fma_f16 v208, v66, v10, v73 op_sel_hi:[1,0,1]
	ds_load_2addr_b64 v[53:56], v52 offset1:32
	ds_load_2addr_b64 v[57:60], v52 offset0:64 offset1:96
	ds_load_2addr_b64 v[69:72], v52 offset0:128 offset1:160
	;; [unrolled: 1-line block ×3, first 2 shown]
	ds_load_2addr_b64 v[84:87], v50 offset1:32
	ds_load_2addr_b64 v[90:93], v50 offset0:64 offset1:96
	ds_load_2addr_b64 v[94:97], v50 offset0:128 offset1:160
	;; [unrolled: 1-line block ×3, first 2 shown]
	ds_load_2addr_b64 v[102:105], v49 offset1:32
	ds_load_2addr_b64 v[106:109], v49 offset0:64 offset1:96
	ds_load_b128 v[110:113], v40 offset:832
	ds_load_b128 v[114:117], v40 offset:848
	ds_load_2addr_b64 v[118:121], v49 offset0:128 offset1:160
	ds_load_2addr_b64 v[122:125], v49 offset0:192 offset1:224
	ds_load_2addr_b64 v[126:129], v48 offset1:32
	ds_load_2addr_b64 v[130:133], v48 offset0:64 offset1:96
	ds_load_2addr_b64 v[134:137], v48 offset0:128 offset1:160
	;; [unrolled: 1-line block ×3, first 2 shown]
	ds_load_2addr_b64 v[142:145], v47 offset1:32
	ds_load_2addr_b64 v[146:149], v47 offset0:64 offset1:96
	ds_load_b128 v[150:153], v40 offset:864
	ds_load_b128 v[154:157], v40 offset:880
	ds_load_2addr_b64 v[158:161], v47 offset0:128 offset1:160
	ds_load_2addr_b64 v[162:165], v47 offset0:192 offset1:224
	s_waitcnt lgkmcnt(0)
	s_barrier
	buffer_gl0_inv
	s_clause 0x3
	global_load_b128 v[166:169], v[8:9], off
	global_load_b128 v[170:173], v[8:9], off offset:512
	global_load_b128 v[174:177], v[61:62], off
	global_load_b128 v[178:181], v[61:62], off offset:512
	v_pk_fma_f16 v8, v66, v10, v78 op_sel:[0,1,0]
	v_pk_fma_f16 v9, v66, v11, v182 op_sel_hi:[1,0,1]
	v_pk_fma_f16 v61, v66, v11, v183 op_sel:[0,1,0]
	v_pk_fma_f16 v62, v67, v10, v184 op_sel_hi:[1,0,1]
	;; [unrolled: 2-line block ×53, first 2 shown]
	v_pk_fma_f16 v56, v87, v111, v56 op_sel:[0,1,0]
	v_pk_fma_f16 v8, v107, v114, v8 op_sel:[0,1,0]
	v_pk_fma_f16 v9, v107, v115, v9 op_sel_hi:[1,0,1]
	v_pk_fma_f16 v4, v109, v114, v4 op_sel:[0,1,0]
	v_pk_fma_f16 v6, v109, v115, v6 op_sel_hi:[1,0,1]
	;; [unrolled: 2-line block ×4, first 2 shown]
	v_pk_fma_f16 v72, v90, v110, v72 op_sel_hi:[1,0,1]
	v_pk_fma_f16 v57, v90, v111, v57 op_sel:[0,1,0]
	v_pk_fma_f16 v65, v91, v110, v65 op_sel_hi:[1,0,1]
	v_pk_fma_f16 v58, v91, v111, v58 op_sel:[0,1,0]
	;; [unrolled: 2-line block ×4, first 2 shown]
	v_pk_fma_f16 v53, v94, v113, v53 op_sel:[0,1,0]
	v_pk_fma_f16 v60, v95, v112, v60 op_sel_hi:[1,0,1]
	v_pk_fma_f16 v63, v95, v112, v63 op_sel:[0,1,0]
	v_pk_fma_f16 v68, v95, v113, v68 op_sel_hi:[1,0,1]
	;; [unrolled: 2-line block ×6, first 2 shown]
	v_pk_fma_f16 v56, v97, v113, v56 op_sel:[0,1,0]
	v_pk_fma_f16 v8, v123, v116, v8 op_sel:[0,1,0]
	v_pk_fma_f16 v9, v123, v117, v9 op_sel_hi:[1,0,1]
	v_pk_fma_f16 v4, v125, v116, v4 op_sel:[0,1,0]
	v_pk_fma_f16 v6, v125, v117, v6 op_sel_hi:[1,0,1]
	;; [unrolled: 2-line block ×4, first 2 shown]
	v_pk_fma_f16 v72, v98, v112, v72 op_sel_hi:[1,0,1]
	v_pk_fma_f16 v57, v98, v113, v57 op_sel:[0,1,0]
	v_pk_fma_f16 v65, v99, v112, v65 op_sel_hi:[1,0,1]
	v_pk_fma_f16 v58, v99, v113, v58 op_sel:[0,1,0]
	;; [unrolled: 2-line block ×4, first 2 shown]
	v_pk_fma_f16 v53, v102, v115, v53 op_sel:[0,1,0]
	v_pk_fma_f16 v60, v103, v114, v60 op_sel_hi:[1,0,1]
	v_pk_fma_f16 v63, v103, v114, v63 op_sel:[0,1,0]
	v_pk_fma_f16 v68, v103, v115, v68 op_sel_hi:[1,0,1]
	;; [unrolled: 2-line block ×6, first 2 shown]
	v_pk_fma_f16 v56, v105, v115, v56 op_sel:[0,1,0]
	v_pk_fma_f16 v8, v131, v150, v8 op_sel:[0,1,0]
	v_pk_fma_f16 v9, v131, v151, v9 op_sel_hi:[1,0,1]
	v_pk_fma_f16 v4, v133, v150, v4 op_sel:[0,1,0]
	v_pk_fma_f16 v6, v133, v151, v6 op_sel_hi:[1,0,1]
	;; [unrolled: 2-line block ×4, first 2 shown]
	v_pk_fma_f16 v72, v106, v114, v72 op_sel_hi:[1,0,1]
	v_pk_fma_f16 v57, v106, v115, v57 op_sel:[0,1,0]
	v_pk_fma_f16 v65, v107, v114, v65 op_sel_hi:[1,0,1]
	v_pk_fma_f16 v58, v107, v115, v58 op_sel:[0,1,0]
	;; [unrolled: 2-line block ×3, first 2 shown]
	v_pk_fma_f16 v67, v109, v114, v67 op_sel_hi:[1,0,1]
	v_pk_fma_f16 v77, v90, v111, v77 op_sel_hi:[1,0,1]
	;; [unrolled: 1-line block ×3, first 2 shown]
	v_pk_fma_f16 v62, v92, v110, v62 op_sel:[0,1,0]
	v_pk_fma_f16 v76, v106, v114, v76 op_sel:[0,1,0]
	;; [unrolled: 1-line block ×3, first 2 shown]
	v_pk_fma_f16 v60, v119, v116, v60 op_sel_hi:[1,0,1]
	v_pk_fma_f16 v63, v119, v116, v63 op_sel:[0,1,0]
	v_pk_fma_f16 v68, v119, v117, v68 op_sel_hi:[1,0,1]
	v_pk_fma_f16 v54, v119, v117, v54 op_sel:[0,1,0]
	;; [unrolled: 2-line block ×6, first 2 shown]
	v_pk_fma_f16 v8, v139, v152, v8 op_sel:[0,1,0]
	v_pk_fma_f16 v9, v139, v153, v9 op_sel_hi:[1,0,1]
	v_pk_fma_f16 v4, v141, v152, v4 op_sel:[0,1,0]
	v_pk_fma_f16 v6, v141, v153, v6 op_sel_hi:[1,0,1]
	;; [unrolled: 2-line block ×4, first 2 shown]
	v_pk_fma_f16 v72, v122, v116, v72 op_sel_hi:[1,0,1]
	v_pk_fma_f16 v57, v122, v117, v57 op_sel:[0,1,0]
	v_pk_fma_f16 v65, v123, v116, v65 op_sel_hi:[1,0,1]
	v_pk_fma_f16 v58, v123, v117, v58 op_sel:[0,1,0]
	;; [unrolled: 2-line block ×3, first 2 shown]
	v_pk_fma_f16 v67, v125, v116, v67 op_sel_hi:[1,0,1]
	v_pk_fma_f16 v77, v98, v113, v77 op_sel_hi:[1,0,1]
	;; [unrolled: 1-line block ×3, first 2 shown]
	v_pk_fma_f16 v62, v100, v112, v62 op_sel:[0,1,0]
	v_pk_fma_f16 v76, v122, v116, v76 op_sel:[0,1,0]
	;; [unrolled: 1-line block ×3, first 2 shown]
	v_pk_fma_f16 v60, v127, v150, v60 op_sel_hi:[1,0,1]
	v_pk_fma_f16 v63, v127, v150, v63 op_sel:[0,1,0]
	v_pk_fma_f16 v68, v127, v151, v68 op_sel_hi:[1,0,1]
	v_pk_fma_f16 v54, v127, v151, v54 op_sel:[0,1,0]
	;; [unrolled: 2-line block ×6, first 2 shown]
	v_pk_fma_f16 v78, v147, v154, v8 op_sel:[0,1,0]
	v_pk_fma_f16 v79, v147, v155, v9 op_sel_hi:[1,0,1]
	v_pk_fma_f16 v84, v149, v154, v4 op_sel:[0,1,0]
	v_pk_fma_f16 v85, v149, v155, v6 op_sel_hi:[1,0,1]
	;; [unrolled: 2-line block ×4, first 2 shown]
	s_waitcnt vmcnt(3)
	ds_store_b128 v42, v[166:169]
	s_waitcnt vmcnt(2)
	ds_store_b128 v43, v[170:173]
	;; [unrolled: 2-line block ×4, first 2 shown]
	s_waitcnt lgkmcnt(0)
	s_barrier
	buffer_gl0_inv
	ds_load_2addr_b64 v[4:7], v89 offset1:32
	ds_load_b128 v[8:11], v40 offset:896
	v_pk_fma_f16 v72, v130, v150, v72 op_sel_hi:[1,0,1]
	v_pk_fma_f16 v57, v130, v151, v57 op_sel:[0,1,0]
	v_pk_fma_f16 v65, v131, v150, v65 op_sel_hi:[1,0,1]
	v_pk_fma_f16 v58, v131, v151, v58 op_sel:[0,1,0]
	v_pk_fma_f16 v66, v132, v151, v66 op_sel_hi:[1,0,1]
	v_pk_fma_f16 v59, v132, v151, v59 op_sel:[0,1,0]
	v_pk_fma_f16 v67, v133, v150, v67 op_sel_hi:[1,0,1]
	v_pk_fma_f16 v77, v106, v115, v77 op_sel_hi:[1,0,1]
	v_pk_fma_f16 v61, v108, v114, v61 op_sel_hi:[1,0,1]
	v_pk_fma_f16 v62, v108, v114, v62 op_sel:[0,1,0]
	v_pk_fma_f16 v76, v130, v150, v76 op_sel:[0,1,0]
	v_pk_fma_f16 v53, v134, v153, v53 op_sel:[0,1,0]
	v_pk_fma_f16 v60, v135, v152, v60 op_sel_hi:[1,0,1]
	v_pk_fma_f16 v63, v135, v152, v63 op_sel:[0,1,0]
	v_pk_fma_f16 v68, v135, v153, v68 op_sel_hi:[1,0,1]
	v_pk_fma_f16 v54, v135, v153, v54 op_sel:[0,1,0]
	v_pk_fma_f16 v69, v136, v152, v69 op_sel_hi:[1,0,1]
	v_pk_fma_f16 v70, v136, v152, v70 op_sel:[0,1,0]
	v_pk_fma_f16 v73, v136, v153, v73 op_sel_hi:[1,0,1]
	v_pk_fma_f16 v55, v136, v153, v55 op_sel:[0,1,0]
	v_pk_fma_f16 v71, v137, v152, v71 op_sel_hi:[1,0,1]
	v_pk_fma_f16 v74, v137, v152, v74 op_sel:[0,1,0]
	v_pk_fma_f16 v75, v137, v153, v75 op_sel_hi:[1,0,1]
	v_pk_fma_f16 v56, v137, v153, v56 op_sel:[0,1,0]
	v_pk_fma_f16 v72, v138, v152, v72 op_sel_hi:[1,0,1]
	v_pk_fma_f16 v57, v138, v153, v57 op_sel:[0,1,0]
	v_pk_fma_f16 v65, v139, v152, v65 op_sel_hi:[1,0,1]
	v_pk_fma_f16 v58, v139, v153, v58 op_sel:[0,1,0]
	v_pk_fma_f16 v66, v140, v153, v66 op_sel_hi:[1,0,1]
	v_pk_fma_f16 v59, v140, v153, v59 op_sel:[0,1,0]
	v_pk_fma_f16 v67, v141, v152, v67 op_sel_hi:[1,0,1]
	v_pk_fma_f16 v77, v122, v117, v77 op_sel_hi:[1,0,1]
	v_pk_fma_f16 v61, v124, v116, v61 op_sel_hi:[1,0,1]
	v_pk_fma_f16 v62, v124, v116, v62 op_sel:[0,1,0]
	v_pk_fma_f16 v76, v138, v152, v76 op_sel:[0,1,0]
	v_pk_fma_f16 v53, v142, v155, v53 op_sel:[0,1,0]
	v_pk_fma_f16 v60, v143, v154, v60 op_sel_hi:[1,0,1]
	v_pk_fma_f16 v63, v143, v154, v63 op_sel:[0,1,0]
	v_pk_fma_f16 v68, v143, v155, v68 op_sel_hi:[1,0,1]
	v_pk_fma_f16 v54, v143, v155, v54 op_sel:[0,1,0]
	v_pk_fma_f16 v69, v144, v154, v69 op_sel_hi:[1,0,1]
	v_pk_fma_f16 v70, v144, v154, v70 op_sel:[0,1,0]
	v_pk_fma_f16 v73, v144, v155, v73 op_sel_hi:[1,0,1]
	v_pk_fma_f16 v55, v144, v155, v55 op_sel:[0,1,0]
	v_pk_fma_f16 v71, v145, v154, v71 op_sel_hi:[1,0,1]
	v_pk_fma_f16 v74, v145, v154, v74 op_sel:[0,1,0]
	v_pk_fma_f16 v75, v145, v155, v75 op_sel_hi:[1,0,1]
	v_pk_fma_f16 v56, v145, v155, v56 op_sel:[0,1,0]
	;; [unrolled: 24-line block ×3, first 2 shown]
	v_pk_fma_f16 v102, v162, v156, v72 op_sel_hi:[1,0,1]
	v_pk_fma_f16 v104, v162, v157, v57 op_sel:[0,1,0]
	v_pk_fma_f16 v105, v163, v156, v65 op_sel_hi:[1,0,1]
	v_pk_fma_f16 v106, v163, v157, v58 op_sel:[0,1,0]
	;; [unrolled: 2-line block ×3, first 2 shown]
	v_pk_fma_f16 v109, v165, v156, v67 op_sel_hi:[1,0,1]
	ds_load_2addr_b64 v[53:56], v89 offset0:64 offset1:96
	ds_load_b128 v[57:60], v40 offset:912
	ds_load_b128 v[65:68], v40 offset:928
	;; [unrolled: 1-line block ×3, first 2 shown]
	v_pk_fma_f16 v77, v138, v153, v77 op_sel_hi:[1,0,1]
	v_pk_fma_f16 v61, v140, v152, v61 op_sel_hi:[1,0,1]
	v_pk_fma_f16 v62, v140, v152, v62 op_sel:[0,1,0]
	v_pk_fma_f16 v103, v162, v156, v76 op_sel:[0,1,0]
	s_waitcnt lgkmcnt(4)
	v_pk_fma_f16 v87, v4, v8, v87 op_sel_hi:[1,0,1]
	v_pk_fma_f16 v90, v4, v8, v90 op_sel:[0,1,0]
	v_pk_fma_f16 v91, v4, v9, v91 op_sel_hi:[1,0,1]
	v_pk_fma_f16 v92, v4, v9, v92 op_sel:[0,1,0]
	;; [unrolled: 2-line block ×7, first 2 shown]
	ds_load_2addr_b64 v[73:76], v89 offset0:128 offset1:160
	v_pk_fma_f16 v100, v7, v9, v100 op_sel_hi:[1,0,1]
	v_pk_fma_f16 v101, v7, v9, v101 op_sel:[0,1,0]
	ds_load_2addr_b64 v[4:7], v89 offset0:192 offset1:224
	v_pk_fma_f16 v77, v146, v155, v77 op_sel_hi:[1,0,1]
	v_pk_fma_f16 v61, v148, v154, v61 op_sel_hi:[1,0,1]
	v_pk_fma_f16 v62, v148, v154, v62 op_sel:[0,1,0]
	v_pk_fma_f16 v78, v163, v156, v78 op_sel:[0,1,0]
	v_pk_fma_f16 v79, v163, v157, v79 op_sel_hi:[1,0,1]
	v_pk_fma_f16 v77, v162, v157, v77 op_sel_hi:[1,0,1]
	;; [unrolled: 1-line block ×3, first 2 shown]
	v_pk_fma_f16 v62, v164, v156, v62 op_sel:[0,1,0]
	v_pk_fma_f16 v84, v165, v156, v84 op_sel:[0,1,0]
	v_pk_fma_f16 v85, v165, v157, v85 op_sel_hi:[1,0,1]
	v_pk_fma_f16 v86, v165, v157, v86 op_sel:[0,1,0]
	s_waitcnt lgkmcnt(5)
	v_pk_fma_f16 v102, v53, v8, v102 op_sel_hi:[1,0,1]
	v_pk_fma_f16 v103, v53, v8, v103 op_sel:[0,1,0]
	v_pk_fma_f16 v77, v53, v9, v77 op_sel_hi:[1,0,1]
	v_pk_fma_f16 v104, v53, v9, v104 op_sel:[0,1,0]
	;; [unrolled: 2-line block ×8, first 2 shown]
	ds_load_2addr_b64 v[53:56], v88 offset1:32
	s_waitcnt lgkmcnt(2)
	v_pk_fma_f16 v85, v73, v10, v87 op_sel_hi:[1,0,1]
	v_pk_fma_f16 v86, v73, v10, v90 op_sel:[0,1,0]
	v_pk_fma_f16 v87, v73, v11, v91 op_sel_hi:[1,0,1]
	v_pk_fma_f16 v89, v73, v11, v92 op_sel:[0,1,0]
	;; [unrolled: 2-line block ×8, first 2 shown]
	s_waitcnt lgkmcnt(1)
	v_pk_fma_f16 v101, v4, v10, v102 op_sel_hi:[1,0,1]
	v_pk_fma_f16 v102, v4, v10, v103 op_sel:[0,1,0]
	v_pk_fma_f16 v77, v4, v11, v77 op_sel_hi:[1,0,1]
	v_pk_fma_f16 v103, v4, v11, v104 op_sel:[0,1,0]
	;; [unrolled: 2-line block ×7, first 2 shown]
	ds_load_2addr_b64 v[73:76], v88 offset0:64 offset1:96
	v_pk_fma_f16 v84, v7, v11, v84 op_sel_hi:[1,0,1]
	v_pk_fma_f16 v109, v7, v11, v9 op_sel:[0,1,0]
	ds_load_2addr_b64 v[4:7], v88 offset0:128 offset1:160
	s_waitcnt lgkmcnt(2)
	v_pk_fma_f16 v85, v53, v57, v85 op_sel_hi:[1,0,1]
	v_pk_fma_f16 v86, v53, v57, v86 op_sel:[0,1,0]
	v_pk_fma_f16 v87, v53, v58, v87 op_sel_hi:[1,0,1]
	v_pk_fma_f16 v53, v53, v58, v89 op_sel:[0,1,0]
	;; [unrolled: 2-line block ×8, first 2 shown]
	s_waitcnt lgkmcnt(1)
	v_pk_fma_f16 v98, v73, v57, v101 op_sel_hi:[1,0,1]
	v_pk_fma_f16 v99, v73, v57, v102 op_sel:[0,1,0]
	v_pk_fma_f16 v77, v73, v58, v77 op_sel_hi:[1,0,1]
	v_pk_fma_f16 v73, v73, v58, v103 op_sel:[0,1,0]
	;; [unrolled: 2-line block ×7, first 2 shown]
	ds_load_2addr_b64 v[8:11], v88 offset0:192 offset1:224
	v_pk_fma_f16 v84, v76, v58, v84 op_sel_hi:[1,0,1]
	v_pk_fma_f16 v58, v76, v58, v109 op_sel:[0,1,0]
	s_waitcnt lgkmcnt(1)
	v_pk_fma_f16 v76, v4, v59, v85 op_sel_hi:[1,0,1]
	v_pk_fma_f16 v85, v4, v59, v86 op_sel:[0,1,0]
	v_pk_fma_f16 v86, v4, v60, v87 op_sel_hi:[1,0,1]
	v_pk_fma_f16 v87, v4, v60, v53 op_sel:[0,1,0]
	v_pk_fma_f16 v88, v5, v59, v89 op_sel_hi:[1,0,1]
	v_pk_fma_f16 v89, v5, v60, v90 op_sel_hi:[1,0,1]
	v_pk_fma_f16 v90, v5, v60, v54 op_sel:[0,1,0]
	v_pk_fma_f16 v103, v6, v60, v55 op_sel:[0,1,0]
	ds_load_2addr_b64 v[53:56], v51 offset1:32
	v_pk_fma_f16 v63, v5, v59, v63 op_sel:[0,1,0]
	v_pk_fma_f16 v91, v6, v59, v91 op_sel_hi:[1,0,1]
	v_pk_fma_f16 v92, v6, v59, v92 op_sel:[0,1,0]
	v_pk_fma_f16 v93, v6, v60, v93 op_sel_hi:[1,0,1]
	v_pk_fma_f16 v94, v7, v59, v94 op_sel_hi:[1,0,1]
	v_pk_fma_f16 v95, v7, v59, v95 op_sel:[0,1,0]
	v_pk_fma_f16 v96, v7, v60, v96 op_sel_hi:[1,0,1]
	v_pk_fma_f16 v97, v7, v60, v97 op_sel:[0,1,0]
	ds_load_2addr_b64 v[4:7], v51 offset0:64 offset1:96
	s_waitcnt lgkmcnt(2)
	v_pk_fma_f16 v98, v8, v59, v98 op_sel_hi:[1,0,1]
	v_pk_fma_f16 v99, v8, v59, v99 op_sel:[0,1,0]
	v_pk_fma_f16 v77, v8, v60, v77 op_sel_hi:[1,0,1]
	v_pk_fma_f16 v73, v8, v60, v73 op_sel:[0,1,0]
	;; [unrolled: 2-line block ×8, first 2 shown]
	s_waitcnt lgkmcnt(1)
	v_pk_fma_f16 v60, v53, v65, v76 op_sel_hi:[1,0,1]
	v_pk_fma_f16 v76, v53, v65, v85 op_sel:[0,1,0]
	v_pk_fma_f16 v84, v53, v66, v86 op_sel_hi:[1,0,1]
	v_pk_fma_f16 v85, v53, v66, v87 op_sel:[0,1,0]
	;; [unrolled: 2-line block ×7, first 2 shown]
	ds_load_2addr_b64 v[8:11], v51 offset0:128 offset1:160
	v_pk_fma_f16 v95, v56, v66, v96 op_sel_hi:[1,0,1]
	v_pk_fma_f16 v96, v56, v66, v97 op_sel:[0,1,0]
	ds_load_2addr_b64 v[53:56], v51 offset0:192 offset1:224
	s_waitcnt lgkmcnt(2)
	v_pk_fma_f16 v97, v4, v65, v98 op_sel_hi:[1,0,1]
	v_pk_fma_f16 v98, v4, v65, v99 op_sel:[0,1,0]
	v_pk_fma_f16 v77, v4, v66, v77 op_sel_hi:[1,0,1]
	v_pk_fma_f16 v73, v4, v66, v73 op_sel:[0,1,0]
	;; [unrolled: 2-line block ×8, first 2 shown]
	ds_load_2addr_b64 v[4:7], v52 offset1:32
	s_waitcnt lgkmcnt(2)
	v_pk_fma_f16 v59, v8, v67, v60 op_sel_hi:[1,0,1]
	v_pk_fma_f16 v60, v8, v67, v76 op_sel:[0,1,0]
	v_pk_fma_f16 v65, v8, v68, v84 op_sel_hi:[1,0,1]
	v_pk_fma_f16 v66, v8, v68, v85 op_sel:[0,1,0]
	;; [unrolled: 2-line block ×8, first 2 shown]
	s_waitcnt lgkmcnt(1)
	v_pk_fma_f16 v94, v53, v67, v97 op_sel_hi:[1,0,1]
	v_pk_fma_f16 v95, v53, v67, v98 op_sel:[0,1,0]
	v_pk_fma_f16 v77, v53, v68, v77 op_sel_hi:[1,0,1]
	v_pk_fma_f16 v73, v53, v68, v73 op_sel:[0,1,0]
	v_pk_fma_f16 v96, v54, v67, v99 op_sel_hi:[1,0,1]
	v_pk_fma_f16 v78, v54, v67, v78 op_sel:[0,1,0]
	v_pk_fma_f16 v79, v54, v68, v79 op_sel_hi:[1,0,1]
	v_pk_fma_f16 v74, v54, v68, v74 op_sel:[0,1,0]
	v_pk_fma_f16 v61, v55, v67, v61 op_sel_hi:[1,0,1]
	v_pk_fma_f16 v62, v55, v67, v62 op_sel:[0,1,0]
	v_pk_fma_f16 v97, v55, v68, v100 op_sel_hi:[1,0,1]
	v_pk_fma_f16 v75, v55, v68, v75 op_sel:[0,1,0]
	v_pk_fma_f16 v98, v56, v67, v101 op_sel_hi:[1,0,1]
	v_pk_fma_f16 v57, v56, v67, v57 op_sel:[0,1,0]
	ds_load_2addr_b64 v[8:11], v52 offset0:64 offset1:96
	v_pk_fma_f16 v51, v56, v68, v51 op_sel_hi:[1,0,1]
	v_pk_fma_f16 v58, v56, v68, v58 op_sel:[0,1,0]
	ds_load_2addr_b64 v[53:56], v52 offset0:128 offset1:160
	s_waitcnt lgkmcnt(2)
	v_pk_fma_f16 v59, v4, v69, v59 op_sel_hi:[1,0,1]
	v_pk_fma_f16 v60, v4, v69, v60 op_sel:[0,1,0]
	v_pk_fma_f16 v65, v4, v70, v65 op_sel_hi:[1,0,1]
	v_pk_fma_f16 v66, v4, v70, v66 op_sel:[0,1,0]
	;; [unrolled: 2-line block ×8, first 2 shown]
	ds_load_2addr_b64 v[4:7], v52 offset0:192 offset1:224
	s_waitcnt lgkmcnt(2)
	v_pk_fma_f16 v92, v8, v69, v94 op_sel_hi:[1,0,1]
	v_pk_fma_f16 v93, v8, v69, v95 op_sel:[0,1,0]
	v_pk_fma_f16 v77, v8, v70, v77 op_sel_hi:[1,0,1]
	v_pk_fma_f16 v73, v8, v70, v73 op_sel:[0,1,0]
	;; [unrolled: 2-line block ×8, first 2 shown]
	s_waitcnt lgkmcnt(1)
	v_pk_fma_f16 v59, v53, v71, v59 op_sel_hi:[1,0,1]
	v_pk_fma_f16 v60, v53, v71, v60 op_sel:[0,1,0]
	v_pk_fma_f16 v65, v53, v72, v65 op_sel_hi:[1,0,1]
	v_pk_fma_f16 v66, v53, v72, v66 op_sel:[0,1,0]
	;; [unrolled: 2-line block ×4, first 2 shown]
	ds_load_2addr_b64 v[8:11], v50 offset1:32
	ds_load_b128 v[51:54], v40 offset:960
	v_pk_fma_f16 v84, v55, v71, v84 op_sel_hi:[1,0,1]
	v_pk_fma_f16 v85, v55, v71, v85 op_sel:[0,1,0]
	v_pk_fma_f16 v86, v55, v72, v86 op_sel_hi:[1,0,1]
	v_pk_fma_f16 v87, v55, v72, v87 op_sel:[0,1,0]
	v_pk_fma_f16 v88, v56, v71, v88 op_sel_hi:[1,0,1]
	v_pk_fma_f16 v89, v56, v71, v89 op_sel:[0,1,0]
	v_pk_fma_f16 v90, v56, v72, v90 op_sel_hi:[1,0,1]
	v_pk_fma_f16 v91, v56, v72, v91 op_sel:[0,1,0]
	s_waitcnt lgkmcnt(2)
	v_pk_fma_f16 v92, v4, v71, v92 op_sel_hi:[1,0,1]
	v_pk_fma_f16 v93, v4, v71, v93 op_sel:[0,1,0]
	v_pk_fma_f16 v94, v5, v71, v94 op_sel_hi:[1,0,1]
	v_pk_fma_f16 v78, v5, v71, v78 op_sel:[0,1,0]
	;; [unrolled: 2-line block ×4, first 2 shown]
	ds_load_2addr_b64 v[55:58], v50 offset0:64 offset1:96
	v_pk_fma_f16 v77, v4, v72, v77 op_sel_hi:[1,0,1]
	v_pk_fma_f16 v73, v4, v72, v73 op_sel:[0,1,0]
	v_pk_fma_f16 v79, v5, v72, v79 op_sel_hi:[1,0,1]
	v_pk_fma_f16 v74, v5, v72, v74 op_sel:[0,1,0]
	;; [unrolled: 2-line block ×4, first 2 shown]
	s_waitcnt lgkmcnt(1)
	v_pk_fma_f16 v72, v8, v51, v59 op_sel_hi:[1,0,1]
	v_pk_fma_f16 v99, v8, v51, v60 op_sel:[0,1,0]
	v_pk_fma_f16 v65, v8, v52, v65 op_sel_hi:[1,0,1]
	v_pk_fma_f16 v66, v8, v52, v66 op_sel:[0,1,0]
	;; [unrolled: 2-line block ×7, first 2 shown]
	ds_load_2addr_b64 v[59:62], v50 offset0:128 offset1:160
	v_pk_fma_f16 v90, v11, v52, v90 op_sel_hi:[1,0,1]
	v_pk_fma_f16 v91, v11, v52, v91 op_sel:[0,1,0]
	ds_load_2addr_b64 v[8:11], v50 offset0:192 offset1:224
	s_waitcnt lgkmcnt(2)
	v_pk_fma_f16 v92, v55, v51, v92 op_sel_hi:[1,0,1]
	v_pk_fma_f16 v93, v55, v51, v93 op_sel:[0,1,0]
	v_pk_fma_f16 v94, v56, v51, v94 op_sel_hi:[1,0,1]
	v_pk_fma_f16 v78, v56, v51, v78 op_sel:[0,1,0]
	;; [unrolled: 2-line block ×3, first 2 shown]
	v_pk_fma_f16 v95, v57, v52, v95 op_sel_hi:[1,0,1]
	v_pk_fma_f16 v96, v58, v51, v96 op_sel_hi:[1,0,1]
	v_pk_fma_f16 v51, v58, v51, v71 op_sel:[0,1,0]
	ds_load_b128 v[4:7], v40 offset:976
	v_pk_fma_f16 v77, v55, v52, v77 op_sel_hi:[1,0,1]
	v_pk_fma_f16 v73, v55, v52, v73 op_sel:[0,1,0]
	v_pk_fma_f16 v79, v56, v52, v79 op_sel_hi:[1,0,1]
	v_pk_fma_f16 v74, v56, v52, v74 op_sel:[0,1,0]
	v_pk_fma_f16 v75, v57, v52, v75 op_sel:[0,1,0]
	v_pk_fma_f16 v69, v58, v52, v69 op_sel_hi:[1,0,1]
	v_pk_fma_f16 v70, v58, v52, v70 op_sel:[0,1,0]
	s_waitcnt lgkmcnt(2)
	v_pk_fma_f16 v71, v59, v53, v72 op_sel_hi:[1,0,1]
	v_pk_fma_f16 v72, v59, v53, v99 op_sel:[0,1,0]
	v_pk_fma_f16 v65, v59, v54, v65 op_sel_hi:[1,0,1]
	v_pk_fma_f16 v59, v59, v54, v66 op_sel:[0,1,0]
	;; [unrolled: 2-line block ×7, first 2 shown]
	ds_load_2addr_b64 v[55:58], v49 offset1:32
	v_pk_fma_f16 v87, v62, v54, v90 op_sel_hi:[1,0,1]
	v_pk_fma_f16 v62, v62, v54, v91 op_sel:[0,1,0]
	s_waitcnt lgkmcnt(2)
	v_pk_fma_f16 v88, v8, v53, v92 op_sel_hi:[1,0,1]
	v_pk_fma_f16 v89, v8, v53, v93 op_sel:[0,1,0]
	v_pk_fma_f16 v90, v9, v53, v94 op_sel_hi:[1,0,1]
	v_pk_fma_f16 v78, v9, v53, v78 op_sel:[0,1,0]
	;; [unrolled: 2-line block ×3, first 2 shown]
	v_pk_fma_f16 v93, v10, v54, v95 op_sel_hi:[1,0,1]
	v_pk_fma_f16 v94, v11, v53, v96 op_sel_hi:[1,0,1]
	v_pk_fma_f16 v95, v11, v53, v51 op_sel:[0,1,0]
	ds_load_2addr_b64 v[50:53], v49 offset0:64 offset1:96
	v_pk_fma_f16 v77, v8, v54, v77 op_sel_hi:[1,0,1]
	v_pk_fma_f16 v73, v8, v54, v73 op_sel:[0,1,0]
	v_pk_fma_f16 v79, v9, v54, v79 op_sel_hi:[1,0,1]
	v_pk_fma_f16 v74, v9, v54, v74 op_sel:[0,1,0]
	v_pk_fma_f16 v75, v10, v54, v75 op_sel:[0,1,0]
	v_pk_fma_f16 v69, v11, v54, v69 op_sel_hi:[1,0,1]
	v_pk_fma_f16 v54, v11, v54, v70 op_sel:[0,1,0]
	ds_load_2addr_b64 v[8:11], v49 offset0:128 offset1:160
	s_waitcnt lgkmcnt(2)
	v_pk_fma_f16 v70, v55, v4, v71 op_sel_hi:[1,0,1]
	v_pk_fma_f16 v71, v55, v4, v72 op_sel:[0,1,0]
	v_pk_fma_f16 v65, v55, v5, v65 op_sel_hi:[1,0,1]
	v_pk_fma_f16 v55, v55, v5, v59 op_sel:[0,1,0]
	;; [unrolled: 2-line block ×8, first 2 shown]
	s_waitcnt lgkmcnt(1)
	v_pk_fma_f16 v84, v50, v4, v88 op_sel_hi:[1,0,1]
	v_pk_fma_f16 v85, v50, v4, v89 op_sel:[0,1,0]
	v_pk_fma_f16 v77, v50, v5, v77 op_sel_hi:[1,0,1]
	v_pk_fma_f16 v73, v50, v5, v73 op_sel:[0,1,0]
	;; [unrolled: 2-line block ×6, first 2 shown]
	ds_load_2addr_b64 v[49:52], v49 offset0:192 offset1:224
	v_pk_fma_f16 v90, v53, v4, v94 op_sel_hi:[1,0,1]
	v_pk_fma_f16 v4, v53, v4, v95 op_sel:[0,1,0]
	v_pk_fma_f16 v69, v53, v5, v69 op_sel_hi:[1,0,1]
	v_pk_fma_f16 v5, v53, v5, v54 op_sel:[0,1,0]
	s_waitcnt lgkmcnt(1)
	v_pk_fma_f16 v70, v8, v6, v70 op_sel_hi:[1,0,1]
	v_pk_fma_f16 v71, v8, v6, v71 op_sel:[0,1,0]
	v_pk_fma_f16 v65, v8, v7, v65 op_sel_hi:[1,0,1]
	v_pk_fma_f16 v91, v8, v7, v55 op_sel:[0,1,0]
	;; [unrolled: 2-line block ×7, first 2 shown]
	v_pk_fma_f16 v76, v11, v7, v76 op_sel_hi:[1,0,1]
	ds_load_2addr_b64 v[53:56], v48 offset1:32
	ds_load_b128 v[57:60], v40 offset:992
	v_pk_fma_f16 v62, v11, v7, v62 op_sel:[0,1,0]
	ds_load_2addr_b64 v[8:11], v48 offset0:64 offset1:96
	s_waitcnt lgkmcnt(3)
	v_pk_fma_f16 v84, v49, v6, v84 op_sel_hi:[1,0,1]
	v_pk_fma_f16 v85, v49, v6, v85 op_sel:[0,1,0]
	v_pk_fma_f16 v77, v49, v7, v77 op_sel_hi:[1,0,1]
	v_pk_fma_f16 v73, v49, v7, v73 op_sel:[0,1,0]
	;; [unrolled: 2-line block ×8, first 2 shown]
	ds_load_2addr_b64 v[49:52], v48 offset0:128 offset1:160
	ds_load_b128 v[4:7], v40 offset:1008
	s_waitcnt lgkmcnt(3)
	v_pk_fma_f16 v70, v53, v57, v70 op_sel_hi:[1,0,1]
	v_pk_fma_f16 v71, v53, v57, v71 op_sel:[0,1,0]
	v_pk_fma_f16 v65, v53, v58, v65 op_sel_hi:[1,0,1]
	v_pk_fma_f16 v91, v53, v58, v91 op_sel:[0,1,0]
	;; [unrolled: 2-line block ×8, first 2 shown]
	s_waitcnt lgkmcnt(2)
	v_pk_fma_f16 v84, v8, v57, v84 op_sel_hi:[1,0,1]
	v_pk_fma_f16 v85, v8, v57, v85 op_sel:[0,1,0]
	v_pk_fma_f16 v77, v8, v58, v77 op_sel_hi:[1,0,1]
	v_pk_fma_f16 v73, v8, v58, v73 op_sel:[0,1,0]
	;; [unrolled: 2-line block ×7, first 2 shown]
	ds_load_2addr_b64 v[53:56], v48 offset0:192 offset1:224
	v_pk_fma_f16 v69, v11, v58, v69 op_sel_hi:[1,0,1]
	v_pk_fma_f16 v58, v11, v58, v97 op_sel:[0,1,0]
	ds_load_2addr_b64 v[8:11], v47 offset1:32
	s_waitcnt lgkmcnt(3)
	v_pk_fma_f16 v70, v49, v59, v70 op_sel_hi:[1,0,1]
	v_pk_fma_f16 v71, v49, v59, v71 op_sel:[0,1,0]
	v_pk_fma_f16 v65, v49, v60, v65 op_sel_hi:[1,0,1]
	v_pk_fma_f16 v91, v49, v60, v91 op_sel:[0,1,0]
	;; [unrolled: 2-line block ×8, first 2 shown]
	ds_load_2addr_b64 v[48:51], v47 offset0:64 offset1:96
	s_waitcnt lgkmcnt(2)
	v_pk_fma_f16 v62, v53, v59, v84 op_sel_hi:[1,0,1]
	v_pk_fma_f16 v84, v53, v59, v85 op_sel:[0,1,0]
	v_pk_fma_f16 v77, v53, v60, v77 op_sel_hi:[1,0,1]
	v_pk_fma_f16 v53, v53, v60, v73 op_sel:[0,1,0]
	;; [unrolled: 2-line block ×8, first 2 shown]
	s_waitcnt lgkmcnt(1)
	v_pk_fma_f16 v58, v8, v4, v70 op_sel_hi:[1,0,1]
	v_pk_fma_f16 v60, v8, v4, v71 op_sel:[0,1,0]
	v_pk_fma_f16 v65, v8, v5, v65 op_sel_hi:[1,0,1]
	v_pk_fma_f16 v69, v8, v5, v91 op_sel:[0,1,0]
	;; [unrolled: 2-line block ×7, first 2 shown]
	ds_load_2addr_b64 v[73:76], v47 offset0:128 offset1:160
	v_pk_fma_f16 v95, v11, v5, v96 op_sel_hi:[1,0,1]
	v_pk_fma_f16 v52, v11, v5, v52 op_sel:[0,1,0]
	ds_load_2addr_b64 v[8:11], v47 offset0:192 offset1:224
	s_waitcnt lgkmcnt(0)
	s_barrier
	buffer_gl0_inv
	s_load_b32 s8, s[4:5], 0x4
	v_pk_fma_f16 v96, v48, v4, v62 op_sel_hi:[1,0,1]
	v_pk_fma_f16 v84, v48, v4, v84 op_sel:[0,1,0]
	v_pk_fma_f16 v97, v48, v5, v77 op_sel_hi:[1,0,1]
	v_pk_fma_f16 v48, v48, v5, v53 op_sel:[0,1,0]
	;; [unrolled: 2-line block ×9, first 2 shown]
	v_pk_fma_f16 v55, v73, v7, v65 op_sel_hi:[1,0,1]
	s_waitcnt lgkmcnt(0)
	s_lshl_b32 s8, s8, 7
	v_pk_fma_f16 v53, v73, v7, v69 op_sel:[0,1,0]
	v_pk_fma_f16 v78, v74, v6, v70 op_sel_hi:[1,0,1]
	v_pk_fma_f16 v71, v74, v6, v71 op_sel:[0,1,0]
	v_pk_fma_f16 v62, v74, v7, v66 op_sel_hi:[1,0,1]
	;; [unrolled: 2-line block ×14, first 2 shown]
	v_pk_fma_f16 v47, v11, v7, v5 op_sel:[0,1,0]
	s_add_i32 s3, s8, s3
	s_delay_alu instid0(SALU_CYCLE_1)
	s_cmp_ge_i32 s3, s34
	s_cbranch_scc1 .LBB13_15
; %bb.14:                               ;   in Loop: Header=BB13_9 Depth=1
	v_dual_mov_b32 v90, v0 :: v_dual_mov_b32 v93, v1
	v_dual_mov_b32 v92, v2 :: v_dual_mov_b32 v91, v3
	;; [unrolled: 1-line block ×4, first 2 shown]
	s_branch .LBB13_9
.LBB13_15:
	v_dual_mov_b32 v6, 32 :: v_dual_mov_b32 v7, v33
.LBB13_16:
	s_delay_alu instid0(VALU_DEP_1)
	v_cmp_lt_i32_e32 vcc_lo, v12, v6
	s_cmp_lg_u64 s[24:25], 0
	s_cselect_b32 s3, -1, 0
	s_cmp_eq_u32 s14, 0
	v_cndmask_b32_e32 v4, v7, v12, vcc_lo
	v_cmp_lt_i32_e32 vcc_lo, v13, v6
	s_cselect_b32 s4, -1, 0
	s_delay_alu instid0(SALU_CYCLE_1) | instskip(NEXT) | instid1(VALU_DEP_2)
	s_and_b32 s3, s4, s3
	v_lshlrev_b32_e32 v4, 2, v4
	ds_bpermute_b32 v5, v4, v83
	s_waitcnt lgkmcnt(0)
	v_add_f32_e32 v5, v83, v5
	ds_bpermute_b32 v9, v4, v81
	v_cndmask_b32_e32 v10, v7, v13, vcc_lo
	ds_bpermute_b32 v8, v4, v82
	ds_bpermute_b32 v4, v4, v80
	v_cmp_lt_i32_e32 vcc_lo, v14, v6
	s_waitcnt lgkmcnt(2)
	v_dual_add_f32 v9, v81, v9 :: v_dual_lshlrev_b32 v10, 2, v10
	s_waitcnt lgkmcnt(0)
	v_add_f32_e32 v4, v80, v4
	ds_bpermute_b32 v13, v10, v9
	s_waitcnt lgkmcnt(0)
	v_add_f32_e32 v9, v9, v13
	ds_bpermute_b32 v11, v10, v5
	v_cndmask_b32_e32 v14, v7, v14, vcc_lo
	v_cmp_lt_i32_e32 vcc_lo, v15, v6
	s_waitcnt lgkmcnt(0)
	s_delay_alu instid0(VALU_DEP_2)
	v_dual_add_f32 v5, v5, v11 :: v_dual_lshlrev_b32 v14, 2, v14
	v_add_f32_e32 v8, v82, v8
	ds_bpermute_b32 v12, v10, v8
	ds_bpermute_b32 v10, v10, v4
	s_waitcnt lgkmcnt(0)
	v_add_f32_e32 v4, v4, v10
	ds_bpermute_b32 v10, v14, v5
	ds_bpermute_b32 v13, v14, v4
	s_waitcnt lgkmcnt(1)
	v_dual_add_f32 v5, v5, v10 :: v_dual_add_f32 v8, v8, v12
	ds_bpermute_b32 v12, v14, v9
	s_waitcnt lgkmcnt(1)
	v_add_f32_e32 v4, v4, v13
	ds_bpermute_b32 v11, v14, v8
	v_cndmask_b32_e32 v14, v7, v15, vcc_lo
	v_cmp_lt_i32_e32 vcc_lo, v64, v6
	s_delay_alu instid0(VALU_DEP_2)
	v_lshlrev_b32_e32 v14, 2, v14
	v_cndmask_b32_e32 v6, v7, v64, vcc_lo
	s_and_b32 vcc_lo, exec_lo, s3
	ds_bpermute_b32 v10, v14, v5
	ds_bpermute_b32 v13, v14, v4
	s_waitcnt lgkmcnt(3)
	v_dual_add_f32 v9, v9, v12 :: v_dual_lshlrev_b32 v6, 2, v6
	s_waitcnt lgkmcnt(2)
	v_add_f32_e32 v8, v8, v11
	ds_bpermute_b32 v12, v14, v9
	ds_bpermute_b32 v11, v14, v8
	s_waitcnt lgkmcnt(3)
	v_add_f32_e32 v5, v5, v10
	s_waitcnt lgkmcnt(0)
	v_dual_add_f32 v7, v8, v11 :: v_dual_add_f32 v8, v9, v12
	v_add_f32_e32 v9, v4, v13
	ds_bpermute_b32 v4, v6, v5
	ds_bpermute_b32 v10, v6, v7
	;; [unrolled: 1-line block ×4, first 2 shown]
	s_waitcnt lgkmcnt(2)
	v_dual_add_f32 v4, v5, v4 :: v_dual_add_f32 v5, v7, v10
	s_waitcnt lgkmcnt(0)
	v_dual_add_f32 v6, v8, v11 :: v_dual_add_f32 v7, v9, v12
	s_cbranch_vccz .LBB13_19
; %bb.17:
	s_ashr_i32 s3, s2, 31
	v_dual_mov_b32 v8, 0 :: v_dual_max_f32 v13, v1, v1
	s_lshl_b64 s[4:5], s[2:3], 2
	s_delay_alu instid0(SALU_CYCLE_1)
	s_add_u32 s4, s24, s4
	s_addc_u32 s5, s25, s5
	global_load_b128 v[8:11], v8, s[4:5]
	v_max_f32_e32 v12, v0, v0
	s_waitcnt vmcnt(0)
	v_dual_max_f32 v14, v2, v2 :: v_dual_max_f32 v15, v8, v8
	v_dual_max_f32 v19, v9, v9 :: v_dual_max_f32 v20, v10, v10
	v_max_f32_e32 v21, v11, v11
	s_delay_alu instid0(VALU_DEP_2) | instskip(NEXT) | instid1(VALU_DEP_1)
	v_dual_max_f32 v13, v13, v19 :: v_dual_max_f32 v14, v14, v20
	v_dual_max_f32 v18, v3, v3 :: v_dual_sub_f32 v19, v1, v13
	s_delay_alu instid0(VALU_DEP_1) | instskip(NEXT) | instid1(VALU_DEP_3)
	v_dual_max_f32 v12, v12, v15 :: v_dual_max_f32 v15, v18, v21
	v_dual_sub_f32 v20, v2, v14 :: v_dual_sub_f32 v9, v9, v13
	v_sub_f32_e32 v10, v10, v14
	s_delay_alu instid0(VALU_DEP_3) | instskip(NEXT) | instid1(VALU_DEP_4)
	v_sub_f32_e32 v18, v0, v12
	v_dual_sub_f32 v8, v8, v12 :: v_dual_sub_f32 v21, v3, v15
	v_dual_mov_b32 v0, v12 :: v_dual_mov_b32 v3, v15
	v_dual_mov_b32 v1, v13 :: v_dual_mov_b32 v2, v14
	s_delay_alu instid0(VALU_DEP_3) | instskip(SKIP_3) | instid1(VALU_DEP_4)
	v_dual_mul_f32 v13, 0x3fb8aa3b, v8 :: v_dual_mul_f32 v12, 0x3fb8aa3b, v18
	v_sub_f32_e32 v11, v11, v15
	v_dual_mul_f32 v15, 0x3fb8aa3b, v9 :: v_dual_mul_f32 v14, 0x3fb8aa3b, v19
	v_mul_f32_e32 v23, 0x3fb8aa3b, v10
	v_fma_f32 v26, 0x3fb8aa3b, v18, -v12
	v_rndne_f32_e32 v27, v12
	v_fma_f32 v28, 0x3fb8aa3b, v8, -v13
	v_rndne_f32_e32 v29, v13
	v_fma_f32 v33, 0x3fb8aa3b, v9, -v15
	v_fma_f32 v37, 0x3fb8aa3b, v10, -v23
	v_fmac_f32_e32 v26, 0x32a5705f, v18
	v_sub_f32_e32 v12, v12, v27
	v_dual_mul_f32 v22, 0x3fb8aa3b, v20 :: v_dual_mul_f32 v25, 0x3fb8aa3b, v11
	v_fma_f32 v30, 0x3fb8aa3b, v19, -v14
	v_rndne_f32_e32 v32, v14
	v_dual_fmac_f32 v28, 0x32a5705f, v8 :: v_dual_fmac_f32 v37, 0x32a5705f, v10
	v_sub_f32_e32 v13, v13, v29
	v_dual_fmac_f32 v33, 0x32a5705f, v9 :: v_dual_add_f32 v12, v12, v26
	v_rndne_f32_e32 v34, v15
	v_mul_f32_e32 v24, 0x3fb8aa3b, v21
	v_fma_f32 v35, 0x3fb8aa3b, v20, -v22
	v_rndne_f32_e32 v38, v23
	v_fmac_f32_e32 v30, 0x32a5705f, v19
	v_sub_f32_e32 v14, v14, v32
	v_add_f32_e32 v13, v13, v28
	v_exp_f32_e32 v12, v12
	v_sub_f32_e32 v23, v23, v38
	v_rndne_f32_e32 v36, v22
	v_fma_f32 v41, 0x3fb8aa3b, v11, -v25
	v_rndne_f32_e32 v42, v25
	v_cvt_i32_f32_e32 v27, v27
	v_sub_f32_e32 v15, v15, v34
	v_fma_f32 v39, 0x3fb8aa3b, v21, -v24
	v_rndne_f32_e32 v40, v24
	v_dual_fmac_f32 v35, 0x32a5705f, v20 :: v_dual_add_f32 v14, v14, v30
	s_delay_alu instid0(VALU_DEP_4) | instskip(SKIP_4) | instid1(VALU_DEP_2)
	v_add_f32_e32 v15, v15, v33
	v_exp_f32_e32 v13, v13
	v_cvt_i32_f32_e32 v29, v29
	v_dual_sub_f32 v22, v22, v36 :: v_dual_fmac_f32 v39, 0x32a5705f, v21
	v_dual_sub_f32 v24, v24, v40 :: v_dual_fmac_f32 v41, 0x32a5705f, v11
	v_dual_sub_f32 v25, v25, v42 :: v_dual_add_f32 v22, v22, v35
	v_exp_f32_e32 v14, v14
	v_ldexp_f32 v12, v12, v27
	v_cmp_ngt_f32_e32 vcc_lo, 0xc2ce8ed0, v18
	v_cvt_i32_f32_e32 v32, v32
	v_add_f32_e32 v25, v25, v41
	v_exp_f32_e32 v15, v15
	v_ldexp_f32 v13, v13, v29
	v_cndmask_b32_e32 v12, 0, v12, vcc_lo
	v_cmp_ngt_f32_e32 vcc_lo, 0xc2ce8ed0, v8
	v_cvt_i32_f32_e32 v34, v34
	v_dual_add_f32 v23, v23, v37 :: v_dual_add_f32 v24, v24, v39
	v_exp_f32_e32 v22, v22
	v_ldexp_f32 v14, v14, v32
	v_cndmask_b32_e32 v13, 0, v13, vcc_lo
	v_cmp_ngt_f32_e32 vcc_lo, 0xc2ce8ed0, v19
	v_cvt_i32_f32_e32 v36, v36
	v_exp_f32_e32 v23, v23
	v_ldexp_f32 v15, v15, v34
	v_cvt_i32_f32_e32 v38, v38
	v_cndmask_b32_e32 v14, 0, v14, vcc_lo
	v_cmp_ngt_f32_e32 vcc_lo, 0xc2ce8ed0, v9
	v_exp_f32_e32 v24, v24
	v_ldexp_f32 v22, v22, v36
	v_exp_f32_e32 v25, v25
	v_cvt_i32_f32_e32 v26, v40
	v_cndmask_b32_e32 v15, 0, v15, vcc_lo
	v_cmp_ngt_f32_e32 vcc_lo, 0xc2ce8ed0, v20
	v_ldexp_f32 v23, v23, v38
	v_cvt_i32_f32_e32 v28, v42
	v_cndmask_b32_e32 v22, 0, v22, vcc_lo
	v_cmp_ngt_f32_e32 vcc_lo, 0xc2ce8ed0, v10
	v_ldexp_f32 v24, v24, v26
	s_delay_alu instid0(TRANS32_DEP_1) | instid1(VALU_DEP_4)
	v_ldexp_f32 v25, v25, v28
	v_cndmask_b32_e32 v23, 0, v23, vcc_lo
	v_cmp_ngt_f32_e32 vcc_lo, 0xc2ce8ed0, v21
	s_delay_alu instid0(VALU_DEP_4)
	v_cndmask_b32_e32 v24, 0, v24, vcc_lo
	v_cmp_ngt_f32_e32 vcc_lo, 0xc2ce8ed0, v11
	v_cndmask_b32_e32 v25, 0, v25, vcc_lo
	v_cmp_nlt_f32_e32 vcc_lo, 0x42b17218, v18
	v_cndmask_b32_e32 v12, 0x7f800000, v12, vcc_lo
	v_cmp_nlt_f32_e32 vcc_lo, 0x42b17218, v8
	;; [unrolled: 2-line block ×7, first 2 shown]
	s_delay_alu instid0(VALU_DEP_2) | instskip(SKIP_4) | instid1(VALU_DEP_3)
	v_dual_fmac_f32 v10, v6, v14 :: v_dual_fmac_f32 v9, v5, v13
	v_fmac_f32_e32 v8, v4, v12
	v_cvt_f16_f32_e32 v4, v12
	v_cndmask_b32_e32 v15, 0x7f800000, v24, vcc_lo
	v_cmp_nlt_f32_e32 vcc_lo, 0x42b17218, v11
	v_pk_mul_f16 v72, v4, v72 op_sel_hi:[0,1]
	v_pk_mul_f16 v78, v4, v78 op_sel_hi:[0,1]
	;; [unrolled: 1-line block ×8, first 2 shown]
	v_mov_b32_e32 v4, v8
	v_cvt_f16_f32_e32 v5, v13
	v_cndmask_b32_e32 v11, 0x7f800000, v25, vcc_lo
	s_delay_alu instid0(VALU_DEP_2)
	v_pk_mul_f16 v63, v5, v63 op_sel_hi:[0,1]
	v_pk_mul_f16 v71, v5, v71 op_sel_hi:[0,1]
	;; [unrolled: 1-line block ×8, first 2 shown]
	v_mov_b32_e32 v5, v9
	v_cvt_f16_f32_e32 v6, v14
	s_delay_alu instid0(VALU_DEP_1)
	v_pk_mul_f16 v55, v6, v55 op_sel_hi:[0,1]
	v_pk_mul_f16 v62, v6, v62 op_sel_hi:[0,1]
	;; [unrolled: 1-line block ×8, first 2 shown]
	v_dual_mov_b32 v6, v10 :: v_dual_fmac_f32 v11, v7, v15
	v_cvt_f16_f32_e32 v7, v15
	s_delay_alu instid0(VALU_DEP_1)
	v_pk_mul_f16 v53, v7, v53 op_sel_hi:[0,1]
	v_pk_mul_f16 v54, v7, v54 op_sel_hi:[0,1]
	;; [unrolled: 1-line block ×8, first 2 shown]
	v_mov_b32_e32 v7, v11
	s_mov_b32 s3, exec_lo
	v_cmpx_gt_i32_e64 s6, v16
	s_cbranch_execnz .LBB13_20
.LBB13_18:
	s_nop 0
	s_sendmsg sendmsg(MSG_DEALLOC_VGPRS)
	s_endpgm
.LBB13_19:
	s_delay_alu instid0(VALU_DEP_1)
	v_dual_mov_b32 v11, v7 :: v_dual_mov_b32 v10, v6
	v_dual_mov_b32 v9, v5 :: v_dual_mov_b32 v8, v4
	s_mov_b32 s3, exec_lo
	v_cmpx_gt_i32_e64 s6, v16
	s_cbranch_execz .LBB13_18
.LBB13_20:
	s_load_b32 s1, s[0:1], 0xd4
	v_mov_b32_e32 v14, 1.0
	s_waitcnt lgkmcnt(0)
	s_cmp_lg_u32 s1, 1
	s_cselect_b32 s4, -1, 0
	s_cmp_eq_u32 s1, 1
	s_cselect_b32 s3, -1, 0
	s_and_b32 vcc_lo, exec_lo, s4
	s_cbranch_vccnz .LBB13_22
; %bb.21:
	v_div_scale_f32 v12, null, v4, v4, 1.0
	s_delay_alu instid0(VALU_DEP_1) | instskip(SKIP_2) | instid1(VALU_DEP_1)
	v_rcp_f32_e32 v13, v12
	s_waitcnt_depctr 0xfff
	v_fma_f32 v14, -v12, v13, 1.0
	v_fmac_f32_e32 v13, v14, v13
	v_div_scale_f32 v14, vcc_lo, 1.0, v4, 1.0
	s_delay_alu instid0(VALU_DEP_1) | instskip(NEXT) | instid1(VALU_DEP_1)
	v_mul_f32_e32 v15, v14, v13
	v_fma_f32 v18, -v12, v15, v14
	s_delay_alu instid0(VALU_DEP_1) | instskip(NEXT) | instid1(VALU_DEP_1)
	v_fmac_f32_e32 v15, v18, v13
	v_fma_f32 v12, -v12, v15, v14
	s_delay_alu instid0(VALU_DEP_1) | instskip(NEXT) | instid1(VALU_DEP_1)
	v_div_fmas_f32 v12, v12, v13, v15
	v_div_fixup_f32 v14, v12, v4, 1.0
.LBB13_22:
	v_mad_u64_u32 v[12:13], null, s12, s6, v[16:17]
	v_lshrrev_b32_e32 v4, 16, v78
	v_cmp_eq_u32_e32 vcc_lo, 0, v17
	v_cvt_f32_f16_e32 v17, v78
	v_lshrrev_b32_e32 v18, 16, v72
	v_mov_b32_e32 v28, 0
	v_lshrrev_b32_e32 v19, 16, v79
	v_mad_u64_u32 v[15:16], null, v12, s7, s[2:3]
	v_mul_f32_e32 v17, v14, v17
	v_cvt_f32_f16_e32 v16, v72
	v_cvt_f32_f16_e32 v23, v77
	;; [unrolled: 1-line block ×5, first 2 shown]
	v_mad_u64_u32 v[12:13], null, s1, v15, s[14:15]
	v_dual_mul_f32 v15, v14, v16 :: v_dual_mov_b32 v24, v28
	v_mul_f32_e32 v19, v14, v23
	v_lshrrev_b32_e32 v13, 16, v76
	v_cvt_f32_f16_e32 v20, v79
	v_lshrrev_b32_e32 v22, 16, v77
	v_lshl_add_u32 v27, v12, 9, v31
	v_mul_f32_e32 v18, v14, v4
	v_lshrrev_b32_e32 v4, 16, v75
	v_cvt_f32_f16_e32 v13, v13
	v_mul_f32_e32 v21, v14, v20
	v_add_nc_u32_e32 v23, 0x80, v27
	v_lshlrev_b64 v[25:26], 2, v[27:28]
	v_mul_f32_e32 v16, v14, v29
	v_cvt_f32_f16_e32 v4, v4
	v_cvt_f32_f16_e32 v20, v22
	v_lshlrev_b64 v[23:24], 2, v[23:24]
	v_mul_f32_e32 v22, v14, v30
	v_add_co_u32 v32, s0, s28, v25
	s_delay_alu instid0(VALU_DEP_1) | instskip(NEXT) | instid1(VALU_DEP_4)
	v_add_co_ci_u32_e64 v33, s0, s29, v26, s0
	v_add_co_u32 v34, s0, s28, v23
	s_delay_alu instid0(VALU_DEP_1)
	v_add_co_ci_u32_e64 v35, s0, s29, v24, s0
	v_add_nc_u32_e32 v23, 0x100, v27
	v_dual_mov_b32 v24, v28 :: v_dual_add_nc_u32 v27, 0x180, v27
	v_mul_f32_e32 v26, v14, v13
	v_lshrrev_b32_e32 v13, 16, v73
	v_cvt_f32_f16_e32 v36, v75
	s_delay_alu instid0(VALU_DEP_4)
	v_lshlrev_b64 v[38:39], 2, v[27:28]
	v_lshlrev_b64 v[29:30], 2, v[23:24]
	v_mul_f32_e32 v24, v14, v4
	v_lshrrev_b32_e32 v4, 16, v74
	v_cvt_f32_f16_e32 v13, v13
	v_cvt_f32_f16_e32 v25, v76
	v_mul_f32_e32 v23, v14, v36
	v_add_co_u32 v36, s0, s28, v29
	v_cvt_f32_f16_e32 v4, v4
	v_cvt_f32_f16_e32 v29, v74
	;; [unrolled: 1-line block ×3, first 2 shown]
	v_add_co_ci_u32_e64 v37, s0, s29, v30, s0
	v_mul_f32_e32 v28, v14, v13
	v_add_co_u32 v13, s0, s28, v38
	v_mul_f32_e32 v20, v14, v20
	v_mul_f32_e32 v25, v14, v25
	;; [unrolled: 1-line block ×5, first 2 shown]
	v_add_co_ci_u32_e64 v14, s0, s29, v39, s0
	s_and_b32 s0, vcc_lo, s4
	s_clause 0x3
	global_store_b128 v[32:33], v[15:18], off
	global_store_b128 v[34:35], v[19:22], off
	;; [unrolled: 1-line block ×4, first 2 shown]
	s_and_saveexec_b32 s2, s0
	s_cbranch_execz .LBB13_24
; %bb.23:
	v_ashrrev_i32_e32 v13, 31, v12
	v_mov_b32_e32 v15, v0
	v_mov_b32_e32 v16, v8
	s_delay_alu instid0(VALU_DEP_3) | instskip(NEXT) | instid1(VALU_DEP_1)
	v_lshlrev_b64 v[13:14], 3, v[12:13]
	v_add_co_u32 v13, vcc_lo, s30, v13
	s_delay_alu instid0(VALU_DEP_2)
	v_add_co_ci_u32_e32 v14, vcc_lo, s31, v14, vcc_lo
	global_store_b64 v[13:14], v[15:16], off
.LBB13_24:
	s_or_b32 exec_lo, exec_lo, s2
	v_cndmask_b32_e64 v13, 0, 1, s3
	v_mov_b32_e32 v0, 1.0
	s_and_not1_b32 vcc_lo, exec_lo, s3
	s_cbranch_vccnz .LBB13_26
; %bb.25:
	v_div_scale_f32 v0, null, v5, v5, 1.0
	s_delay_alu instid0(VALU_DEP_1) | instskip(SKIP_2) | instid1(VALU_DEP_1)
	v_rcp_f32_e32 v4, v0
	s_waitcnt_depctr 0xfff
	v_fma_f32 v8, -v0, v4, 1.0
	v_fmac_f32_e32 v4, v8, v4
	v_div_scale_f32 v8, vcc_lo, 1.0, v5, 1.0
	s_delay_alu instid0(VALU_DEP_1) | instskip(NEXT) | instid1(VALU_DEP_1)
	v_mul_f32_e32 v14, v8, v4
	v_fma_f32 v15, -v0, v14, v8
	s_delay_alu instid0(VALU_DEP_1) | instskip(NEXT) | instid1(VALU_DEP_1)
	v_fmac_f32_e32 v14, v15, v4
	v_fma_f32 v0, -v0, v14, v8
	s_delay_alu instid0(VALU_DEP_1) | instskip(NEXT) | instid1(VALU_DEP_1)
	v_div_fmas_f32 v0, v0, v4, v14
	v_div_fixup_f32 v0, v0, v5, 1.0
.LBB13_26:
	v_dual_mov_b32 v27, 0 :: v_dual_add_nc_u32 v4, s1, v12
	v_lshrrev_b32_e32 v5, 16, v71
	v_cvt_f32_f16_e32 v8, v71
	v_lshrrev_b32_e32 v20, 16, v70
	s_delay_alu instid0(VALU_DEP_4)
	v_lshl_add_u32 v26, v4, 9, v31
	v_lshrrev_b32_e32 v12, 16, v63
	v_cvt_f32_f16_e32 v5, v5
	v_mul_f32_e32 v16, v0, v8
	v_cvt_f32_f16_e32 v8, v20
	v_lshlrev_b64 v[18:19], 2, v[26:27]
	v_cvt_f32_f16_e32 v14, v63
	v_mul_f32_e32 v17, v0, v5
	v_lshrrev_b32_e32 v5, 16, v68
	v_cvt_f32_f16_e32 v12, v12
	v_mul_f32_e32 v21, v0, v8
	v_add_co_u32 v32, vcc_lo, s28, v18
	v_add_co_ci_u32_e32 v33, vcc_lo, s29, v19, vcc_lo
	v_dual_mov_b32 v19, v27 :: v_dual_add_nc_u32 v18, 0x80, v26
	v_cvt_f32_f16_e32 v5, v5
	v_lshrrev_b32_e32 v8, 16, v67
	v_mul_f32_e32 v14, v0, v14
	v_mul_f32_e32 v15, v0, v12
	v_lshlrev_b64 v[22:23], 2, v[18:19]
	v_mul_f32_e32 v19, v0, v5
	v_lshrrev_b32_e32 v5, 16, v69
	v_cvt_f32_f16_e32 v12, v70
	v_cvt_f32_f16_e32 v8, v8
	;; [unrolled: 1-line block ×3, first 2 shown]
	v_add_co_u32 v34, vcc_lo, s28, v22
	v_add_nc_u32_e32 v22, 0x100, v26
	v_add_co_ci_u32_e32 v35, vcc_lo, s29, v23, vcc_lo
	v_mov_b32_e32 v23, v27
	v_cvt_f32_f16_e32 v5, v5
	v_add_nc_u32_e32 v26, 0x180, v26
	v_mul_f32_e32 v20, v0, v12
	v_cvt_f32_f16_e32 v12, v69
	v_lshlrev_b64 v[28:29], 2, v[22:23]
	v_cvt_f32_f16_e32 v30, v67
	v_mul_f32_e32 v25, v0, v5
	v_mul_f32_e32 v23, v0, v8
	v_lshrrev_b32_e32 v5, 16, v66
	v_lshrrev_b32_e32 v8, 16, v65
	v_lshlrev_b64 v[38:39], 2, v[26:27]
	v_mul_f32_e32 v18, v0, v24
	v_mul_f32_e32 v24, v0, v12
	;; [unrolled: 1-line block ×3, first 2 shown]
	v_add_co_u32 v36, vcc_lo, s28, v28
	v_cvt_f32_f16_e32 v5, v5
	v_cvt_f32_f16_e32 v12, v66
	;; [unrolled: 1-line block ×4, first 2 shown]
	v_add_co_ci_u32_e32 v37, vcc_lo, s29, v29, vcc_lo
	v_add_co_u32 v38, vcc_lo, s28, v38
	v_mul_f32_e32 v29, v0, v5
	v_mul_f32_e32 v28, v0, v12
	;; [unrolled: 1-line block ×4, first 2 shown]
	v_add_co_ci_u32_e32 v39, vcc_lo, s29, v39, vcc_lo
	s_clause 0x3
	global_store_b128 v[32:33], v[14:17], off
	global_store_b128 v[34:35], v[18:21], off
	;; [unrolled: 1-line block ×4, first 2 shown]
	s_and_saveexec_b32 s2, s0
	s_cbranch_execz .LBB13_28
; %bb.27:
	v_ashrrev_i32_e32 v5, 31, v4
	v_mov_b32_e32 v8, v1
	s_delay_alu instid0(VALU_DEP_2) | instskip(NEXT) | instid1(VALU_DEP_1)
	v_lshlrev_b64 v[14:15], 3, v[4:5]
	v_add_co_u32 v14, vcc_lo, s30, v14
	s_delay_alu instid0(VALU_DEP_2)
	v_add_co_ci_u32_e32 v15, vcc_lo, s31, v15, vcc_lo
	global_store_b64 v[14:15], v[8:9], off
.LBB13_28:
	s_or_b32 exec_lo, exec_lo, s2
	v_cmp_ne_u32_e32 vcc_lo, 1, v13
	v_mov_b32_e32 v1, 1.0
	s_cbranch_vccnz .LBB13_30
; %bb.29:
	v_div_scale_f32 v0, null, v6, v6, 1.0
	s_delay_alu instid0(VALU_DEP_1) | instskip(SKIP_2) | instid1(VALU_DEP_1)
	v_rcp_f32_e32 v1, v0
	s_waitcnt_depctr 0xfff
	v_fma_f32 v5, -v0, v1, 1.0
	v_fmac_f32_e32 v1, v5, v1
	v_div_scale_f32 v5, vcc_lo, 1.0, v6, 1.0
	s_delay_alu instid0(VALU_DEP_1) | instskip(NEXT) | instid1(VALU_DEP_1)
	v_mul_f32_e32 v8, v5, v1
	v_fma_f32 v9, -v0, v8, v5
	s_delay_alu instid0(VALU_DEP_1) | instskip(NEXT) | instid1(VALU_DEP_1)
	v_fmac_f32_e32 v8, v9, v1
	v_fma_f32 v0, -v0, v8, v5
	s_delay_alu instid0(VALU_DEP_1) | instskip(NEXT) | instid1(VALU_DEP_1)
	v_div_fmas_f32 v0, v0, v1, v8
	v_div_fixup_f32 v1, v0, v6, 1.0
.LBB13_30:
	v_lshrrev_b32_e32 v6, 16, v62
	v_dual_mov_b32 v5, 0 :: v_dual_add_nc_u32 v0, s1, v4
	v_cvt_f32_f16_e32 v12, v62
	v_lshrrev_b32_e32 v18, 16, v61
	s_delay_alu instid0(VALU_DEP_4) | instskip(NEXT) | instid1(VALU_DEP_4)
	v_cvt_f32_f16_e32 v6, v6
	v_lshl_add_u32 v4, v0, 9, v31
	v_lshrrev_b32_e32 v8, 16, v55
	v_mul_f32_e32 v16, v1, v12
	v_cvt_f32_f16_e32 v12, v18
	s_delay_alu instid0(VALU_DEP_4)
	v_dual_mul_f32 v17, v1, v6 :: v_dual_add_nc_u32 v18, 0x80, v4
	v_lshrrev_b32_e32 v6, 16, v59
	v_mov_b32_e32 v19, v5
	v_cvt_f32_f16_e32 v15, v8
	v_lshlrev_b64 v[8:9], 2, v[4:5]
	v_mul_f32_e32 v21, v1, v12
	v_cvt_f32_f16_e32 v6, v6
	v_lshlrev_b64 v[22:23], 2, v[18:19]
	v_lshrrev_b32_e32 v12, 16, v58
	v_mul_f32_e32 v15, v1, v15
	v_add_co_u32 v8, vcc_lo, s28, v8
	v_mul_f32_e32 v19, v1, v6
	v_lshrrev_b32_e32 v6, 16, v60
	v_add_co_ci_u32_e32 v9, vcc_lo, s29, v9, vcc_lo
	v_add_co_u32 v32, vcc_lo, s28, v22
	v_add_nc_u32_e32 v22, 0x100, v4
	v_add_co_ci_u32_e32 v33, vcc_lo, s29, v23, vcc_lo
	v_mov_b32_e32 v23, v5
	v_cvt_f32_f16_e32 v6, v6
	v_cvt_f32_f16_e32 v12, v12
	v_add_nc_u32_e32 v4, 0x180, v4
	v_cvt_f32_f16_e32 v24, v59
	v_lshlrev_b64 v[26:27], 2, v[22:23]
	v_mul_f32_e32 v25, v1, v6
	v_mul_f32_e32 v23, v1, v12
	v_lshrrev_b32_e32 v6, 16, v57
	v_lshrrev_b32_e32 v12, 16, v56
	v_cvt_f32_f16_e32 v14, v55
	v_lshlrev_b64 v[4:5], 2, v[4:5]
	v_cvt_f32_f16_e32 v20, v61
	v_mul_f32_e32 v18, v1, v24
	v_cvt_f32_f16_e32 v24, v60
	v_cvt_f32_f16_e32 v28, v58
	v_add_co_u32 v34, vcc_lo, s28, v26
	v_cvt_f32_f16_e32 v6, v6
	v_cvt_f32_f16_e32 v26, v57
	;; [unrolled: 1-line block ×4, first 2 shown]
	v_mul_f32_e32 v14, v1, v14
	v_add_co_ci_u32_e32 v35, vcc_lo, s29, v27, vcc_lo
	v_mul_f32_e32 v20, v1, v20
	v_add_co_u32 v4, vcc_lo, s28, v4
	v_mul_f32_e32 v24, v1, v24
	v_mul_f32_e32 v22, v1, v28
	;; [unrolled: 1-line block ×6, first 2 shown]
	v_add_co_ci_u32_e32 v5, vcc_lo, s29, v5, vcc_lo
	s_clause 0x3
	global_store_b128 v[8:9], v[14:17], off
	global_store_b128 v[32:33], v[18:21], off
	;; [unrolled: 1-line block ×4, first 2 shown]
	s_and_saveexec_b32 s2, s0
	s_cbranch_execz .LBB13_32
; %bb.31:
	v_ashrrev_i32_e32 v1, 31, v0
	v_mov_b32_e32 v9, v2
	s_delay_alu instid0(VALU_DEP_2) | instskip(NEXT) | instid1(VALU_DEP_1)
	v_lshlrev_b64 v[4:5], 3, v[0:1]
	v_add_co_u32 v4, vcc_lo, s30, v4
	s_delay_alu instid0(VALU_DEP_2)
	v_add_co_ci_u32_e32 v5, vcc_lo, s31, v5, vcc_lo
	global_store_b64 v[4:5], v[9:10], off
.LBB13_32:
	s_or_b32 exec_lo, exec_lo, s2
	v_cmp_ne_u32_e32 vcc_lo, 1, v13
	v_mov_b32_e32 v1, 1.0
	s_cbranch_vccnz .LBB13_34
; %bb.33:
	v_div_scale_f32 v1, null, v7, v7, 1.0
	s_delay_alu instid0(VALU_DEP_1) | instskip(SKIP_2) | instid1(VALU_DEP_1)
	v_rcp_f32_e32 v2, v1
	s_waitcnt_depctr 0xfff
	v_fma_f32 v4, -v1, v2, 1.0
	v_fmac_f32_e32 v2, v4, v2
	v_div_scale_f32 v4, vcc_lo, 1.0, v7, 1.0
	s_delay_alu instid0(VALU_DEP_1) | instskip(NEXT) | instid1(VALU_DEP_1)
	v_mul_f32_e32 v5, v4, v2
	v_fma_f32 v6, -v1, v5, v4
	s_delay_alu instid0(VALU_DEP_1) | instskip(NEXT) | instid1(VALU_DEP_1)
	v_fmac_f32_e32 v5, v6, v2
	v_fma_f32 v1, -v1, v5, v4
	s_delay_alu instid0(VALU_DEP_1) | instskip(NEXT) | instid1(VALU_DEP_1)
	v_div_fmas_f32 v1, v1, v2, v5
	v_div_fixup_f32 v1, v1, v7, 1.0
.LBB13_34:
	v_dual_mov_b32 v9, 0 :: v_dual_add_nc_u32 v0, s1, v0
	v_lshrrev_b32_e32 v2, 16, v54
	v_cvt_f32_f16_e32 v4, v54
	v_cvt_f32_f16_e32 v7, v53
	s_delay_alu instid0(VALU_DEP_4)
	v_lshl_add_u32 v8, v0, 9, v31
	v_lshrrev_b32_e32 v10, 16, v52
	v_cvt_f32_f16_e32 v2, v2
	v_mul_f32_e32 v6, v1, v4
	v_mul_f32_e32 v4, v1, v7
	v_lshlrev_b64 v[12:13], 2, v[8:9]
	v_lshrrev_b32_e32 v5, 16, v53
	v_mul_f32_e32 v7, v1, v2
	v_lshrrev_b32_e32 v2, 16, v50
	v_cvt_f32_f16_e32 v10, v10
	v_cvt_f32_f16_e32 v18, v50
	v_add_co_u32 v24, vcc_lo, s28, v12
	v_add_nc_u32_e32 v12, 0x80, v8
	v_add_co_ci_u32_e32 v25, vcc_lo, s29, v13, vcc_lo
	v_mov_b32_e32 v13, v9
	v_cvt_f32_f16_e32 v2, v2
	v_cvt_f32_f16_e32 v5, v5
	v_mul_f32_e32 v15, v1, v10
	v_lshrrev_b32_e32 v10, 16, v49
	v_lshlrev_b64 v[16:17], 2, v[12:13]
	v_mul_f32_e32 v13, v1, v2
	v_lshrrev_b32_e32 v2, 16, v51
	v_mul_f32_e32 v5, v1, v5
	v_cvt_f32_f16_e32 v10, v10
	v_cvt_f32_f16_e32 v14, v52
	v_add_co_u32 v26, vcc_lo, s28, v16
	v_add_nc_u32_e32 v16, 0x100, v8
	v_add_co_ci_u32_e32 v27, vcc_lo, s29, v17, vcc_lo
	v_mov_b32_e32 v17, v9
	v_cvt_f32_f16_e32 v2, v2
	v_add_nc_u32_e32 v8, 0x180, v8
	v_mul_f32_e32 v12, v1, v18
	v_cvt_f32_f16_e32 v18, v51
	v_lshlrev_b64 v[20:21], 2, v[16:17]
	v_mul_f32_e32 v19, v1, v2
	v_mul_f32_e32 v17, v1, v10
	v_lshrrev_b32_e32 v2, 16, v47
	v_lshrrev_b32_e32 v10, 16, v48
	v_lshlrev_b64 v[8:9], 2, v[8:9]
	v_cvt_f32_f16_e32 v22, v49
	v_add_co_u32 v28, vcc_lo, s28, v20
	v_cvt_f32_f16_e32 v2, v2
	v_cvt_f32_f16_e32 v20, v47
	;; [unrolled: 1-line block ×4, first 2 shown]
	v_add_co_ci_u32_e32 v29, vcc_lo, s29, v21, vcc_lo
	v_mul_f32_e32 v14, v1, v14
	v_mul_f32_e32 v18, v1, v18
	;; [unrolled: 1-line block ×7, first 2 shown]
	v_add_co_u32 v1, vcc_lo, s28, v8
	v_add_co_ci_u32_e32 v2, vcc_lo, s29, v9, vcc_lo
	s_clause 0x3
	global_store_b128 v[24:25], v[4:7], off
	global_store_b128 v[26:27], v[12:15], off
	;; [unrolled: 1-line block ×4, first 2 shown]
	s_and_b32 exec_lo, exec_lo, s0
	s_cbranch_execz .LBB13_18
; %bb.35:
	v_ashrrev_i32_e32 v1, 31, v0
	v_mov_b32_e32 v10, v3
	s_delay_alu instid0(VALU_DEP_2) | instskip(NEXT) | instid1(VALU_DEP_1)
	v_lshlrev_b64 v[0:1], 3, v[0:1]
	v_add_co_u32 v0, vcc_lo, s30, v0
	s_delay_alu instid0(VALU_DEP_2)
	v_add_co_ci_u32_e32 v1, vcc_lo, s31, v1, vcc_lo
	global_store_b64 v[0:1], v[10:11], off
	s_nop 0
	s_sendmsg sendmsg(MSG_DEALLOC_VGPRS)
	s_endpgm
	.section	.rodata,"a",@progbits
	.p2align	6, 0x0
	.amdhsa_kernel _ZL15flash_attn_tileILi512ELi512ELi8ELi4ELb0EEvPKcS1_S1_S1_S1_PKiPfP15HIP_vector_typeIfLj2EEffffjfiS5_IjLj3EEiiiiiiiiiiiliiliiiiil
		.amdhsa_group_segment_fixed_size 59392
		.amdhsa_private_segment_fixed_size 0
		.amdhsa_kernarg_size 464
		.amdhsa_user_sgpr_count 13
		.amdhsa_user_sgpr_dispatch_ptr 0
		.amdhsa_user_sgpr_queue_ptr 0
		.amdhsa_user_sgpr_kernarg_segment_ptr 1
		.amdhsa_user_sgpr_dispatch_id 0
		.amdhsa_user_sgpr_private_segment_size 0
		.amdhsa_wavefront_size32 1
		.amdhsa_uses_dynamic_stack 0
		.amdhsa_enable_private_segment 0
		.amdhsa_system_sgpr_workgroup_id_x 1
		.amdhsa_system_sgpr_workgroup_id_y 1
		.amdhsa_system_sgpr_workgroup_id_z 1
		.amdhsa_system_sgpr_workgroup_info 0
		.amdhsa_system_vgpr_workitem_id 1
		.amdhsa_next_free_vgpr 209
		.amdhsa_next_free_sgpr 40
		.amdhsa_reserve_vcc 1
		.amdhsa_float_round_mode_32 0
		.amdhsa_float_round_mode_16_64 0
		.amdhsa_float_denorm_mode_32 3
		.amdhsa_float_denorm_mode_16_64 3
		.amdhsa_dx10_clamp 1
		.amdhsa_ieee_mode 1
		.amdhsa_fp16_overflow 0
		.amdhsa_workgroup_processor_mode 1
		.amdhsa_memory_ordered 1
		.amdhsa_forward_progress 0
		.amdhsa_shared_vgpr_count 0
		.amdhsa_exception_fp_ieee_invalid_op 0
		.amdhsa_exception_fp_denorm_src 0
		.amdhsa_exception_fp_ieee_div_zero 0
		.amdhsa_exception_fp_ieee_overflow 0
		.amdhsa_exception_fp_ieee_underflow 0
		.amdhsa_exception_fp_ieee_inexact 0
		.amdhsa_exception_int_div_zero 0
	.end_amdhsa_kernel
	.section	.text._ZL15flash_attn_tileILi512ELi512ELi8ELi4ELb0EEvPKcS1_S1_S1_S1_PKiPfP15HIP_vector_typeIfLj2EEffffjfiS5_IjLj3EEiiiiiiiiiiiliiliiiiil,"axG",@progbits,_ZL15flash_attn_tileILi512ELi512ELi8ELi4ELb0EEvPKcS1_S1_S1_S1_PKiPfP15HIP_vector_typeIfLj2EEffffjfiS5_IjLj3EEiiiiiiiiiiiliiliiiiil,comdat
.Lfunc_end13:
	.size	_ZL15flash_attn_tileILi512ELi512ELi8ELi4ELb0EEvPKcS1_S1_S1_S1_PKiPfP15HIP_vector_typeIfLj2EEffffjfiS5_IjLj3EEiiiiiiiiiiiliiliiiiil, .Lfunc_end13-_ZL15flash_attn_tileILi512ELi512ELi8ELi4ELb0EEvPKcS1_S1_S1_S1_PKiPfP15HIP_vector_typeIfLj2EEffffjfiS5_IjLj3EEiiiiiiiiiiiliiliiiiil
                                        ; -- End function
	.section	.AMDGPU.csdata,"",@progbits
; Kernel info:
; codeLenInByte = 91696
; NumSgprs: 42
; NumVgprs: 209
; ScratchSize: 0
; MemoryBound: 0
; FloatMode: 240
; IeeeMode: 1
; LDSByteSize: 59392 bytes/workgroup (compile time only)
; SGPRBlocks: 5
; VGPRBlocks: 26
; NumSGPRsForWavesPerEU: 42
; NumVGPRsForWavesPerEU: 209
; Occupancy: 4
; WaveLimiterHint : 1
; COMPUTE_PGM_RSRC2:SCRATCH_EN: 0
; COMPUTE_PGM_RSRC2:USER_SGPR: 13
; COMPUTE_PGM_RSRC2:TRAP_HANDLER: 0
; COMPUTE_PGM_RSRC2:TGID_X_EN: 1
; COMPUTE_PGM_RSRC2:TGID_Y_EN: 1
; COMPUTE_PGM_RSRC2:TGID_Z_EN: 1
; COMPUTE_PGM_RSRC2:TIDIG_COMP_CNT: 1
	.section	.text._ZL25flash_attn_mask_to_KV_maxILi8EEvPK7__half2Piiii,"axG",@progbits,_ZL25flash_attn_mask_to_KV_maxILi8EEvPK7__half2Piiii,comdat
	.globl	_ZL25flash_attn_mask_to_KV_maxILi8EEvPK7__half2Piiii ; -- Begin function _ZL25flash_attn_mask_to_KV_maxILi8EEvPK7__half2Piiii
	.p2align	8
	.type	_ZL25flash_attn_mask_to_KV_maxILi8EEvPK7__half2Piiii,@function
_ZL25flash_attn_mask_to_KV_maxILi8EEvPK7__half2Piiii: ; @_ZL25flash_attn_mask_to_KV_maxILi8EEvPK7__half2Piiii
; %bb.0:
	s_load_b128 s[4:7], s[0:1], 0x0
	s_mov_b32 s2, exec_lo
	v_cmpx_gt_u32_e32 32, v0
	s_cbranch_execz .LBB14_2
; %bb.1:
	v_dual_mov_b32 v2, 1 :: v_dual_lshlrev_b32 v1, 2, v0
	ds_store_b32 v1, v2
.LBB14_2:
	s_or_b32 exec_lo, exec_lo, s2
	s_clause 0x1
	s_load_b128 s[8:11], s[0:1], 0x10
	s_load_b32 s1, s[0:1], 0x20
	v_dual_mov_b32 v2, 0 :: v_dual_and_b32 v1, 31, v0
	v_lshrrev_b32_e32 v5, 3, v0
	s_waitcnt lgkmcnt(0)
	s_barrier
	s_delay_alu instid0(VALU_DEP_2) | instskip(SKIP_4) | instid1(SALU_CYCLE_1)
	v_lshlrev_b32_e32 v6, 2, v1
	buffer_gl0_inv
	s_mul_i32 s0, s14, s9
	s_mul_i32 s2, s15, s10
	s_lshl_b32 s0, s0, 3
	s_add_i32 s2, s2, s0
	v_cmp_eq_u32_e64 s0, 0, v1
	s_ashr_i32 s3, s2, 31
	s_delay_alu instid0(SALU_CYCLE_1) | instskip(NEXT) | instid1(SALU_CYCLE_1)
	s_lshl_b64 s[10:11], s[2:3], 2
	s_add_u32 s3, s4, s10
	s_addc_u32 s4, s5, s11
	s_lshl_b32 s5, s8, 8
	s_branch .LBB14_4
.LBB14_3:                               ;   in Loop: Header=BB14_4 Depth=1
	s_or_b32 exec_lo, exec_lo, s10
	s_waitcnt lgkmcnt(0)
	s_barrier
	buffer_gl0_inv
	ds_load_b32 v1, v6
	s_waitcnt lgkmcnt(0)
	s_barrier
	buffer_gl0_inv
	;;#ASMSTART
	;;#ASMEND
	v_cmp_ne_u32_e32 vcc_lo, 0, v1
	s_cmp_lg_u32 vcc_lo, exec_lo
	s_cselect_b32 s8, -1, 0
	s_delay_alu instid0(SALU_CYCLE_1)
	s_and_b32 vcc_lo, exec_lo, s8
	s_cbranch_vccnz .LBB14_36
.LBB14_4:                               ; =>This Inner Loop Header: Depth=1
	s_mov_b32 s2, s5
	s_addk_i32 s5, 0xff00
	s_delay_alu instid0(SALU_CYCLE_1)
	s_cmp_lt_i32 s5, 0
	s_cbranch_scc1 .LBB14_35
; %bb.5:                                ;   in Loop: Header=BB14_4 Depth=1
	s_lshr_b32 s8, s5, 1
	s_mov_b32 s10, 0
	v_add_nc_u32_e32 v1, s8, v0
	s_delay_alu instid0(VALU_DEP_1) | instskip(NEXT) | instid1(VALU_DEP_1)
	v_lshlrev_b64 v[3:4], 2, v[1:2]
	v_add_co_u32 v3, vcc_lo, s3, v3
	s_delay_alu instid0(VALU_DEP_2) | instskip(SKIP_4) | instid1(VALU_DEP_2)
	v_add_co_ci_u32_e32 v4, vcc_lo, s4, v4, vcc_lo
	global_load_b32 v3, v[3:4], off
	s_waitcnt vmcnt(0)
	v_lshrrev_b32_e32 v4, 16, v3
	v_cmp_class_f16_e64 s8, v3, 0x204
	v_and_b32_e32 v4, 0x7fff, v4
	s_delay_alu instid0(VALU_DEP_1) | instskip(NEXT) | instid1(VALU_DEP_3)
	v_cmp_eq_f16_e32 vcc_lo, 0x7c00, v4
	s_and_b32 s11, s8, vcc_lo
	s_delay_alu instid0(SALU_CYCLE_1)
	s_and_saveexec_b32 s8, s11
	s_cbranch_execz .LBB14_33
; %bb.6:                                ;   in Loop: Header=BB14_4 Depth=1
	v_add_nc_u32_e32 v3, s9, v1
	s_mov_b32 s11, 0
	s_delay_alu instid0(VALU_DEP_1) | instskip(NEXT) | instid1(VALU_DEP_1)
	v_ashrrev_i32_e32 v4, 31, v3
	v_lshlrev_b64 v[7:8], 2, v[3:4]
	s_delay_alu instid0(VALU_DEP_1) | instskip(NEXT) | instid1(VALU_DEP_2)
	v_add_co_u32 v7, vcc_lo, s3, v7
	v_add_co_ci_u32_e32 v8, vcc_lo, s4, v8, vcc_lo
	global_load_b32 v1, v[7:8], off
	s_waitcnt vmcnt(0)
	v_cmp_class_f16_e64 s12, v1, 0x204
	s_delay_alu instid0(VALU_DEP_1)
	s_and_saveexec_b32 s10, s12
	s_cbranch_execz .LBB14_32
; %bb.7:                                ;   in Loop: Header=BB14_4 Depth=1
	v_lshrrev_b32_e32 v1, 16, v1
	s_mov_b32 s12, 0
	s_delay_alu instid0(VALU_DEP_1) | instskip(NEXT) | instid1(VALU_DEP_1)
	v_cmp_class_f16_e64 s13, v1, 0x204
	s_and_saveexec_b32 s11, s13
	s_cbranch_execz .LBB14_31
; %bb.8:                                ;   in Loop: Header=BB14_4 Depth=1
	v_add_nc_u32_e32 v3, s9, v3
	s_mov_b32 s13, 0
	s_delay_alu instid0(VALU_DEP_1) | instskip(NEXT) | instid1(VALU_DEP_1)
	v_ashrrev_i32_e32 v4, 31, v3
	v_lshlrev_b64 v[7:8], 2, v[3:4]
	s_delay_alu instid0(VALU_DEP_1) | instskip(NEXT) | instid1(VALU_DEP_2)
	v_add_co_u32 v7, vcc_lo, s3, v7
	v_add_co_ci_u32_e32 v8, vcc_lo, s4, v8, vcc_lo
	global_load_b32 v1, v[7:8], off
	s_waitcnt vmcnt(0)
	v_cmp_class_f16_e64 s16, v1, 0x204
	s_delay_alu instid0(VALU_DEP_1)
	s_and_saveexec_b32 s12, s16
	s_cbranch_execz .LBB14_30
; %bb.9:                                ;   in Loop: Header=BB14_4 Depth=1
	v_lshrrev_b32_e32 v1, 16, v1
	s_mov_b32 s16, 0
	s_delay_alu instid0(VALU_DEP_1) | instskip(NEXT) | instid1(VALU_DEP_1)
	v_cmp_class_f16_e64 s17, v1, 0x204
	s_and_saveexec_b32 s13, s17
	s_cbranch_execz .LBB14_29
; %bb.10:                               ;   in Loop: Header=BB14_4 Depth=1
	v_add_nc_u32_e32 v3, s9, v3
	s_mov_b32 s17, 0
	s_delay_alu instid0(VALU_DEP_1) | instskip(NEXT) | instid1(VALU_DEP_1)
	v_ashrrev_i32_e32 v4, 31, v3
	v_lshlrev_b64 v[7:8], 2, v[3:4]
	s_delay_alu instid0(VALU_DEP_1) | instskip(NEXT) | instid1(VALU_DEP_2)
	v_add_co_u32 v7, vcc_lo, s3, v7
	v_add_co_ci_u32_e32 v8, vcc_lo, s4, v8, vcc_lo
	global_load_b32 v1, v[7:8], off
	s_waitcnt vmcnt(0)
	v_cmp_class_f16_e64 s18, v1, 0x204
	s_delay_alu instid0(VALU_DEP_1)
	s_and_saveexec_b32 s16, s18
	s_cbranch_execz .LBB14_28
; %bb.11:                               ;   in Loop: Header=BB14_4 Depth=1
	v_lshrrev_b32_e32 v1, 16, v1
	s_mov_b32 s18, 0
	s_delay_alu instid0(VALU_DEP_1) | instskip(NEXT) | instid1(VALU_DEP_1)
	v_cmp_class_f16_e64 s19, v1, 0x204
	s_and_saveexec_b32 s17, s19
	s_cbranch_execz .LBB14_27
; %bb.12:                               ;   in Loop: Header=BB14_4 Depth=1
	v_add_nc_u32_e32 v3, s9, v3
	s_mov_b32 s19, 0
	s_delay_alu instid0(VALU_DEP_1) | instskip(NEXT) | instid1(VALU_DEP_1)
	v_ashrrev_i32_e32 v4, 31, v3
	v_lshlrev_b64 v[7:8], 2, v[3:4]
	s_delay_alu instid0(VALU_DEP_1) | instskip(NEXT) | instid1(VALU_DEP_2)
	v_add_co_u32 v7, vcc_lo, s3, v7
	v_add_co_ci_u32_e32 v8, vcc_lo, s4, v8, vcc_lo
	global_load_b32 v1, v[7:8], off
	s_waitcnt vmcnt(0)
	v_cmp_class_f16_e64 s20, v1, 0x204
	s_delay_alu instid0(VALU_DEP_1)
	s_and_saveexec_b32 s18, s20
	s_cbranch_execz .LBB14_26
; %bb.13:                               ;   in Loop: Header=BB14_4 Depth=1
	v_lshrrev_b32_e32 v1, 16, v1
	s_mov_b32 s20, 0
	s_delay_alu instid0(VALU_DEP_1) | instskip(NEXT) | instid1(VALU_DEP_1)
	v_cmp_class_f16_e64 s21, v1, 0x204
	s_and_saveexec_b32 s19, s21
	s_cbranch_execz .LBB14_25
; %bb.14:                               ;   in Loop: Header=BB14_4 Depth=1
	v_add_nc_u32_e32 v3, s9, v3
	s_mov_b32 s21, 0
	s_delay_alu instid0(VALU_DEP_1) | instskip(NEXT) | instid1(VALU_DEP_1)
	v_ashrrev_i32_e32 v4, 31, v3
	v_lshlrev_b64 v[7:8], 2, v[3:4]
	s_delay_alu instid0(VALU_DEP_1) | instskip(NEXT) | instid1(VALU_DEP_2)
	v_add_co_u32 v7, vcc_lo, s3, v7
	v_add_co_ci_u32_e32 v8, vcc_lo, s4, v8, vcc_lo
	global_load_b32 v1, v[7:8], off
	s_waitcnt vmcnt(0)
	v_cmp_class_f16_e64 s22, v1, 0x204
	s_delay_alu instid0(VALU_DEP_1)
	s_and_saveexec_b32 s20, s22
	s_cbranch_execz .LBB14_24
; %bb.15:                               ;   in Loop: Header=BB14_4 Depth=1
	v_lshrrev_b32_e32 v1, 16, v1
	s_mov_b32 s22, 0
	s_delay_alu instid0(VALU_DEP_1) | instskip(NEXT) | instid1(VALU_DEP_1)
	v_cmp_class_f16_e64 s23, v1, 0x204
	s_and_saveexec_b32 s21, s23
	s_cbranch_execz .LBB14_23
; %bb.16:                               ;   in Loop: Header=BB14_4 Depth=1
	v_add_nc_u32_e32 v3, s9, v3
	s_mov_b32 s23, 0
	s_delay_alu instid0(VALU_DEP_1) | instskip(NEXT) | instid1(VALU_DEP_1)
	v_ashrrev_i32_e32 v4, 31, v3
	v_lshlrev_b64 v[7:8], 2, v[3:4]
	s_delay_alu instid0(VALU_DEP_1) | instskip(NEXT) | instid1(VALU_DEP_2)
	v_add_co_u32 v7, vcc_lo, s3, v7
	v_add_co_ci_u32_e32 v8, vcc_lo, s4, v8, vcc_lo
	global_load_b32 v1, v[7:8], off
	s_waitcnt vmcnt(0)
	v_cmp_class_f16_e64 s24, v1, 0x204
	s_delay_alu instid0(VALU_DEP_1)
	s_and_saveexec_b32 s22, s24
	s_cbranch_execz .LBB14_22
; %bb.17:                               ;   in Loop: Header=BB14_4 Depth=1
	v_lshrrev_b32_e32 v1, 16, v1
	s_mov_b32 s24, 0
	s_delay_alu instid0(VALU_DEP_1) | instskip(NEXT) | instid1(VALU_DEP_1)
	v_cmp_class_f16_e64 s25, v1, 0x204
	s_and_saveexec_b32 s23, s25
	s_cbranch_execz .LBB14_21
; %bb.18:                               ;   in Loop: Header=BB14_4 Depth=1
	v_add_nc_u32_e32 v3, s9, v3
	s_delay_alu instid0(VALU_DEP_1) | instskip(NEXT) | instid1(VALU_DEP_1)
	v_ashrrev_i32_e32 v4, 31, v3
	v_lshlrev_b64 v[3:4], 2, v[3:4]
	s_delay_alu instid0(VALU_DEP_1) | instskip(NEXT) | instid1(VALU_DEP_2)
	v_add_co_u32 v3, vcc_lo, s3, v3
	v_add_co_ci_u32_e32 v4, vcc_lo, s4, v4, vcc_lo
	global_load_b32 v1, v[3:4], off
	s_waitcnt vmcnt(0)
	v_cmp_class_f16_e64 s26, v1, 0x204
	s_delay_alu instid0(VALU_DEP_1)
	s_and_saveexec_b32 s25, s26
; %bb.19:                               ;   in Loop: Header=BB14_4 Depth=1
	v_lshrrev_b32_e32 v1, 16, v1
	s_delay_alu instid0(VALU_DEP_1) | instskip(NEXT) | instid1(VALU_DEP_1)
	v_cmp_class_f16_e64 s24, v1, 0x204
	s_and_b32 s24, s24, exec_lo
; %bb.20:                               ;   in Loop: Header=BB14_4 Depth=1
	s_or_b32 exec_lo, exec_lo, s25
	s_delay_alu instid0(SALU_CYCLE_1)
	s_and_b32 s24, s24, exec_lo
.LBB14_21:                              ;   in Loop: Header=BB14_4 Depth=1
	s_or_b32 exec_lo, exec_lo, s23
	s_delay_alu instid0(SALU_CYCLE_1)
	s_and_b32 s23, s24, exec_lo
.LBB14_22:                              ;   in Loop: Header=BB14_4 Depth=1
	s_or_b32 exec_lo, exec_lo, s22
	s_delay_alu instid0(SALU_CYCLE_1)
	s_and_b32 s22, s23, exec_lo
.LBB14_23:                              ;   in Loop: Header=BB14_4 Depth=1
	s_or_b32 exec_lo, exec_lo, s21
	s_delay_alu instid0(SALU_CYCLE_1)
	s_and_b32 s21, s22, exec_lo
.LBB14_24:                              ;   in Loop: Header=BB14_4 Depth=1
	s_or_b32 exec_lo, exec_lo, s20
	s_delay_alu instid0(SALU_CYCLE_1)
	s_and_b32 s20, s21, exec_lo
.LBB14_25:                              ;   in Loop: Header=BB14_4 Depth=1
	s_or_b32 exec_lo, exec_lo, s19
	s_delay_alu instid0(SALU_CYCLE_1)
	s_and_b32 s19, s20, exec_lo
.LBB14_26:                              ;   in Loop: Header=BB14_4 Depth=1
	s_or_b32 exec_lo, exec_lo, s18
	s_delay_alu instid0(SALU_CYCLE_1)
	s_and_b32 s18, s19, exec_lo
.LBB14_27:                              ;   in Loop: Header=BB14_4 Depth=1
	s_or_b32 exec_lo, exec_lo, s17
	s_delay_alu instid0(SALU_CYCLE_1)
	s_and_b32 s17, s18, exec_lo
.LBB14_28:                              ;   in Loop: Header=BB14_4 Depth=1
	s_or_b32 exec_lo, exec_lo, s16
	s_delay_alu instid0(SALU_CYCLE_1)
	s_and_b32 s16, s17, exec_lo
.LBB14_29:                              ;   in Loop: Header=BB14_4 Depth=1
	s_or_b32 exec_lo, exec_lo, s13
	s_delay_alu instid0(SALU_CYCLE_1)
	s_and_b32 s13, s16, exec_lo
.LBB14_30:                              ;   in Loop: Header=BB14_4 Depth=1
	s_or_b32 exec_lo, exec_lo, s12
	s_delay_alu instid0(SALU_CYCLE_1)
	s_and_b32 s12, s13, exec_lo
.LBB14_31:                              ;   in Loop: Header=BB14_4 Depth=1
	s_or_b32 exec_lo, exec_lo, s11
	s_delay_alu instid0(SALU_CYCLE_1)
	s_and_b32 s11, s12, exec_lo
.LBB14_32:                              ;   in Loop: Header=BB14_4 Depth=1
	s_or_b32 exec_lo, exec_lo, s10
	s_delay_alu instid0(SALU_CYCLE_1)
	s_and_b32 s10, s11, exec_lo
.LBB14_33:                              ;   in Loop: Header=BB14_4 Depth=1
	s_or_b32 exec_lo, exec_lo, s8
	v_cndmask_b32_e64 v1, 0, 1, s10
	;;#ASMSTART
	;;#ASMEND
	s_delay_alu instid0(VALU_DEP_1)
	v_cmp_ne_u32_e32 vcc_lo, 0, v1
	s_mov_b32 s8, exec_lo
	s_and_saveexec_b32 s10, s0
	s_cbranch_execz .LBB14_3
; %bb.34:                               ;   in Loop: Header=BB14_4 Depth=1
	s_cmp_eq_u32 vcc_lo, s8
	s_cselect_b32 s8, -1, 0
	s_delay_alu instid0(SALU_CYCLE_1)
	v_cndmask_b32_e64 v1, 0, 1, s8
	ds_store_b32 v5, v1
	s_branch .LBB14_3
.LBB14_35:                              ;   in Loop: Header=BB14_4 Depth=1
                                        ; implicit-def: $sgpr5
	s_cbranch_execz .LBB14_4
.LBB14_36:
	s_mov_b32 s0, exec_lo
	v_cmpx_eq_u32_e32 0, v0
	s_cbranch_execz .LBB14_38
; %bb.37:
	s_mul_i32 s0, s1, s15
	v_dual_mov_b32 v0, 0 :: v_dual_mov_b32 v1, s2
	s_add_i32 s0, s0, s14
	s_delay_alu instid0(SALU_CYCLE_1) | instskip(NEXT) | instid1(SALU_CYCLE_1)
	s_ashr_i32 s1, s0, 31
	s_lshl_b64 s[0:1], s[0:1], 2
	s_delay_alu instid0(SALU_CYCLE_1)
	s_add_u32 s0, s6, s0
	s_addc_u32 s1, s7, s1
	global_store_b32 v0, v1, s[0:1]
.LBB14_38:
	s_nop 0
	s_sendmsg sendmsg(MSG_DEALLOC_VGPRS)
	s_endpgm
	.section	.rodata,"a",@progbits
	.p2align	6, 0x0
	.amdhsa_kernel _ZL25flash_attn_mask_to_KV_maxILi8EEvPK7__half2Piiii
		.amdhsa_group_segment_fixed_size 128
		.amdhsa_private_segment_fixed_size 0
		.amdhsa_kernarg_size 288
		.amdhsa_user_sgpr_count 14
		.amdhsa_user_sgpr_dispatch_ptr 0
		.amdhsa_user_sgpr_queue_ptr 0
		.amdhsa_user_sgpr_kernarg_segment_ptr 1
		.amdhsa_user_sgpr_dispatch_id 0
		.amdhsa_user_sgpr_private_segment_size 0
		.amdhsa_wavefront_size32 1
		.amdhsa_uses_dynamic_stack 0
		.amdhsa_enable_private_segment 0
		.amdhsa_system_sgpr_workgroup_id_x 1
		.amdhsa_system_sgpr_workgroup_id_y 1
		.amdhsa_system_sgpr_workgroup_id_z 0
		.amdhsa_system_sgpr_workgroup_info 0
		.amdhsa_system_vgpr_workitem_id 0
		.amdhsa_next_free_vgpr 9
		.amdhsa_next_free_sgpr 27
		.amdhsa_reserve_vcc 1
		.amdhsa_float_round_mode_32 0
		.amdhsa_float_round_mode_16_64 0
		.amdhsa_float_denorm_mode_32 3
		.amdhsa_float_denorm_mode_16_64 3
		.amdhsa_dx10_clamp 1
		.amdhsa_ieee_mode 1
		.amdhsa_fp16_overflow 0
		.amdhsa_workgroup_processor_mode 1
		.amdhsa_memory_ordered 1
		.amdhsa_forward_progress 0
		.amdhsa_shared_vgpr_count 0
		.amdhsa_exception_fp_ieee_invalid_op 0
		.amdhsa_exception_fp_denorm_src 0
		.amdhsa_exception_fp_ieee_div_zero 0
		.amdhsa_exception_fp_ieee_overflow 0
		.amdhsa_exception_fp_ieee_underflow 0
		.amdhsa_exception_fp_ieee_inexact 0
		.amdhsa_exception_int_div_zero 0
	.end_amdhsa_kernel
	.section	.text._ZL25flash_attn_mask_to_KV_maxILi8EEvPK7__half2Piiii,"axG",@progbits,_ZL25flash_attn_mask_to_KV_maxILi8EEvPK7__half2Piiii,comdat
.Lfunc_end14:
	.size	_ZL25flash_attn_mask_to_KV_maxILi8EEvPK7__half2Piiii, .Lfunc_end14-_ZL25flash_attn_mask_to_KV_maxILi8EEvPK7__half2Piiii
                                        ; -- End function
	.section	.AMDGPU.csdata,"",@progbits
; Kernel info:
; codeLenInByte = 1376
; NumSgprs: 29
; NumVgprs: 9
; ScratchSize: 0
; MemoryBound: 0
; FloatMode: 240
; IeeeMode: 1
; LDSByteSize: 128 bytes/workgroup (compile time only)
; SGPRBlocks: 3
; VGPRBlocks: 1
; NumSGPRsForWavesPerEU: 29
; NumVGPRsForWavesPerEU: 9
; Occupancy: 16
; WaveLimiterHint : 0
; COMPUTE_PGM_RSRC2:SCRATCH_EN: 0
; COMPUTE_PGM_RSRC2:USER_SGPR: 14
; COMPUTE_PGM_RSRC2:TRAP_HANDLER: 0
; COMPUTE_PGM_RSRC2:TGID_X_EN: 1
; COMPUTE_PGM_RSRC2:TGID_Y_EN: 1
; COMPUTE_PGM_RSRC2:TGID_Z_EN: 0
; COMPUTE_PGM_RSRC2:TIDIG_COMP_CNT: 0
	.section	.text._ZL33flash_attn_stream_k_fixup_uniformILi512ELi8ELi4EEvPfPK15HIP_vector_typeIfLj2EEiiiiiiS1_IjLj3EES5_S5_,"axG",@progbits,_ZL33flash_attn_stream_k_fixup_uniformILi512ELi8ELi4EEvPfPK15HIP_vector_typeIfLj2EEiiiiiiS1_IjLj3EES5_S5_,comdat
	.globl	_ZL33flash_attn_stream_k_fixup_uniformILi512ELi8ELi4EEvPfPK15HIP_vector_typeIfLj2EEiiiiiiS1_IjLj3EES5_S5_ ; -- Begin function _ZL33flash_attn_stream_k_fixup_uniformILi512ELi8ELi4EEvPfPK15HIP_vector_typeIfLj2EEiiiiiiS1_IjLj3EES5_S5_
	.p2align	8
	.type	_ZL33flash_attn_stream_k_fixup_uniformILi512ELi8ELi4EEvPfPK15HIP_vector_typeIfLj2EEiiiiiiS1_IjLj3EES5_S5_,@function
_ZL33flash_attn_stream_k_fixup_uniformILi512ELi8ELi4EEvPfPK15HIP_vector_typeIfLj2EEiiiiiiS1_IjLj3EES5_S5_: ; @_ZL33flash_attn_stream_k_fixup_uniformILi512ELi8ELi4EEvPfPK15HIP_vector_typeIfLj2EEiiiiiiS1_IjLj3EES5_S5_
; %bb.0:
	s_clause 0x1
	s_load_b256 s[4:11], s[0:1], 0x1c
	s_load_b128 s[16:19], s[0:1], 0x3c
	s_waitcnt lgkmcnt(0)
	s_mul_hi_u32 s2, s7, s13
	s_delay_alu instid0(SALU_CYCLE_1) | instskip(NEXT) | instid1(SALU_CYCLE_1)
	s_add_i32 s2, s13, s2
	s_lshr_b32 s2, s2, s8
	s_delay_alu instid0(SALU_CYCLE_1) | instskip(SKIP_2) | instid1(SALU_CYCLE_1)
	s_mul_i32 s3, s2, s9
	s_load_b64 s[8:9], s[0:1], 0x10
	s_sub_i32 s7, s13, s3
	s_mul_hi_u32 s3, s7, s10
	s_delay_alu instid0(SALU_CYCLE_1) | instskip(NEXT) | instid1(SALU_CYCLE_1)
	s_add_i32 s3, s7, s3
	s_lshr_b32 s3, s3, s11
	s_delay_alu instid0(SALU_CYCLE_1) | instskip(NEXT) | instid1(SALU_CYCLE_1)
	s_mul_i32 s10, s3, s16
	s_sub_i32 s7, s7, s10
	s_delay_alu instid0(SALU_CYCLE_1) | instskip(NEXT) | instid1(SALU_CYCLE_1)
	s_mul_hi_u32 s10, s7, s17
	s_add_i32 s10, s7, s10
	s_delay_alu instid0(SALU_CYCLE_1) | instskip(NEXT) | instid1(SALU_CYCLE_1)
	s_lshr_b32 s10, s10, s18
	s_mul_i32 s11, s10, s19
	s_lshl_b32 s10, s10, 2
	s_sub_i32 s7, s7, s11
	s_delay_alu instid0(SALU_CYCLE_1) | instskip(NEXT) | instid1(SALU_CYCLE_1)
	s_lshl_b32 s11, s7, 3
	s_add_i32 s11, s11, s14
	s_waitcnt lgkmcnt(0)
	s_cmp_lt_i32 s11, s8
	s_cselect_b32 s11, -1, 0
	s_add_i32 s12, s10, s15
	s_delay_alu instid0(SALU_CYCLE_1) | instskip(SKIP_1) | instid1(SALU_CYCLE_1)
	s_cmp_lt_i32 s12, s5
	s_cselect_b32 s12, -1, 0
	s_and_b32 s11, s11, s12
	s_delay_alu instid0(SALU_CYCLE_1)
	s_and_not1_b32 vcc_lo, exec_lo, s11
	s_cbranch_vccnz .LBB15_6
; %bb.1:
	s_mul_i32 s2, s2, s8
	s_mul_i32 s5, s3, s5
	s_add_i32 s2, s2, s14
	s_mul_i32 s7, s9, s7
	s_mul_i32 s2, s2, s9
	s_lshl_b32 s7, s7, 12
	s_add_i32 s8, s2, s15
	s_load_b128 s[0:3], s[0:1], 0x0
	s_add_i32 s5, s8, s5
	s_lshl_b32 s9, s14, 2
	s_add_i32 s5, s5, s10
	s_delay_alu instid0(SALU_CYCLE_1) | instskip(NEXT) | instid1(SALU_CYCLE_1)
	s_lshl_b32 s5, s5, 9
	s_add_i32 s7, s7, s5
	s_mul_i32 s5, s13, s6
	v_or_b32_e32 v1, s7, v0
	s_add_i32 s10, s5, s6
	s_delay_alu instid0(VALU_DEP_1) | instskip(NEXT) | instid1(VALU_DEP_1)
	v_ashrrev_i32_e32 v2, 31, v1
	v_lshlrev_b64 v[1:2], 2, v[1:2]
	s_waitcnt lgkmcnt(0)
	s_delay_alu instid0(VALU_DEP_1) | instskip(NEXT) | instid1(VALU_DEP_2)
	v_add_co_u32 v1, vcc_lo, s0, v1
	v_add_co_ci_u32_e32 v2, vcc_lo, s1, v2, vcc_lo
	s_add_i32 s0, s9, s15
	s_lshl_b32 s1, s10, 5
	s_delay_alu instid0(SALU_CYCLE_1) | instskip(SKIP_2) | instid1(SALU_CYCLE_1)
	s_add_i32 s0, s0, s1
	global_load_b32 v5, v[1:2], off
	s_sub_i32 s0, s0, 32
	s_ashr_i32 s1, s0, 31
	s_delay_alu instid0(SALU_CYCLE_1) | instskip(NEXT) | instid1(SALU_CYCLE_1)
	s_lshl_b64 s[0:1], s[0:1], 3
	s_add_u32 s0, s2, s0
	s_addc_u32 s1, s3, s1
	s_add_i32 s7, s10, -2
	s_load_b32 s11, s[0:1], 0x4
	s_cmp_lt_i32 s7, s5
	s_cbranch_scc1 .LBB15_4
; %bb.2:
	s_lshl_b32 s16, s4, 7
	s_load_b32 s12, s[0:1], 0x0
	s_ashr_i32 s17, s16, 31
	s_delay_alu instid0(SALU_CYCLE_1) | instskip(NEXT) | instid1(SALU_CYCLE_1)
	s_lshl_b64 s[0:1], s[16:17], 2
	s_add_u32 s7, s2, s0
	s_addc_u32 s8, s3, s1
	s_add_i32 s13, s13, 1
	s_lshl_b32 s0, s14, 11
	s_lshl_b32 s1, s15, 9
	s_mul_i32 s6, s6, s13
	s_add_i32 s0, s1, s0
	s_lshl_b32 s1, s6, 14
	s_delay_alu instid0(SALU_CYCLE_1)
	s_add_i32 s0, s0, s1
	s_lshl_b32 s1, s6, 5
	v_or_b32_e32 v0, s0, v0
	s_lshl_b32 s0, s4, 5
	s_add_i32 s1, s15, s1
	s_waitcnt lgkmcnt(0)
	v_mov_b32_e32 v6, s11
	s_add_i32 s0, s1, s0
	v_dual_mov_b32 v0, s12 :: v_dual_add_nc_u32 v3, 0xffff8000, v0
	s_add_i32 s0, s0, s9
	s_add_i32 s4, s10, -1
	s_sub_i32 s0, s0, 64
.LBB15_3:                               ; =>This Inner Loop Header: Depth=1
	s_delay_alu instid0(VALU_DEP_1) | instskip(SKIP_1) | instid1(SALU_CYCLE_1)
	v_ashrrev_i32_e32 v4, 31, v3
	s_ashr_i32 s1, s0, 31
	s_lshl_b64 s[10:11], s[0:1], 3
	s_delay_alu instid0(SALU_CYCLE_1) | instskip(NEXT) | instid1(VALU_DEP_1)
	s_add_u32 s10, s2, s10
	v_lshlrev_b64 v[7:8], 2, v[3:4]
	s_addc_u32 s11, s3, s11
	s_add_i32 s4, s4, -1
	s_sub_i32 s0, s0, 32
	s_cmp_le_i32 s4, s5
	s_load_b64 s[10:11], s[10:11], 0x0
	v_add_co_u32 v7, vcc_lo, s7, v7
	v_add_co_ci_u32_e32 v8, vcc_lo, s8, v8, vcc_lo
	global_load_b32 v4, v[7:8], off
	v_max_f32_e32 v7, v0, v0
	s_waitcnt lgkmcnt(0)
	v_max_f32_e64 v8, s10, s10
	s_delay_alu instid0(VALU_DEP_1) | instskip(NEXT) | instid1(VALU_DEP_1)
	v_max_f32_e32 v7, v7, v8
	v_sub_f32_e32 v8, s10, v7
	s_delay_alu instid0(VALU_DEP_1) | instskip(NEXT) | instid1(VALU_DEP_1)
	v_dual_sub_f32 v0, v0, v7 :: v_dual_mul_f32 v9, 0x3fb8aa3b, v8
	v_fma_f32 v10, 0x3fb8aa3b, v8, -v9
	v_rndne_f32_e32 v11, v9
	s_delay_alu instid0(VALU_DEP_3) | instskip(NEXT) | instid1(VALU_DEP_2)
	v_mul_f32_e32 v12, 0x3fb8aa3b, v0
	v_dual_fmac_f32 v10, 0x32a5705f, v8 :: v_dual_sub_f32 v9, v9, v11
	v_cvt_i32_f32_e32 v11, v11
	s_delay_alu instid0(VALU_DEP_3) | instskip(SKIP_1) | instid1(VALU_DEP_4)
	v_fma_f32 v13, 0x3fb8aa3b, v0, -v12
	v_rndne_f32_e32 v14, v12
	v_add_f32_e32 v9, v9, v10
	v_cmp_ngt_f32_e32 vcc_lo, 0xc2ce8ed0, v8
	s_delay_alu instid0(VALU_DEP_3) | instskip(NEXT) | instid1(VALU_DEP_3)
	v_sub_f32_e32 v10, v12, v14
	v_exp_f32_e32 v9, v9
	s_waitcnt_depctr 0xfff
	v_ldexp_f32 v9, v9, v11
	v_cvt_i32_f32_e32 v11, v14
	s_delay_alu instid0(VALU_DEP_2) | instskip(SKIP_1) | instid1(VALU_DEP_2)
	v_cndmask_b32_e32 v9, 0, v9, vcc_lo
	v_cmp_nlt_f32_e32 vcc_lo, 0x42b17218, v8
	v_cndmask_b32_e32 v9, 0x7f800000, v9, vcc_lo
	v_cmp_ngt_f32_e32 vcc_lo, 0xc2ce8ed0, v0
	v_fmac_f32_e32 v13, 0x32a5705f, v0
	s_delay_alu instid0(VALU_DEP_1) | instskip(NEXT) | instid1(VALU_DEP_1)
	v_add_f32_e32 v10, v10, v13
	v_exp_f32_e32 v10, v10
	s_waitcnt_depctr 0xfff
	v_ldexp_f32 v10, v10, v11
	s_delay_alu instid0(VALU_DEP_1)
	v_dual_mov_b32 v11, v6 :: v_dual_cndmask_b32 v10, 0, v10
	v_cmp_le_f32_e32 vcc_lo, 0xc1a00000, v8
	s_waitcnt vmcnt(1)
	v_dual_cndmask_b32 v8, 0, v9 :: v_dual_mov_b32 v9, v5
	v_cmp_nlt_f32_e32 vcc_lo, 0x42b17218, v0
	v_cndmask_b32_e32 v5, 0x7f800000, v10, vcc_lo
	s_delay_alu instid0(VALU_DEP_3) | instskip(SKIP_2) | instid1(VALU_DEP_3)
	v_mul_f32_e32 v10, s11, v8
	v_cmp_le_f32_e32 vcc_lo, 0xc1a00000, v0
	v_mov_b32_e32 v0, v7
	v_mov_b32_e32 v6, v10
	s_waitcnt vmcnt(0)
	v_dual_cndmask_b32 v12, 0, v5 :: v_dual_mul_f32 v5, v4, v8
	s_delay_alu instid0(VALU_DEP_1) | instskip(NEXT) | instid1(VALU_DEP_2)
	v_dual_fmac_f32 v6, v11, v12 :: v_dual_add_nc_u32 v3, 0xffffc000, v3
	v_fmac_f32_e32 v5, v9, v12
	s_cbranch_scc0 .LBB15_3
	s_branch .LBB15_5
.LBB15_4:
	s_waitcnt lgkmcnt(0)
	v_mov_b32_e32 v6, s11
.LBB15_5:
	s_waitcnt vmcnt(0)
	s_delay_alu instid0(VALU_DEP_1) | instskip(NEXT) | instid1(VALU_DEP_1)
	v_div_scale_f32 v0, null, v6, v6, v5
	v_rcp_f32_e32 v3, v0
	s_waitcnt_depctr 0xfff
	v_fma_f32 v4, -v0, v3, 1.0
	s_delay_alu instid0(VALU_DEP_1) | instskip(SKIP_1) | instid1(VALU_DEP_1)
	v_fmac_f32_e32 v3, v4, v3
	v_div_scale_f32 v4, vcc_lo, v5, v6, v5
	v_mul_f32_e32 v7, v4, v3
	s_delay_alu instid0(VALU_DEP_1) | instskip(NEXT) | instid1(VALU_DEP_1)
	v_fma_f32 v8, -v0, v7, v4
	v_fmac_f32_e32 v7, v8, v3
	s_delay_alu instid0(VALU_DEP_1) | instskip(NEXT) | instid1(VALU_DEP_1)
	v_fma_f32 v0, -v0, v7, v4
	v_div_fmas_f32 v0, v0, v3, v7
	s_delay_alu instid0(VALU_DEP_1)
	v_div_fixup_f32 v0, v0, v6, v5
	global_store_b32 v[1:2], v0, off
.LBB15_6:
	s_nop 0
	s_sendmsg sendmsg(MSG_DEALLOC_VGPRS)
	s_endpgm
	.section	.rodata,"a",@progbits
	.p2align	6, 0x0
	.amdhsa_kernel _ZL33flash_attn_stream_k_fixup_uniformILi512ELi8ELi4EEvPfPK15HIP_vector_typeIfLj2EEiiiiiiS1_IjLj3EES5_S5_
		.amdhsa_group_segment_fixed_size 0
		.amdhsa_private_segment_fixed_size 0
		.amdhsa_kernarg_size 76
		.amdhsa_user_sgpr_count 13
		.amdhsa_user_sgpr_dispatch_ptr 0
		.amdhsa_user_sgpr_queue_ptr 0
		.amdhsa_user_sgpr_kernarg_segment_ptr 1
		.amdhsa_user_sgpr_dispatch_id 0
		.amdhsa_user_sgpr_private_segment_size 0
		.amdhsa_wavefront_size32 1
		.amdhsa_uses_dynamic_stack 0
		.amdhsa_enable_private_segment 0
		.amdhsa_system_sgpr_workgroup_id_x 1
		.amdhsa_system_sgpr_workgroup_id_y 1
		.amdhsa_system_sgpr_workgroup_id_z 1
		.amdhsa_system_sgpr_workgroup_info 0
		.amdhsa_system_vgpr_workitem_id 0
		.amdhsa_next_free_vgpr 15
		.amdhsa_next_free_sgpr 20
		.amdhsa_reserve_vcc 1
		.amdhsa_float_round_mode_32 0
		.amdhsa_float_round_mode_16_64 0
		.amdhsa_float_denorm_mode_32 3
		.amdhsa_float_denorm_mode_16_64 3
		.amdhsa_dx10_clamp 1
		.amdhsa_ieee_mode 1
		.amdhsa_fp16_overflow 0
		.amdhsa_workgroup_processor_mode 1
		.amdhsa_memory_ordered 1
		.amdhsa_forward_progress 0
		.amdhsa_shared_vgpr_count 0
		.amdhsa_exception_fp_ieee_invalid_op 0
		.amdhsa_exception_fp_denorm_src 0
		.amdhsa_exception_fp_ieee_div_zero 0
		.amdhsa_exception_fp_ieee_overflow 0
		.amdhsa_exception_fp_ieee_underflow 0
		.amdhsa_exception_fp_ieee_inexact 0
		.amdhsa_exception_int_div_zero 0
	.end_amdhsa_kernel
	.section	.text._ZL33flash_attn_stream_k_fixup_uniformILi512ELi8ELi4EEvPfPK15HIP_vector_typeIfLj2EEiiiiiiS1_IjLj3EES5_S5_,"axG",@progbits,_ZL33flash_attn_stream_k_fixup_uniformILi512ELi8ELi4EEvPfPK15HIP_vector_typeIfLj2EEiiiiiiS1_IjLj3EES5_S5_,comdat
.Lfunc_end15:
	.size	_ZL33flash_attn_stream_k_fixup_uniformILi512ELi8ELi4EEvPfPK15HIP_vector_typeIfLj2EEiiiiiiS1_IjLj3EES5_S5_, .Lfunc_end15-_ZL33flash_attn_stream_k_fixup_uniformILi512ELi8ELi4EEvPfPK15HIP_vector_typeIfLj2EEiiiiiiS1_IjLj3EES5_S5_
                                        ; -- End function
	.section	.AMDGPU.csdata,"",@progbits
; Kernel info:
; codeLenInByte = 996
; NumSgprs: 22
; NumVgprs: 15
; ScratchSize: 0
; MemoryBound: 0
; FloatMode: 240
; IeeeMode: 1
; LDSByteSize: 0 bytes/workgroup (compile time only)
; SGPRBlocks: 2
; VGPRBlocks: 1
; NumSGPRsForWavesPerEU: 22
; NumVGPRsForWavesPerEU: 15
; Occupancy: 16
; WaveLimiterHint : 0
; COMPUTE_PGM_RSRC2:SCRATCH_EN: 0
; COMPUTE_PGM_RSRC2:USER_SGPR: 13
; COMPUTE_PGM_RSRC2:TRAP_HANDLER: 0
; COMPUTE_PGM_RSRC2:TGID_X_EN: 1
; COMPUTE_PGM_RSRC2:TGID_Y_EN: 1
; COMPUTE_PGM_RSRC2:TGID_Z_EN: 1
; COMPUTE_PGM_RSRC2:TIDIG_COMP_CNT: 0
	.section	.text._ZL33flash_attn_stream_k_fixup_generalILi512ELi8ELi4EEvPfPK15HIP_vector_typeIfLj2EEiiiiS1_IjLj3EES5_S5_S5_,"axG",@progbits,_ZL33flash_attn_stream_k_fixup_generalILi512ELi8ELi4EEvPfPK15HIP_vector_typeIfLj2EEiiiiS1_IjLj3EES5_S5_S5_,comdat
	.globl	_ZL33flash_attn_stream_k_fixup_generalILi512ELi8ELi4EEvPfPK15HIP_vector_typeIfLj2EEiiiiS1_IjLj3EES5_S5_S5_ ; -- Begin function _ZL33flash_attn_stream_k_fixup_generalILi512ELi8ELi4EEvPfPK15HIP_vector_typeIfLj2EEiiiiS1_IjLj3EES5_S5_S5_
	.p2align	8
	.type	_ZL33flash_attn_stream_k_fixup_generalILi512ELi8ELi4EEvPfPK15HIP_vector_typeIfLj2EEiiiiS1_IjLj3EES5_S5_S5_,@function
_ZL33flash_attn_stream_k_fixup_generalILi512ELi8ELi4EEvPfPK15HIP_vector_typeIfLj2EEiiiiS1_IjLj3EES5_S5_S5_: ; @_ZL33flash_attn_stream_k_fixup_generalILi512ELi8ELi4EEvPfPK15HIP_vector_typeIfLj2EEiiiiS1_IjLj3EES5_S5_S5_
; %bb.0:
	s_clause 0x1
	s_load_b128 s[4:7], s[0:1], 0x10
	s_load_b32 s20, s[0:1], 0x50
	s_mov_b32 s2, 0
	s_waitcnt lgkmcnt(0)
	s_mul_hi_i32 s3, s7, s13
	s_mul_i32 s12, s7, s13
	s_cmp_lg_u64 s[2:3], 0
	s_cbranch_scc0 .LBB16_21
; %bb.1:
	v_cvt_f32_ubyte0_e32 v1, 0
	v_cvt_f32_u32_e32 v2, s20
	s_sub_u32 s10, 0, s20
	s_subb_u32 s11, 0, 0
	s_delay_alu instid0(VALU_DEP_1) | instskip(NEXT) | instid1(VALU_DEP_1)
	v_fmamk_f32 v1, v1, 0x4f800000, v2
	v_rcp_f32_e32 v1, v1
	s_waitcnt_depctr 0xfff
	v_mul_f32_e32 v1, 0x5f7ffffc, v1
	s_delay_alu instid0(VALU_DEP_1) | instskip(NEXT) | instid1(VALU_DEP_1)
	v_mul_f32_e32 v2, 0x2f800000, v1
	v_trunc_f32_e32 v2, v2
	s_delay_alu instid0(VALU_DEP_1) | instskip(SKIP_1) | instid1(VALU_DEP_2)
	v_fmamk_f32 v1, v2, 0xcf800000, v1
	v_cvt_u32_f32_e32 v2, v2
	v_cvt_u32_f32_e32 v1, v1
	s_delay_alu instid0(VALU_DEP_2) | instskip(NEXT) | instid1(VALU_DEP_2)
	v_readfirstlane_b32 s8, v2
	v_readfirstlane_b32 s9, v1
	s_delay_alu instid0(VALU_DEP_2) | instskip(NEXT) | instid1(VALU_DEP_1)
	s_mul_i32 s16, s10, s8
	s_mul_hi_u32 s18, s10, s9
	s_mul_i32 s17, s11, s9
	s_add_i32 s16, s18, s16
	s_mul_i32 s19, s10, s9
	s_add_i32 s16, s16, s17
	s_mul_hi_u32 s18, s9, s19
	s_mul_hi_u32 s21, s8, s19
	s_mul_i32 s17, s8, s19
	s_mul_hi_u32 s19, s9, s16
	s_mul_i32 s9, s9, s16
	s_mul_hi_u32 s22, s8, s16
	s_add_u32 s9, s18, s9
	s_addc_u32 s18, 0, s19
	s_add_u32 s9, s9, s17
	s_mul_i32 s16, s8, s16
	s_addc_u32 s9, s18, s21
	s_addc_u32 s17, s22, 0
	s_add_u32 s9, s9, s16
	s_addc_u32 s16, 0, s17
	v_add_co_u32 v1, s9, v1, s9
	s_delay_alu instid0(VALU_DEP_1) | instskip(SKIP_1) | instid1(VALU_DEP_1)
	s_cmp_lg_u32 s9, 0
	s_addc_u32 s8, s8, s16
	v_readfirstlane_b32 s9, v1
	s_mul_i32 s16, s10, s8
	s_delay_alu instid0(VALU_DEP_1)
	s_mul_hi_u32 s17, s10, s9
	s_mul_i32 s11, s11, s9
	s_add_i32 s16, s17, s16
	s_mul_i32 s10, s10, s9
	s_add_i32 s16, s16, s11
	s_mul_hi_u32 s17, s8, s10
	s_mul_i32 s18, s8, s10
	s_mul_hi_u32 s10, s9, s10
	s_mul_hi_u32 s19, s9, s16
	s_mul_i32 s9, s9, s16
	s_mul_hi_u32 s11, s8, s16
	s_add_u32 s9, s10, s9
	s_addc_u32 s10, 0, s19
	s_add_u32 s9, s9, s18
	s_mul_i32 s16, s8, s16
	s_addc_u32 s9, s10, s17
	s_addc_u32 s10, s11, 0
	s_add_u32 s9, s9, s16
	s_addc_u32 s10, 0, s10
	v_add_co_u32 v1, s9, v1, s9
	s_delay_alu instid0(VALU_DEP_1) | instskip(SKIP_2) | instid1(SALU_CYCLE_1)
	s_cmp_lg_u32 s9, 0
	s_addc_u32 s16, s8, s10
	s_ashr_i32 s8, s3, 31
	s_add_u32 s10, s12, s8
	s_addc_u32 s11, s3, s8
	v_readfirstlane_b32 s3, v1
	s_mov_b32 s9, s8
	s_delay_alu instid0(SALU_CYCLE_1) | instskip(NEXT) | instid1(SALU_CYCLE_1)
	s_xor_b64 s[10:11], s[10:11], s[8:9]
	s_mul_i32 s18, s10, s16
	s_delay_alu instid0(VALU_DEP_1)
	s_mul_hi_u32 s19, s10, s3
	s_mul_hi_u32 s17, s10, s16
	;; [unrolled: 1-line block ×3, first 2 shown]
	s_mul_i32 s3, s11, s3
	s_add_u32 s18, s19, s18
	s_addc_u32 s17, 0, s17
	s_mul_hi_u32 s21, s11, s16
	s_add_u32 s3, s18, s3
	s_mul_i32 s16, s11, s16
	s_addc_u32 s3, s17, s22
	s_addc_u32 s17, s21, 0
	s_add_u32 s3, s3, s16
	s_addc_u32 s16, 0, s17
	s_mul_i32 s18, s20, s3
	s_add_u32 s17, s3, 1
	v_sub_co_u32 v1, s10, s10, s18
	s_mul_hi_u32 s18, s20, s3
	s_addc_u32 s19, s16, 0
	s_mul_i32 s21, s20, s16
	s_delay_alu instid0(VALU_DEP_1)
	v_sub_co_u32 v2, s22, v1, s20
	s_add_u32 s23, s3, 2
	s_addc_u32 s24, s16, 0
	s_add_i32 s18, s18, s21
	s_cmp_lg_u32 s10, 0
	v_readfirstlane_b32 s10, v2
	s_subb_u32 s11, s11, s18
	s_cmp_lg_u32 s22, 0
	s_subb_u32 s18, s11, 0
	s_delay_alu instid0(VALU_DEP_1) | instskip(SKIP_4) | instid1(SALU_CYCLE_1)
	s_cmp_ge_u32 s10, s20
	s_cselect_b32 s10, -1, 0
	s_cmp_eq_u32 s18, 0
	v_readfirstlane_b32 s18, v1
	s_cselect_b32 s10, s10, -1
	s_cmp_lg_u32 s10, 0
	s_cselect_b32 s10, s23, s17
	s_cselect_b32 s17, s24, s19
	s_cmp_ge_u32 s18, s20
	s_cselect_b32 s18, -1, 0
	s_cmp_eq_u32 s11, 0
	s_cselect_b32 s11, s18, -1
	s_delay_alu instid0(SALU_CYCLE_1) | instskip(SKIP_2) | instid1(SALU_CYCLE_1)
	s_cmp_lg_u32 s11, 0
	s_cselect_b32 s11, s17, s16
	s_cselect_b32 s10, s10, s3
	s_xor_b64 s[10:11], s[10:11], s[8:9]
	s_delay_alu instid0(SALU_CYCLE_1)
	s_sub_u32 s16, s10, s8
	s_load_b128 s[8:11], s[0:1], 0x44
	s_and_not1_b32 vcc_lo, exec_lo, s2
	s_cbranch_vccnz .LBB16_3
.LBB16_2:
	v_cvt_f32_u32_e32 v1, s20
	s_sub_i32 s3, 0, s20
	s_delay_alu instid0(VALU_DEP_1) | instskip(SKIP_2) | instid1(VALU_DEP_1)
	v_rcp_iflag_f32_e32 v1, v1
	s_waitcnt_depctr 0xfff
	v_mul_f32_e32 v1, 0x4f7ffffe, v1
	v_cvt_u32_f32_e32 v1, v1
	s_delay_alu instid0(VALU_DEP_1) | instskip(NEXT) | instid1(VALU_DEP_1)
	v_readfirstlane_b32 s2, v1
	s_mul_i32 s3, s3, s2
	s_delay_alu instid0(SALU_CYCLE_1) | instskip(NEXT) | instid1(SALU_CYCLE_1)
	s_mul_hi_u32 s3, s2, s3
	s_add_i32 s2, s2, s3
	s_delay_alu instid0(SALU_CYCLE_1) | instskip(NEXT) | instid1(SALU_CYCLE_1)
	s_mul_hi_u32 s2, s12, s2
	s_mul_i32 s3, s2, s20
	s_waitcnt lgkmcnt(0)
	s_add_i32 s11, s2, 1
	s_sub_i32 s3, s12, s3
	s_delay_alu instid0(SALU_CYCLE_1)
	s_sub_i32 s12, s3, s20
	s_cmp_ge_u32 s3, s20
	s_cselect_b32 s2, s11, s2
	s_cselect_b32 s3, s12, s3
	s_add_i32 s11, s2, 1
	s_cmp_ge_u32 s3, s20
	s_cselect_b32 s16, s11, s2
.LBB16_3:
	s_waitcnt lgkmcnt(0)
	s_add_i32 s11, s13, 1
	s_mov_b32 s2, 0
	s_mul_hi_i32 s3, s7, s11
	s_mul_i32 s11, s7, s11
	s_cmp_lg_u64 s[2:3], 0
	s_cbranch_scc0 .LBB16_22
; %bb.4:
	v_cvt_f32_ubyte0_e32 v1, 0
	v_cvt_f32_u32_e32 v2, s20
	s_sub_u32 s18, 0, s20
	s_subb_u32 s19, 0, 0
	s_delay_alu instid0(VALU_DEP_1) | instskip(NEXT) | instid1(VALU_DEP_1)
	v_fmamk_f32 v1, v1, 0x4f800000, v2
	v_rcp_f32_e32 v1, v1
	s_waitcnt_depctr 0xfff
	v_mul_f32_e32 v1, 0x5f7ffffc, v1
	s_delay_alu instid0(VALU_DEP_1) | instskip(NEXT) | instid1(VALU_DEP_1)
	v_mul_f32_e32 v2, 0x2f800000, v1
	v_trunc_f32_e32 v2, v2
	s_delay_alu instid0(VALU_DEP_1) | instskip(SKIP_1) | instid1(VALU_DEP_2)
	v_fmamk_f32 v1, v2, 0xcf800000, v1
	v_cvt_u32_f32_e32 v2, v2
	v_cvt_u32_f32_e32 v1, v1
	s_delay_alu instid0(VALU_DEP_2) | instskip(NEXT) | instid1(VALU_DEP_2)
	v_readfirstlane_b32 s12, v2
	v_readfirstlane_b32 s17, v1
	s_delay_alu instid0(VALU_DEP_2) | instskip(NEXT) | instid1(VALU_DEP_1)
	s_mul_i32 s21, s18, s12
	s_mul_hi_u32 s23, s18, s17
	s_mul_i32 s22, s19, s17
	s_add_i32 s21, s23, s21
	s_mul_i32 s24, s18, s17
	s_add_i32 s21, s21, s22
	s_mul_hi_u32 s23, s17, s24
	s_mul_hi_u32 s25, s12, s24
	s_mul_i32 s22, s12, s24
	s_mul_hi_u32 s24, s17, s21
	s_mul_i32 s17, s17, s21
	s_mul_hi_u32 s26, s12, s21
	s_add_u32 s17, s23, s17
	s_addc_u32 s23, 0, s24
	s_add_u32 s17, s17, s22
	s_mul_i32 s21, s12, s21
	s_addc_u32 s17, s23, s25
	s_addc_u32 s22, s26, 0
	s_add_u32 s17, s17, s21
	s_addc_u32 s21, 0, s22
	v_add_co_u32 v1, s17, v1, s17
	s_delay_alu instid0(VALU_DEP_1) | instskip(SKIP_1) | instid1(VALU_DEP_1)
	s_cmp_lg_u32 s17, 0
	s_addc_u32 s12, s12, s21
	v_readfirstlane_b32 s17, v1
	s_mul_i32 s21, s18, s12
	s_delay_alu instid0(VALU_DEP_1)
	s_mul_hi_u32 s22, s18, s17
	s_mul_i32 s19, s19, s17
	s_add_i32 s21, s22, s21
	s_mul_i32 s18, s18, s17
	s_add_i32 s21, s21, s19
	s_mul_hi_u32 s22, s12, s18
	s_mul_i32 s23, s12, s18
	s_mul_hi_u32 s18, s17, s18
	s_mul_hi_u32 s24, s17, s21
	s_mul_i32 s17, s17, s21
	s_mul_hi_u32 s19, s12, s21
	s_add_u32 s17, s18, s17
	s_addc_u32 s18, 0, s24
	s_add_u32 s17, s17, s23
	s_mul_i32 s21, s12, s21
	s_addc_u32 s17, s18, s22
	s_addc_u32 s18, s19, 0
	s_add_u32 s17, s17, s21
	s_addc_u32 s18, 0, s18
	v_add_co_u32 v1, s17, v1, s17
	s_delay_alu instid0(VALU_DEP_1) | instskip(SKIP_2) | instid1(SALU_CYCLE_1)
	s_cmp_lg_u32 s17, 0
	s_addc_u32 s12, s12, s18
	s_ashr_i32 s18, s3, 31
	s_add_u32 s22, s11, s18
	s_addc_u32 s23, s3, s18
	v_readfirstlane_b32 s3, v1
	s_mov_b32 s19, s18
	s_delay_alu instid0(SALU_CYCLE_1) | instskip(NEXT) | instid1(SALU_CYCLE_1)
	s_xor_b64 s[22:23], s[22:23], s[18:19]
	s_mul_i32 s21, s22, s12
	s_delay_alu instid0(VALU_DEP_1)
	s_mul_hi_u32 s24, s22, s3
	s_mul_hi_u32 s17, s22, s12
	;; [unrolled: 1-line block ×3, first 2 shown]
	s_mul_i32 s3, s23, s3
	s_add_u32 s21, s24, s21
	s_addc_u32 s17, 0, s17
	s_mul_hi_u32 s25, s23, s12
	s_add_u32 s3, s21, s3
	s_mul_i32 s12, s23, s12
	s_addc_u32 s3, s17, s26
	s_addc_u32 s17, s25, 0
	s_add_u32 s3, s3, s12
	s_addc_u32 s12, 0, s17
	s_mul_i32 s21, s20, s3
	s_add_u32 s17, s3, 1
	v_sub_co_u32 v1, s21, s22, s21
	s_mul_hi_u32 s22, s20, s3
	s_addc_u32 s24, s12, 0
	s_mul_i32 s25, s20, s12
	s_delay_alu instid0(VALU_DEP_1)
	v_sub_co_u32 v2, s26, v1, s20
	s_add_u32 s27, s3, 2
	s_addc_u32 s28, s12, 0
	s_add_i32 s22, s22, s25
	s_cmp_lg_u32 s21, 0
	v_readfirstlane_b32 s21, v2
	s_subb_u32 s22, s23, s22
	s_cmp_lg_u32 s26, 0
	s_subb_u32 s23, s22, 0
	s_delay_alu instid0(VALU_DEP_1) | instskip(SKIP_4) | instid1(SALU_CYCLE_1)
	s_cmp_ge_u32 s21, s20
	s_cselect_b32 s21, -1, 0
	s_cmp_eq_u32 s23, 0
	v_readfirstlane_b32 s23, v1
	s_cselect_b32 s21, s21, -1
	s_cmp_lg_u32 s21, 0
	s_cselect_b32 s17, s27, s17
	s_cselect_b32 s21, s28, s24
	s_cmp_ge_u32 s23, s20
	s_cselect_b32 s23, -1, 0
	s_cmp_eq_u32 s22, 0
	s_cselect_b32 s22, s23, -1
	s_delay_alu instid0(SALU_CYCLE_1) | instskip(SKIP_2) | instid1(SALU_CYCLE_1)
	s_cmp_lg_u32 s22, 0
	s_cselect_b32 s23, s21, s12
	s_cselect_b32 s22, s17, s3
	s_xor_b64 s[22:23], s[22:23], s[18:19]
	s_delay_alu instid0(SALU_CYCLE_1)
	s_sub_u32 s18, s22, s18
	s_and_not1_b32 vcc_lo, exec_lo, s2
	s_cbranch_vccnz .LBB16_6
.LBB16_5:
	v_cvt_f32_u32_e32 v1, s20
	s_sub_i32 s3, 0, s20
	s_delay_alu instid0(VALU_DEP_1) | instskip(SKIP_2) | instid1(VALU_DEP_1)
	v_rcp_iflag_f32_e32 v1, v1
	s_waitcnt_depctr 0xfff
	v_mul_f32_e32 v1, 0x4f7ffffe, v1
	v_cvt_u32_f32_e32 v1, v1
	s_delay_alu instid0(VALU_DEP_1) | instskip(NEXT) | instid1(VALU_DEP_1)
	v_readfirstlane_b32 s2, v1
	s_mul_i32 s3, s3, s2
	s_delay_alu instid0(SALU_CYCLE_1) | instskip(NEXT) | instid1(SALU_CYCLE_1)
	s_mul_hi_u32 s3, s2, s3
	s_add_i32 s2, s2, s3
	s_delay_alu instid0(SALU_CYCLE_1) | instskip(NEXT) | instid1(SALU_CYCLE_1)
	s_mul_hi_u32 s2, s11, s2
	s_mul_i32 s3, s2, s20
	s_delay_alu instid0(SALU_CYCLE_1)
	s_sub_i32 s3, s11, s3
	s_add_i32 s11, s2, 1
	s_sub_i32 s12, s3, s20
	s_cmp_ge_u32 s3, s20
	s_cselect_b32 s2, s11, s2
	s_cselect_b32 s3, s12, s3
	s_add_i32 s11, s2, 1
	s_cmp_ge_u32 s3, s20
	s_cselect_b32 s18, s11, s2
.LBB16_6:
	s_delay_alu instid0(SALU_CYCLE_1) | instskip(SKIP_3) | instid1(SALU_CYCLE_1)
	s_cmp_eq_u32 s16, s18
	s_mul_hi_u32 s2, s16, s8
	s_cselect_b32 s3, -1, 0
	s_add_i32 s2, s2, s16
	s_lshr_b32 s11, s2, s9
	s_delay_alu instid0(SALU_CYCLE_1) | instskip(NEXT) | instid1(SALU_CYCLE_1)
	s_mul_i32 s2, s11, s10
	s_cmp_eq_u32 s2, s16
	s_mul_hi_u32 s2, s18, s8
	s_cselect_b32 s12, -1, 0
	s_add_i32 s2, s2, s18
	s_delay_alu instid0(SALU_CYCLE_1) | instskip(NEXT) | instid1(SALU_CYCLE_1)
	s_lshr_b32 s2, s2, s9
	s_cmp_eq_u32 s11, s2
	s_mul_i32 s2, s2, s10
	s_cselect_b32 s17, -1, 0
	s_cmp_lg_u32 s2, s18
	s_cselect_b32 s2, -1, 0
	s_or_b32 s3, s3, s12
	s_and_b32 s2, s17, s2
	s_delay_alu instid0(SALU_CYCLE_1) | instskip(NEXT) | instid1(SALU_CYCLE_1)
	s_or_b32 s2, s3, s2
	s_and_b32 vcc_lo, exec_lo, s2
	s_cbranch_vccnz .LBB16_24
; %bb.7:
	s_load_b256 s[24:31], s[0:1], 0x20
	s_waitcnt lgkmcnt(0)
	s_mul_hi_u32 s2, s16, s24
	s_delay_alu instid0(SALU_CYCLE_1) | instskip(NEXT) | instid1(SALU_CYCLE_1)
	s_add_i32 s2, s2, s16
	s_lshr_b32 s17, s2, s25
	s_load_b32 s2, s[0:1], 0x40
	s_mul_i32 s3, s17, s26
	s_delay_alu instid0(SALU_CYCLE_1) | instskip(NEXT) | instid1(SALU_CYCLE_1)
	s_sub_i32 s3, s16, s3
	s_mul_hi_u32 s12, s3, s27
	s_delay_alu instid0(SALU_CYCLE_1) | instskip(NEXT) | instid1(SALU_CYCLE_1)
	s_add_i32 s12, s3, s12
	s_lshr_b32 s21, s12, s28
	s_delay_alu instid0(SALU_CYCLE_1) | instskip(NEXT) | instid1(SALU_CYCLE_1)
	s_mul_i32 s12, s21, s29
	s_sub_i32 s3, s3, s12
	s_delay_alu instid0(SALU_CYCLE_1) | instskip(NEXT) | instid1(SALU_CYCLE_1)
	s_mul_hi_u32 s12, s3, s30
	s_add_i32 s12, s3, s12
	s_delay_alu instid0(SALU_CYCLE_1)
	s_lshr_b32 s12, s12, s31
	s_waitcnt lgkmcnt(0)
	s_mul_i32 s2, s12, s2
	s_lshl_b32 s23, s12, 2
	s_sub_i32 s2, s3, s2
	s_mov_b32 s12, 0
	s_mul_hi_u32 s3, s2, s8
	s_delay_alu instid0(SALU_CYCLE_1) | instskip(NEXT) | instid1(SALU_CYCLE_1)
	s_add_i32 s2, s2, s3
	s_lshr_b32 s22, s2, s9
	s_delay_alu instid0(SALU_CYCLE_1) | instskip(NEXT) | instid1(SALU_CYCLE_1)
	s_lshl_b32 s2, s22, 3
	s_add_i32 s2, s2, s14
	s_delay_alu instid0(SALU_CYCLE_1) | instskip(SKIP_2) | instid1(SALU_CYCLE_1)
	s_cmp_lt_i32 s2, s4
	s_cselect_b32 s2, -1, 0
	s_add_i32 s3, s23, s15
	s_cmp_lt_i32 s3, s6
	s_cselect_b32 s3, -1, 0
	s_delay_alu instid0(SALU_CYCLE_1) | instskip(NEXT) | instid1(SALU_CYCLE_1)
	s_and_b32 s2, s2, s3
	s_and_not1_b32 vcc_lo, exec_lo, s2
	s_cbranch_vccnz .LBB16_24
; %bb.8:
	s_load_b128 s[0:3], s[0:1], 0x0
	s_lshl_b32 s18, s20, 7
	s_mov_b32 s19, s12
	s_lshl_b32 s24, s14, 2
	s_lshl_b64 s[18:19], s[18:19], 2
	s_mul_i32 s4, s17, s4
	s_add_i32 s17, s24, s15
	s_mul_i32 s21, s21, s6
	v_cvt_f32_ubyte0_e32 v4, 0
	v_cvt_f32_u32_e32 v5, s20
	s_waitcnt lgkmcnt(0)
	s_add_u32 s18, s2, s18
	s_addc_u32 s19, s3, s19
	s_add_i32 s4, s4, s14
	s_delay_alu instid0(SALU_CYCLE_1) | instskip(SKIP_4) | instid1(SALU_CYCLE_1)
	s_mul_i32 s4, s4, s5
	s_mul_i32 s5, s5, s22
	s_add_i32 s4, s4, s15
	s_lshl_b32 s5, s5, 12
	s_add_i32 s4, s4, s21
	s_add_i32 s4, s4, s23
	s_delay_alu instid0(SALU_CYCLE_1) | instskip(NEXT) | instid1(SALU_CYCLE_1)
	s_lshl_b32 s4, s4, 9
	s_add_i32 s5, s5, s4
	s_delay_alu instid0(SALU_CYCLE_1) | instskip(SKIP_1) | instid1(VALU_DEP_2)
	v_or_b32_e32 v1, s5, v0
	v_lshl_or_b32 v0, s17, 9, v0
	v_ashrrev_i32_e32 v2, 31, v1
	s_delay_alu instid0(VALU_DEP_1) | instskip(NEXT) | instid1(VALU_DEP_1)
	v_lshlrev_b64 v[1:2], 2, v[1:2]
	v_add_co_u32 v1, vcc_lo, s0, v1
	s_delay_alu instid0(VALU_DEP_2) | instskip(SKIP_1) | instid1(SALU_CYCLE_1)
	v_add_co_ci_u32_e32 v2, vcc_lo, s1, v2, vcc_lo
	s_lshl_b32 s0, s13, 5
	s_add_i32 s0, s17, s0
	global_load_b32 v3, v[1:2], off
	s_ashr_i32 s1, s0, 31
	s_delay_alu instid0(SALU_CYCLE_1) | instskip(NEXT) | instid1(SALU_CYCLE_1)
	s_lshl_b64 s[0:1], s[0:1], 3
	s_add_u32 s0, s2, s0
	s_addc_u32 s1, s3, s1
	s_add_i32 s14, s13, -1
	s_load_b64 s[0:1], s[0:1], 0x0
	v_fmac_f32_e32 v5, 0x4f800000, v4
	s_sub_i32 s6, 0, s20
	s_waitcnt lgkmcnt(0)
	v_mov_b32_e32 v8, s0
	s_delay_alu instid0(VALU_DEP_2) | instskip(SKIP_2) | instid1(VALU_DEP_2)
	v_rcp_f32_e32 v4, v5
	v_cvt_f32_u32_e32 v5, s20
	v_mov_b32_e32 v7, s1
	v_rcp_iflag_f32_e32 v5, v5
	s_waitcnt_depctr 0xfff
	v_mul_f32_e32 v4, 0x5f7ffffc, v4
	s_delay_alu instid0(VALU_DEP_1) | instskip(SKIP_1) | instid1(VALU_DEP_2)
	v_mul_f32_e32 v6, 0x2f800000, v4
	v_mul_f32_e32 v9, 0x4f7ffffe, v5
	v_trunc_f32_e32 v6, v6
	s_delay_alu instid0(VALU_DEP_1) | instskip(SKIP_1) | instid1(VALU_DEP_4)
	v_fmac_f32_e32 v4, 0xcf800000, v6
	v_cvt_u32_f32_e32 v5, v6
	v_cvt_u32_f32_e32 v6, v9
	s_delay_alu instid0(VALU_DEP_3)
	v_cvt_u32_f32_e32 v4, v4
.LBB16_9:                               ; =>This Inner Loop Header: Depth=1
	s_mul_hi_i32 s13, s14, s7
	s_mul_i32 s4, s14, s7
	s_cmp_lg_u64 s[12:13], 0
	s_mov_b32 s5, -1
                                        ; implicit-def: $sgpr0_sgpr1
	s_cbranch_scc0 .LBB16_11
; %bb.10:                               ;   in Loop: Header=BB16_9 Depth=1
	v_readfirstlane_b32 s0, v4
	v_readfirstlane_b32 s1, v5
	s_sub_u32 s5, 0, s20
	s_subb_u32 s15, 0, 0
	s_delay_alu instid0(VALU_DEP_2) | instskip(NEXT) | instid1(VALU_DEP_1)
	s_mul_hi_u32 s21, s5, s0
	s_mul_i32 s22, s5, s1
	s_mul_i32 s23, s15, s0
	s_add_i32 s21, s21, s22
	s_mul_i32 s22, s5, s0
	s_add_i32 s21, s21, s23
	s_mul_hi_u32 s23, s0, s22
	s_mul_i32 s24, s0, s21
	s_mul_hi_u32 s0, s0, s21
	s_add_u32 s23, s23, s24
	s_mul_i32 s25, s1, s22
	s_addc_u32 s0, 0, s0
	s_mul_hi_u32 s22, s1, s22
	s_mul_hi_u32 s24, s1, s21
	s_add_u32 s23, s23, s25
	s_addc_u32 s0, s0, s22
	s_mul_i32 s21, s1, s21
	s_addc_u32 s22, s24, 0
	s_add_u32 s0, s0, s21
	s_addc_u32 s21, 0, s22
	v_add_co_u32 v9, s0, v4, s0
	s_delay_alu instid0(VALU_DEP_1) | instskip(SKIP_1) | instid1(VALU_DEP_1)
	s_cmp_lg_u32 s0, 0
	s_addc_u32 s1, s1, s21
	v_readfirstlane_b32 s0, v9
	s_mul_i32 s21, s5, s1
	s_delay_alu instid0(VALU_DEP_1)
	s_mul_hi_u32 s22, s5, s0
	s_mul_i32 s15, s15, s0
	s_add_i32 s21, s22, s21
	s_mul_i32 s5, s5, s0
	s_add_i32 s21, s21, s15
	s_mul_hi_u32 s15, s1, s5
	s_mul_i32 s23, s1, s5
	s_mul_i32 s24, s0, s21
	s_mul_hi_u32 s5, s0, s5
	s_mul_hi_u32 s0, s0, s21
	s_add_u32 s5, s5, s24
	s_addc_u32 s0, 0, s0
	s_mul_hi_u32 s22, s1, s21
	s_add_u32 s5, s5, s23
	s_addc_u32 s0, s0, s15
	s_mul_i32 s5, s1, s21
	s_addc_u32 s15, s22, 0
	s_add_u32 s0, s0, s5
	s_addc_u32 s5, 0, s15
	v_add_co_u32 v9, s0, v9, s0
	s_delay_alu instid0(VALU_DEP_1) | instskip(SKIP_2) | instid1(SALU_CYCLE_1)
	s_cmp_lg_u32 s0, 0
	s_addc_u32 s5, s1, s5
	s_ashr_i32 s0, s13, 31
	s_add_u32 s22, s4, s0
	s_addc_u32 s23, s13, s0
	v_readfirstlane_b32 s13, v9
	s_mov_b32 s1, s0
	s_delay_alu instid0(SALU_CYCLE_1) | instskip(NEXT) | instid1(SALU_CYCLE_1)
	s_xor_b64 s[22:23], s[22:23], s[0:1]
	s_mul_i32 s15, s22, s5
	s_delay_alu instid0(VALU_DEP_1)
	s_mul_hi_u32 s21, s22, s13
	s_mul_hi_u32 s24, s22, s5
	s_add_u32 s15, s21, s15
	s_mul_i32 s25, s23, s13
	s_addc_u32 s21, 0, s24
	s_mul_hi_u32 s13, s23, s13
	s_mul_hi_u32 s24, s23, s5
	s_add_u32 s15, s15, s25
	s_addc_u32 s13, s21, s13
	s_mul_i32 s5, s23, s5
	s_addc_u32 s15, s24, 0
	s_add_u32 s5, s13, s5
	s_addc_u32 s13, 0, s15
	s_mul_i32 s21, s20, s5
	s_add_u32 s15, s5, 1
	v_sub_co_u32 v9, s21, s22, s21
	s_addc_u32 s22, s13, 0
	s_mul_i32 s25, s20, s13
	s_mul_hi_u32 s27, s20, s5
	s_delay_alu instid0(VALU_DEP_1)
	v_sub_co_u32 v10, s26, v9, s20
	s_add_u32 s24, s5, 2
	s_addc_u32 s28, s13, 0
	s_add_i32 s27, s27, s25
	s_cmp_lg_u32 s21, 0
	v_readfirstlane_b32 s21, v10
	s_subb_u32 s23, s23, s27
	s_cmp_lg_u32 s26, 0
	s_subb_u32 s25, s23, 0
	s_delay_alu instid0(VALU_DEP_1) | instskip(SKIP_4) | instid1(SALU_CYCLE_1)
	s_cmp_ge_u32 s21, s20
	s_cselect_b32 s21, -1, 0
	s_cmp_eq_u32 s25, 0
	v_readfirstlane_b32 s25, v9
	s_cselect_b32 s21, s21, -1
	s_cmp_lg_u32 s21, 0
	s_cselect_b32 s15, s24, s15
	s_cselect_b32 s21, s28, s22
	s_cmp_ge_u32 s25, s20
	s_cselect_b32 s22, -1, 0
	s_cmp_eq_u32 s23, 0
	s_cselect_b32 s22, s22, -1
	s_delay_alu instid0(SALU_CYCLE_1) | instskip(SKIP_4) | instid1(SALU_CYCLE_1)
	s_cmp_lg_u32 s22, 0
	s_cselect_b32 s23, s21, s13
	s_cselect_b32 s22, s15, s5
	s_mov_b32 s5, 0
	s_xor_b64 s[22:23], s[22:23], s[0:1]
	s_sub_u32 s0, s22, s0
.LBB16_11:                              ;   in Loop: Header=BB16_9 Depth=1
	s_and_not1_b32 vcc_lo, exec_lo, s5
	s_cbranch_vccnz .LBB16_13
; %bb.12:                               ;   in Loop: Header=BB16_9 Depth=1
	v_readfirstlane_b32 s0, v6
	s_delay_alu instid0(VALU_DEP_1) | instskip(NEXT) | instid1(SALU_CYCLE_1)
	s_mul_i32 s1, s6, s0
	s_mul_hi_u32 s1, s0, s1
	s_delay_alu instid0(SALU_CYCLE_1) | instskip(NEXT) | instid1(SALU_CYCLE_1)
	s_add_i32 s0, s0, s1
	s_mul_hi_u32 s0, s4, s0
	s_delay_alu instid0(SALU_CYCLE_1) | instskip(NEXT) | instid1(SALU_CYCLE_1)
	s_mul_i32 s1, s0, s20
	s_sub_i32 s1, s4, s1
	s_add_i32 s4, s0, 1
	s_sub_i32 s5, s1, s20
	s_cmp_ge_u32 s1, s20
	s_cselect_b32 s0, s4, s0
	s_cselect_b32 s1, s5, s1
	s_add_i32 s4, s0, 1
	s_cmp_ge_u32 s1, s20
	s_cselect_b32 s0, s4, s0
.LBB16_13:                              ;   in Loop: Header=BB16_9 Depth=1
	s_delay_alu instid0(SALU_CYCLE_1)
	s_cmp_lg_u32 s16, s0
	s_cbranch_scc0 .LBB16_17
; %bb.14:                               ;   in Loop: Header=BB16_9 Depth=1
	s_add_i32 s1, s14, s20
	s_mov_b32 s5, s12
	s_lshl_b32 s1, s1, 5
	s_mov_b32 s15, s16
	s_add_i32 s4, s1, s17
	s_mul_hi_u32 s1, s0, s8
	s_lshl_b64 s[4:5], s[4:5], 3
	s_delay_alu instid0(SALU_CYCLE_1) | instskip(SKIP_2) | instid1(SALU_CYCLE_1)
	s_add_u32 s4, s2, s4
	s_addc_u32 s5, s3, s5
	s_add_i32 s1, s1, s0
	s_lshr_b32 s1, s1, s9
	s_delay_alu instid0(SALU_CYCLE_1) | instskip(NEXT) | instid1(SALU_CYCLE_1)
	s_mul_i32 s13, s1, s10
	s_cmp_eq_u32 s13, s0
	s_cselect_b32 s13, -1, 0
	s_cmp_lt_u32 s1, s11
	s_cselect_b32 s1, -1, 0
	s_delay_alu instid0(SALU_CYCLE_1)
	s_or_b32 s1, s1, s13
	s_mov_b32 s13, -1
	s_and_b32 vcc_lo, exec_lo, s1
	s_mov_b32 s1, s14
	s_cbranch_vccnz .LBB16_16
; %bb.15:                               ;   in Loop: Header=BB16_9 Depth=1
	s_add_i32 s1, s14, -1
	s_mov_b32 s13, 0
	s_mov_b32 s15, s0
.LBB16_16:                              ;   in Loop: Header=BB16_9 Depth=1
	v_lshl_add_u32 v9, s14, 14, v0
	s_load_b64 s[4:5], s[4:5], 0x0
	s_delay_alu instid0(VALU_DEP_1) | instskip(NEXT) | instid1(VALU_DEP_1)
	v_ashrrev_i32_e32 v10, 31, v9
	v_lshlrev_b64 v[9:10], 2, v[9:10]
	s_delay_alu instid0(VALU_DEP_1) | instskip(NEXT) | instid1(VALU_DEP_2)
	v_add_co_u32 v9, vcc_lo, s18, v9
	v_add_co_ci_u32_e32 v10, vcc_lo, s19, v10, vcc_lo
	s_waitcnt lgkmcnt(0)
	v_max_f32_e64 v11, s4, s4
	global_load_b32 v10, v[9:10], off
	v_max_f32_e32 v9, v8, v8
	s_delay_alu instid0(VALU_DEP_1) | instskip(NEXT) | instid1(VALU_DEP_1)
	v_max_f32_e32 v9, v9, v11
	v_sub_f32_e32 v12, v8, v9
	s_delay_alu instid0(VALU_DEP_1) | instskip(NEXT) | instid1(VALU_DEP_1)
	v_dual_mul_f32 v14, 0x3fb8aa3b, v12 :: v_dual_sub_f32 v11, s4, v9
	v_rndne_f32_e32 v18, v14
	s_delay_alu instid0(VALU_DEP_2) | instskip(SKIP_2) | instid1(VALU_DEP_4)
	v_mul_f32_e32 v13, 0x3fb8aa3b, v11
	v_fma_f32 v17, 0x3fb8aa3b, v12, -v14
	v_cmp_ngt_f32_e32 vcc_lo, 0xc2ce8ed0, v11
	v_sub_f32_e32 v14, v14, v18
	s_delay_alu instid0(VALU_DEP_4) | instskip(SKIP_2) | instid1(VALU_DEP_3)
	v_fma_f32 v15, 0x3fb8aa3b, v11, -v13
	v_rndne_f32_e32 v16, v13
	v_fmac_f32_e32 v17, 0x32a5705f, v12
	v_fmac_f32_e32 v15, 0x32a5705f, v11
	s_delay_alu instid0(VALU_DEP_2) | instskip(NEXT) | instid1(VALU_DEP_1)
	v_dual_sub_f32 v13, v13, v16 :: v_dual_add_f32 v14, v14, v17
	v_add_f32_e32 v13, v13, v15
	s_delay_alu instid0(VALU_DEP_2) | instskip(SKIP_2) | instid1(VALU_DEP_3)
	v_exp_f32_e32 v14, v14
	v_cvt_i32_f32_e32 v15, v16
	v_cvt_i32_f32_e32 v16, v18
	v_exp_f32_e32 v13, v13
	s_waitcnt_depctr 0xfff
	v_ldexp_f32 v14, v14, v16
	v_ldexp_f32 v13, v13, v15
	s_delay_alu instid0(VALU_DEP_1) | instskip(SKIP_1) | instid1(VALU_DEP_4)
	v_cndmask_b32_e32 v13, 0, v13, vcc_lo
	v_cmp_ngt_f32_e32 vcc_lo, 0xc2ce8ed0, v12
	v_cndmask_b32_e32 v14, 0, v14, vcc_lo
	v_cmp_nlt_f32_e32 vcc_lo, 0x42b17218, v11
	s_delay_alu instid0(VALU_DEP_4) | instskip(SKIP_1) | instid1(VALU_DEP_4)
	v_cndmask_b32_e32 v13, 0x7f800000, v13, vcc_lo
	v_cmp_nlt_f32_e32 vcc_lo, 0x42b17218, v12
	v_cndmask_b32_e32 v14, 0x7f800000, v14, vcc_lo
	v_cmp_le_f32_e32 vcc_lo, 0xc1a00000, v11
	s_delay_alu instid0(VALU_DEP_4) | instskip(SKIP_1) | instid1(VALU_DEP_4)
	v_cndmask_b32_e32 v11, 0, v13, vcc_lo
	v_cmp_le_f32_e32 vcc_lo, 0xc1a00000, v12
	v_cndmask_b32_e32 v12, 0, v14, vcc_lo
	s_waitcnt vmcnt(0)
	s_delay_alu instid0(VALU_DEP_3) | instskip(NEXT) | instid1(VALU_DEP_1)
	v_mul_f32_e32 v10, v10, v11
	v_dual_mul_f32 v11, s5, v11 :: v_dual_fmac_f32 v10, v3, v12
	s_delay_alu instid0(VALU_DEP_1)
	v_fmac_f32_e32 v11, v7, v12
	s_cbranch_execz .LBB16_18
	s_branch .LBB16_19
.LBB16_17:                              ;   in Loop: Header=BB16_9 Depth=1
                                        ; implicit-def: $sgpr13
                                        ; implicit-def: $vgpr10
                                        ; implicit-def: $vgpr9
                                        ; implicit-def: $vgpr11
                                        ; implicit-def: $sgpr1
                                        ; implicit-def: $sgpr15
.LBB16_18:                              ;   in Loop: Header=BB16_9 Depth=1
	v_mov_b32_e32 v11, v7
	s_waitcnt vmcnt(0)
	v_dual_mov_b32 v9, v8 :: v_dual_mov_b32 v10, v3
	s_add_i32 s1, s14, -1
	s_mov_b32 s13, 0
	s_mov_b32 s15, s16
.LBB16_19:                              ;   in Loop: Header=BB16_9 Depth=1
	s_and_not1_b32 vcc_lo, exec_lo, s13
	s_cbranch_vccz .LBB16_23
; %bb.20:                               ;   in Loop: Header=BB16_9 Depth=1
	v_dual_mov_b32 v7, v11 :: v_dual_mov_b32 v8, v9
	s_waitcnt vmcnt(0)
	v_mov_b32_e32 v3, v10
	s_mov_b32 s16, s15
	s_mov_b32 s14, s1
	s_branch .LBB16_9
.LBB16_21:
                                        ; implicit-def: $sgpr16_sgpr17
	s_load_b128 s[8:11], s[0:1], 0x44
	s_branch .LBB16_2
.LBB16_22:
                                        ; implicit-def: $sgpr18_sgpr19
	s_branch .LBB16_5
.LBB16_23:
	v_div_scale_f32 v0, null, v11, v11, v10
	s_waitcnt vmcnt(0)
	s_delay_alu instid0(VALU_DEP_1) | instskip(SKIP_2) | instid1(VALU_DEP_1)
	v_rcp_f32_e32 v3, v0
	s_waitcnt_depctr 0xfff
	v_fma_f32 v4, -v0, v3, 1.0
	v_fmac_f32_e32 v3, v4, v3
	v_div_scale_f32 v4, vcc_lo, v10, v11, v10
	s_delay_alu instid0(VALU_DEP_1) | instskip(NEXT) | instid1(VALU_DEP_1)
	v_mul_f32_e32 v5, v4, v3
	v_fma_f32 v6, -v0, v5, v4
	s_delay_alu instid0(VALU_DEP_1) | instskip(NEXT) | instid1(VALU_DEP_1)
	v_fmac_f32_e32 v5, v6, v3
	v_fma_f32 v0, -v0, v5, v4
	s_delay_alu instid0(VALU_DEP_1) | instskip(NEXT) | instid1(VALU_DEP_1)
	v_div_fmas_f32 v0, v0, v3, v5
	v_div_fixup_f32 v0, v0, v11, v10
	global_store_b32 v[1:2], v0, off
.LBB16_24:
	s_nop 0
	s_sendmsg sendmsg(MSG_DEALLOC_VGPRS)
	s_endpgm
	.section	.rodata,"a",@progbits
	.p2align	6, 0x0
	.amdhsa_kernel _ZL33flash_attn_stream_k_fixup_generalILi512ELi8ELi4EEvPfPK15HIP_vector_typeIfLj2EEiiiiS1_IjLj3EES5_S5_S5_
		.amdhsa_group_segment_fixed_size 0
		.amdhsa_private_segment_fixed_size 0
		.amdhsa_kernarg_size 336
		.amdhsa_user_sgpr_count 13
		.amdhsa_user_sgpr_dispatch_ptr 0
		.amdhsa_user_sgpr_queue_ptr 0
		.amdhsa_user_sgpr_kernarg_segment_ptr 1
		.amdhsa_user_sgpr_dispatch_id 0
		.amdhsa_user_sgpr_private_segment_size 0
		.amdhsa_wavefront_size32 1
		.amdhsa_uses_dynamic_stack 0
		.amdhsa_enable_private_segment 0
		.amdhsa_system_sgpr_workgroup_id_x 1
		.amdhsa_system_sgpr_workgroup_id_y 1
		.amdhsa_system_sgpr_workgroup_id_z 1
		.amdhsa_system_sgpr_workgroup_info 0
		.amdhsa_system_vgpr_workitem_id 0
		.amdhsa_next_free_vgpr 19
		.amdhsa_next_free_sgpr 32
		.amdhsa_reserve_vcc 1
		.amdhsa_float_round_mode_32 0
		.amdhsa_float_round_mode_16_64 0
		.amdhsa_float_denorm_mode_32 3
		.amdhsa_float_denorm_mode_16_64 3
		.amdhsa_dx10_clamp 1
		.amdhsa_ieee_mode 1
		.amdhsa_fp16_overflow 0
		.amdhsa_workgroup_processor_mode 1
		.amdhsa_memory_ordered 1
		.amdhsa_forward_progress 0
		.amdhsa_shared_vgpr_count 0
		.amdhsa_exception_fp_ieee_invalid_op 0
		.amdhsa_exception_fp_denorm_src 0
		.amdhsa_exception_fp_ieee_div_zero 0
		.amdhsa_exception_fp_ieee_overflow 0
		.amdhsa_exception_fp_ieee_underflow 0
		.amdhsa_exception_fp_ieee_inexact 0
		.amdhsa_exception_int_div_zero 0
	.end_amdhsa_kernel
	.section	.text._ZL33flash_attn_stream_k_fixup_generalILi512ELi8ELi4EEvPfPK15HIP_vector_typeIfLj2EEiiiiS1_IjLj3EES5_S5_S5_,"axG",@progbits,_ZL33flash_attn_stream_k_fixup_generalILi512ELi8ELi4EEvPfPK15HIP_vector_typeIfLj2EEiiiiS1_IjLj3EES5_S5_S5_,comdat
.Lfunc_end16:
	.size	_ZL33flash_attn_stream_k_fixup_generalILi512ELi8ELi4EEvPfPK15HIP_vector_typeIfLj2EEiiiiS1_IjLj3EES5_S5_S5_, .Lfunc_end16-_ZL33flash_attn_stream_k_fixup_generalILi512ELi8ELi4EEvPfPK15HIP_vector_typeIfLj2EEiiiiS1_IjLj3EES5_S5_S5_
                                        ; -- End function
	.section	.AMDGPU.csdata,"",@progbits
; Kernel info:
; codeLenInByte = 3224
; NumSgprs: 34
; NumVgprs: 19
; ScratchSize: 0
; MemoryBound: 0
; FloatMode: 240
; IeeeMode: 1
; LDSByteSize: 0 bytes/workgroup (compile time only)
; SGPRBlocks: 4
; VGPRBlocks: 2
; NumSGPRsForWavesPerEU: 34
; NumVGPRsForWavesPerEU: 19
; Occupancy: 16
; WaveLimiterHint : 0
; COMPUTE_PGM_RSRC2:SCRATCH_EN: 0
; COMPUTE_PGM_RSRC2:USER_SGPR: 13
; COMPUTE_PGM_RSRC2:TRAP_HANDLER: 0
; COMPUTE_PGM_RSRC2:TGID_X_EN: 1
; COMPUTE_PGM_RSRC2:TGID_Y_EN: 1
; COMPUTE_PGM_RSRC2:TGID_Z_EN: 1
; COMPUTE_PGM_RSRC2:TIDIG_COMP_CNT: 0
	.section	.text._ZL15flash_attn_tileILi512ELi512ELi4ELi4ELb0EEvPKcS1_S1_S1_S1_PKiPfP15HIP_vector_typeIfLj2EEffffjfiS5_IjLj3EEiiiiiiiiiiiliiliiiiil,"axG",@progbits,_ZL15flash_attn_tileILi512ELi512ELi4ELi4ELb0EEvPKcS1_S1_S1_S1_PKiPfP15HIP_vector_typeIfLj2EEffffjfiS5_IjLj3EEiiiiiiiiiiiliiliiiiil,comdat
	.globl	_ZL15flash_attn_tileILi512ELi512ELi4ELi4ELb0EEvPKcS1_S1_S1_S1_PKiPfP15HIP_vector_typeIfLj2EEffffjfiS5_IjLj3EEiiiiiiiiiiiliiliiiiil ; -- Begin function _ZL15flash_attn_tileILi512ELi512ELi4ELi4ELb0EEvPKcS1_S1_S1_S1_PKiPfP15HIP_vector_typeIfLj2EEffffjfiS5_IjLj3EEiiiiiiiiiiiliiliiiiil
	.p2align	8
	.type	_ZL15flash_attn_tileILi512ELi512ELi4ELi4ELb0EEvPKcS1_S1_S1_S1_PKiPfP15HIP_vector_typeIfLj2EEffffjfiS5_IjLj3EEiiiiiiiiiiiliiliiiiil,@function
_ZL15flash_attn_tileILi512ELi512ELi4ELi4ELb0EEvPKcS1_S1_S1_S1_PKiPfP15HIP_vector_typeIfLj2EEffffjfiS5_IjLj3EEiiiiiiiiiiiliiliiiiil: ; @_ZL15flash_attn_tileILi512ELi512ELi4ELi4ELb0EEvPKcS1_S1_S1_S1_PKiPfP15HIP_vector_typeIfLj2EEffffjfiS5_IjLj3EEiiiiiiiiiiiliiliiiiil
; %bb.0:
	s_clause 0x1
	s_load_b128 s[36:39], s[0:1], 0x5c
	s_load_b64 s[34:35], s[0:1], 0x80
	s_mov_b64 s[40:41], 0
	s_waitcnt lgkmcnt(0)
	s_ashr_i32 s2, s39, 31
	s_delay_alu instid0(SALU_CYCLE_1) | instskip(NEXT) | instid1(SALU_CYCLE_1)
	s_lshr_b32 s2, s2, 30
	s_add_i32 s2, s39, s2
	s_delay_alu instid0(SALU_CYCLE_1) | instskip(NEXT) | instid1(SALU_CYCLE_1)
	s_ashr_i32 s2, s2, 2
	v_cvt_f32_u32_e32 v1, s2
	s_sub_i32 s4, 0, s2
	s_delay_alu instid0(VALU_DEP_1) | instskip(SKIP_2) | instid1(VALU_DEP_1)
	v_rcp_iflag_f32_e32 v1, v1
	s_waitcnt_depctr 0xfff
	v_mul_f32_e32 v1, 0x4f7ffffe, v1
	v_cvt_u32_f32_e32 v1, v1
	s_delay_alu instid0(VALU_DEP_1) | instskip(NEXT) | instid1(VALU_DEP_1)
	v_readfirstlane_b32 s3, v1
	s_mul_i32 s4, s4, s3
	s_delay_alu instid0(SALU_CYCLE_1) | instskip(NEXT) | instid1(SALU_CYCLE_1)
	s_mul_hi_u32 s4, s3, s4
	s_add_i32 s3, s3, s4
	s_delay_alu instid0(SALU_CYCLE_1) | instskip(NEXT) | instid1(SALU_CYCLE_1)
	s_mul_hi_u32 s3, s15, s3
	s_mul_i32 s4, s3, s2
	s_add_i32 s5, s3, 1
	s_sub_i32 s4, s15, s4
	s_delay_alu instid0(SALU_CYCLE_1)
	s_sub_i32 s6, s4, s2
	s_cmp_ge_u32 s4, s2
	s_cselect_b32 s3, s5, s3
	s_cselect_b32 s4, s6, s4
	s_add_i32 s5, s3, 1
	s_cmp_ge_u32 s4, s2
	s_cselect_b32 s33, s5, s3
	s_abs_i32 s2, s35
	s_abs_i32 s7, s39
	v_cvt_f32_u32_e32 v1, s2
	s_sub_i32 s4, 0, s2
	s_lshl_b32 s5, s15, 2
	s_mul_i32 s6, s33, s39
	s_delay_alu instid0(VALU_DEP_1) | instskip(SKIP_3) | instid1(VALU_DEP_1)
	v_rcp_iflag_f32_e32 v1, v1
	s_sub_i32 s15, s5, s6
	s_waitcnt_depctr 0xfff
	v_mul_f32_e32 v1, 0x4f7ffffe, v1
	v_cvt_u32_f32_e32 v1, v1
	s_delay_alu instid0(VALU_DEP_1) | instskip(NEXT) | instid1(VALU_DEP_1)
	v_readfirstlane_b32 s3, v1
	s_mul_i32 s4, s4, s3
	s_delay_alu instid0(SALU_CYCLE_1) | instskip(NEXT) | instid1(SALU_CYCLE_1)
	s_mul_hi_u32 s4, s3, s4
	s_add_i32 s3, s3, s4
	s_xor_b32 s4, s39, s35
	s_mul_hi_u32 s3, s7, s3
	s_ashr_i32 s4, s4, 31
	s_mul_i32 s5, s3, s2
	s_add_i32 s6, s3, 1
	s_sub_i32 s5, s7, s5
	s_delay_alu instid0(SALU_CYCLE_1)
	s_sub_i32 s7, s5, s2
	s_cmp_ge_u32 s5, s2
	s_cselect_b32 s3, s6, s3
	s_cselect_b32 s5, s7, s5
	s_add_i32 s6, s3, 1
	s_cmp_ge_u32 s5, s2
	s_cselect_b32 s2, s6, s3
	s_delay_alu instid0(SALU_CYCLE_1) | instskip(NEXT) | instid1(SALU_CYCLE_1)
	s_xor_b32 s2, s2, s4
	s_sub_i32 s9, s2, s4
	s_clause 0x1
	s_load_b512 s[16:31], s[0:1], 0x0
	s_load_b64 s[2:3], s[0:1], 0xb8
	s_abs_i32 s8, s9
	s_delay_alu instid0(SALU_CYCLE_1) | instskip(NEXT) | instid1(VALU_DEP_1)
	v_cvt_f32_u32_e32 v1, s8
	v_rcp_iflag_f32_e32 v1, v1
	s_waitcnt_depctr 0xfff
	v_mul_f32_e32 v1, 0x4f7ffffe, v1
	s_waitcnt lgkmcnt(0)
	s_cmp_eq_u64 s[22:23], 0
	s_delay_alu instid0(VALU_DEP_1) | instskip(NEXT) | instid1(VALU_DEP_1)
	v_cvt_u32_f32_e32 v1, v1
	v_readfirstlane_b32 s10, v1
	s_cbranch_scc1 .LBB17_2
; %bb.1:
	s_abs_i32 s2, s2
	s_abs_i32 s6, s33
	v_cvt_f32_u32_e32 v1, s2
	s_sub_i32 s5, 0, s2
	s_delay_alu instid0(VALU_DEP_1) | instskip(SKIP_2) | instid1(VALU_DEP_1)
	v_rcp_iflag_f32_e32 v1, v1
	s_waitcnt_depctr 0xfff
	v_mul_f32_e32 v1, 0x4f7ffffe, v1
	v_cvt_u32_f32_e32 v1, v1
	s_delay_alu instid0(VALU_DEP_1) | instskip(NEXT) | instid1(VALU_DEP_1)
	v_readfirstlane_b32 s4, v1
	s_mul_i32 s5, s5, s4
	s_delay_alu instid0(SALU_CYCLE_1) | instskip(NEXT) | instid1(SALU_CYCLE_1)
	s_mul_hi_u32 s5, s4, s5
	s_add_i32 s7, s4, s5
	s_load_b64 s[4:5], s[0:1], 0xc8
	s_mul_hi_u32 s7, s6, s7
	s_delay_alu instid0(SALU_CYCLE_1) | instskip(NEXT) | instid1(SALU_CYCLE_1)
	s_mul_i32 s7, s7, s2
	s_sub_i32 s6, s6, s7
	s_ashr_i32 s7, s33, 31
	s_sub_i32 s11, s6, s2
	s_cmp_ge_u32 s6, s2
	s_cselect_b32 s6, s11, s6
	s_delay_alu instid0(SALU_CYCLE_1) | instskip(SKIP_2) | instid1(SALU_CYCLE_1)
	s_sub_i32 s11, s6, s2
	s_cmp_ge_u32 s6, s2
	s_cselect_b32 s2, s11, s6
	s_xor_b32 s2, s2, s7
	s_delay_alu instid0(SALU_CYCLE_1)
	s_sub_i32 s2, s2, s7
	s_waitcnt lgkmcnt(0)
	s_mul_i32 s5, s2, s5
	s_mul_hi_u32 s6, s2, s4
	s_ashr_i32 s7, s2, 31
	s_add_i32 s5, s6, s5
	s_mul_i32 s7, s7, s4
	s_mul_i32 s2, s2, s4
	s_add_i32 s5, s5, s7
	s_add_u32 s40, s22, s2
	s_addc_u32 s41, s23, s5
.LBB17_2:
	v_bfe_u32 v1, v0, 10, 10
	s_load_b128 s[4:7], s[0:1], 0x70
	v_and_b32_e32 v101, 0x3ff, v0
	s_delay_alu instid0(VALU_DEP_2) | instskip(SKIP_1) | instid1(VALU_DEP_3)
	v_lshrrev_b32_e32 v2, 1, v1
	v_lshlrev_b32_e32 v6, 1, v1
	v_lshlrev_b32_e32 v36, 3, v101
	s_delay_alu instid0(VALU_DEP_3) | instskip(NEXT) | instid1(VALU_DEP_3)
	v_lshl_add_u32 v100, s13, 2, v2
	v_or_b32_e32 v35, 1, v6
	v_and_b32_e32 v110, 2, v6
	s_delay_alu instid0(VALU_DEP_4) | instskip(NEXT) | instid1(VALU_DEP_4)
	v_lshl_or_b32 v51, v1, 11, v36
	v_mul_hi_u32 v2, s36, v100
	s_delay_alu instid0(VALU_DEP_4) | instskip(SKIP_4) | instid1(VALU_DEP_3)
	v_and_b32_e32 v12, 3, v35
	v_lshlrev_b32_e32 v35, 8, v35
	s_waitcnt lgkmcnt(0)
	s_mul_i32 s2, s33, s6
	s_mul_i32 s6, s15, s5
	v_add_nc_u32_e32 v2, v100, v2
	s_ashr_i32 s7, s2, 31
	s_add_u32 s2, s16, s2
	s_addc_u32 s7, s17, s7
	s_ashr_i32 s11, s6, 31
	v_lshrrev_b32_e32 v2, s37, v2
	s_add_u32 s2, s2, s6
	s_addc_u32 s6, s7, s11
	s_ashr_i32 s7, s4, 31
	s_delay_alu instid0(VALU_DEP_1)
	v_mul_lo_u32 v2, v2, s38
	v_alignbit_b32 v5, s7, s4, 2
	s_ashr_i32 s4, s5, 31
	s_lshr_b32 s7, s7, 2
	v_alignbit_b32 v10, s4, s5, 2
	s_lshr_b32 s4, s4, 2
	s_mov_b32 s5, 0
	v_mul_lo_u32 v11, s4, v110
	v_sub_nc_u32_e32 v2, v100, v2
	v_mad_u64_u32 v[8:9], null, v10, v110, 0
	s_cmp_eq_u64 s[26:27], 0
	s_delay_alu instid0(VALU_DEP_2) | instskip(NEXT) | instid1(VALU_DEP_2)
	v_mad_u64_u32 v[3:4], null, v5, v2, 0
	v_or_b32_e32 v9, v9, v11
	s_delay_alu instid0(VALU_DEP_2) | instskip(SKIP_1) | instid1(VALU_DEP_2)
	v_mad_u64_u32 v[5:6], null, s7, v2, v[4:5]
	v_mad_u64_u32 v[6:7], null, v10, v12, 0
	v_dual_mov_b32 v4, v5 :: v_dual_lshlrev_b32 v5, 4, v101
	s_delay_alu instid0(VALU_DEP_2) | instskip(NEXT) | instid1(VALU_DEP_2)
	v_mov_b32_e32 v0, v7
	v_lshlrev_b64 v[3:4], 2, v[3:4]
	s_delay_alu instid0(VALU_DEP_2) | instskip(NEXT) | instid1(VALU_DEP_2)
	v_mad_u64_u32 v[10:11], null, s4, v12, v[0:1]
	v_add_co_u32 v0, vcc_lo, s2, v3
	s_delay_alu instid0(VALU_DEP_3) | instskip(SKIP_1) | instid1(VALU_DEP_3)
	v_add_co_ci_u32_e32 v7, vcc_lo, s6, v4, vcc_lo
	v_lshlrev_b64 v[3:4], 2, v[8:9]
	v_add_co_u32 v0, vcc_lo, v0, v5
	s_delay_alu instid0(VALU_DEP_3) | instskip(SKIP_1) | instid1(VALU_DEP_3)
	v_add_co_ci_u32_e32 v13, vcc_lo, 0, v7, vcc_lo
	v_mov_b32_e32 v7, v10
	v_add_co_u32 v15, vcc_lo, v0, v3
	s_delay_alu instid0(VALU_DEP_3) | instskip(NEXT) | instid1(VALU_DEP_3)
	v_add_co_ci_u32_e32 v16, vcc_lo, v13, v4, vcc_lo
	v_lshlrev_b64 v[11:12], 2, v[6:7]
	s_load_b32 s2, s[0:1], 0x40
	s_clause 0x1
	global_load_b128 v[3:6], v[15:16], off
	global_load_b128 v[7:10], v[15:16], off offset:512
	v_add_co_u32 v31, vcc_lo, v0, v11
	v_add_co_ci_u32_e32 v32, vcc_lo, v13, v12, vcc_lo
	s_clause 0x5
	global_load_b128 v[11:14], v[15:16], off offset:1024
	global_load_b128 v[15:18], v[15:16], off offset:1536
	global_load_b128 v[19:22], v[31:32], off
	global_load_b128 v[23:26], v[31:32], off offset:512
	global_load_b128 v[27:30], v[31:32], off offset:1024
	;; [unrolled: 1-line block ×3, first 2 shown]
	v_lshlrev_b32_e32 v0, 1, v101
	s_delay_alu instid0(VALU_DEP_1)
	v_add_lshl_u32 v0, v35, v0, 2
	s_waitcnt vmcnt(7) lgkmcnt(0)
	v_fma_mixlo_f16 v35, v3, s2, 0
	v_fma_mixlo_f16 v36, v5, s2, 0
	s_waitcnt vmcnt(6)
	v_fma_mixlo_f16 v37, v7, s2, 0
	v_fma_mixlo_f16 v38, v9, s2, 0
	s_waitcnt vmcnt(5)
	;; [unrolled: 3-line block ×7, first 2 shown]
	v_fma_mixlo_f16 v49, v31, s2, 0
	v_fma_mixlo_f16 v50, v33, s2, 0
	v_fma_mixhi_f16 v36, v6, s2, 0
	v_fma_mixhi_f16 v35, v4, s2, 0
	;; [unrolled: 1-line block ×16, first 2 shown]
	ds_store_2addr_b64 v51, v[35:36], v[37:38] offset1:32
	ds_store_2addr_b64 v51, v[39:40], v[41:42] offset0:64 offset1:96
	ds_store_2addr_b64 v0, v[43:44], v[45:46] offset1:32
	ds_store_2addr_b64 v0, v[47:48], v[49:50] offset0:64 offset1:96
	s_waitcnt lgkmcnt(0)
	s_barrier
	buffer_gl0_inv
	s_cbranch_scc1 .LBB17_4
; %bb.3:
	s_load_b32 s2, s[0:1], 0xd0
	s_waitcnt lgkmcnt(0)
	s_mul_i32 s2, s2, s33
	s_delay_alu instid0(SALU_CYCLE_1) | instskip(NEXT) | instid1(SALU_CYCLE_1)
	s_add_i32 s4, s2, s13
	s_lshl_b64 s[4:5], s[4:5], 2
	s_delay_alu instid0(SALU_CYCLE_1)
	s_add_u32 s4, s26, s4
	s_addc_u32 s5, s27, s5
	s_load_b32 s34, s[4:5], 0x0
.LBB17_4:
	v_lshlrev_b32_e32 v109, 2, v101
	v_mbcnt_lo_u32_b32 v111, -1, 0
	s_lshl_b32 s13, s14, 6
	s_waitcnt lgkmcnt(0)
	s_cmp_lt_i32 s13, s34
	s_cbranch_scc1 .LBB17_6
; %bb.5:
	v_mbcnt_lo_u32_b32 v3, -1, 0
	v_mov_b32_e32 v0, 32
	s_mov_b32 s2, 0
	s_mov_b32 s4, 0xfeffffff
	s_delay_alu instid0(VALU_DEP_2)
	v_xor_b32_e32 v116, 16, v3
	v_xor_b32_e32 v115, 8, v3
	;; [unrolled: 1-line block ×5, first 2 shown]
	s_branch .LBB17_7
.LBB17_6:
	s_mov_b32 s2, -1
                                        ; implicit-def: $sgpr4
                                        ; implicit-def: $vgpr3
                                        ; implicit-def: $vgpr0
                                        ; implicit-def: $vgpr116
                                        ; implicit-def: $vgpr115
                                        ; implicit-def: $vgpr114
                                        ; implicit-def: $vgpr113
                                        ; implicit-def: $vgpr112
.LBB17_7:
	s_delay_alu instid0(SALU_CYCLE_1) | instskip(SKIP_2) | instid1(VALU_DEP_3)
	v_cndmask_b32_e64 v4, 0, 1, s2
	v_dual_mov_b32 v108, s4 :: v_dual_mov_b32 v117, s2
	v_dual_mov_b32 v24, s2 :: v_dual_mov_b32 v107, s4
	v_cmp_ne_u32_e32 vcc_lo, 1, v4
	v_dual_mov_b32 v118, s2 :: v_dual_mov_b32 v29, s2
	v_dual_mov_b32 v26, s2 :: v_dual_mov_b32 v25, s2
	;; [unrolled: 1-line block ×8, first 2 shown]
	s_cbranch_vccnz .LBB17_11
; %bb.8:
	s_clause 0x1
	s_load_b128 s[4:7], s[0:1], 0x98
	s_load_b64 s[16:17], s[0:1], 0x8c
	s_sub_i32 s2, 0, s8
	s_abs_i32 s11, s15
	s_mul_i32 s2, s2, s10
	s_ashr_i32 s12, s15, 31
	s_mul_hi_u32 s2, s10, s2
	s_ashr_i32 s9, s9, 31
	s_add_i32 s10, s10, s2
	s_ashr_i32 s2, s3, 1
	s_mul_hi_u32 s3, s11, s10
	s_ashr_i32 s10, s33, 31
	s_load_b64 s[26:27], s[0:1], 0xa8
	s_mul_i32 s35, s3, s8
	v_lshrrev_b32_e32 v0, 3, v101
	v_dual_mov_b32 v14, 0 :: v_dual_and_b32 v9, 28, v109
	v_dual_mov_b32 v107, 0xfeffffff :: v_dual_lshlrev_b32 v122, 11, v1
	v_mov_b32_e32 v19, 0
	s_waitcnt lgkmcnt(0)
	s_ashr_i32 s22, s6, 2
	s_mul_i32 s5, s33, s5
	s_mul_hi_u32 s6, s33, s4
	s_ashr_i32 s23, s16, 2
	s_mul_i32 s16, s10, s4
	s_add_i32 s5, s6, s5
	s_mul_i32 s4, s33, s4
	s_add_i32 s5, s5, s16
	s_add_u32 s4, s18, s4
	s_addc_u32 s5, s19, s5
	s_xor_b32 s6, s12, s9
	s_sub_i32 s9, s11, s35
	s_add_i32 s11, s3, 1
	s_sub_i32 s12, s9, s8
	s_cmp_ge_u32 s9, s8
	v_mul_lo_u32 v5, s22, v1
	s_cselect_b32 s3, s11, s3
	s_cselect_b32 s9, s12, s9
	s_add_i32 s11, s3, 1
	s_cmp_ge_u32 s9, s8
	v_lshl_add_u32 v0, v1, 2, v0
	s_cselect_b32 s3, s11, s3
	v_lshlrev_b32_e32 v4, 2, v9
	s_xor_b32 s3, s3, s6
	v_ashrrev_i32_e32 v6, 31, v5
	s_sub_i32 s3, s3, s6
	v_mul_lo_u32 v3, s23, v0
	s_mul_i32 s9, s3, s17
	v_mad_u32_u24 v0, 0x90, v0, v4
	s_mul_i32 s8, s33, s27
	s_mul_hi_u32 s6, s33, s26
	s_ashr_i32 s11, s9, 31
	s_add_u32 s18, s4, s9
	s_mul_i32 s10, s10, s26
	s_addc_u32 s19, s5, s11
	s_add_i32 s4, s6, s8
	s_mul_i32 s5, s33, s26
	v_lshlrev_b64 v[5:6], 2, v[5:6]
	s_add_i32 s4, s4, s10
	s_mul_i32 s3, s3, s7
	v_dual_mov_b32 v16, 0 :: v_dual_add_nc_u32 v119, 0x4000, v0
	v_dual_mov_b32 v15, 0 :: v_dual_add_nc_u32 v120, 0x5200, v0
	v_dual_mov_b32 v17, 0 :: v_dual_lshlrev_b32 v0, 2, v109
	s_add_u32 s5, s20, s5
	v_lshl_add_u32 v7, s23, 5, v3
	s_addc_u32 s4, s21, s4
	s_ashr_i32 s6, s3, 31
	s_add_u32 s3, s5, s3
	s_addc_u32 s4, s4, s6
	v_lshl_add_u32 v10, v1, 10, v0
	v_lshl_add_u32 v123, v1, 8, 0x6400
	v_add_co_u32 v1, vcc_lo, s3, v5
	v_ashrrev_i32_e32 v4, 31, v3
	v_ashrrev_i32_e32 v8, 31, v7
	v_mad_u64_u32 v[102:103], null, v2, s2, v[101:102]
	v_add_co_ci_u32_e32 v2, vcc_lo, s4, v6, vcc_lo
	v_lshl_or_b32 v126, v101, 3, 0x4000
	v_add_co_u32 v127, vcc_lo, v1, v0
	v_lshlrev_b64 v[103:104], 2, v[3:4]
	v_lshlrev_b64 v[105:106], 2, v[7:8]
	v_mul_u32_u24_e32 v121, 0x90, v101
	v_dual_mov_b32 v21, 0 :: v_dual_add_nc_u32 v124, 0x4000, v10
	v_dual_mov_b32 v20, 0 :: v_dual_add_nc_u32 v125, 0x4200, v10
	v_add_co_ci_u32_e32 v128, vcc_lo, 0, v2, vcc_lo
	v_dual_mov_b32 v18, 0 :: v_dual_lshlrev_b32 v129, 2, v9
	v_xor_b32_e32 v116, 16, v111
	v_xor_b32_e32 v115, 8, v111
	;; [unrolled: 1-line block ×5, first 2 shown]
	v_dual_mov_b32 v23, 0 :: v_dual_add_nc_u32 v130, v123, v109
	v_dual_mov_b32 v22, 0 :: v_dual_add_nc_u32 v131, 0x800, v126
	;; [unrolled: 1-line block ×4, first 2 shown]
	v_dual_mov_b32 v25, 0 :: v_dual_mov_b32 v26, 0
	v_dual_mov_b32 v29, 0 :: v_dual_mov_b32 v24, 0
	;; [unrolled: 1-line block ×3, first 2 shown]
	v_mov_b32_e32 v118, 0
	s_add_u32 s16, s0, 0xd0
	s_addc_u32 s17, s1, 0
.LBB17_9:                               ; =>This Inner Loop Header: Depth=1
	s_mul_hi_i32 s7, s13, s23
	s_mul_i32 s6, s13, s23
	v_cmp_gt_i32_e64 s4, 32, v113
	v_cmp_gt_i32_e64 s5, 32, v112
	;; [unrolled: 1-line block ×4, first 2 shown]
	v_cmp_gt_i32_e32 vcc_lo, 32, v116
	s_lshl_b64 s[10:11], s[6:7], 2
	s_mul_hi_i32 s9, s13, s22
	s_mul_i32 s8, s13, s22
	s_add_u32 s7, s18, s10
	v_cndmask_b32_e64 v5, v111, v113, s4
	v_cndmask_b32_e64 v8, v111, v112, s5
	s_addc_u32 s6, s19, s11
	s_lshl_b64 s[4:5], s[8:9], 2
	s_or_b32 s8, s13, 8
	v_cndmask_b32_e64 v3, v111, v115, s2
	v_cndmask_b32_e64 v4, v111, v114, s3
	v_add_co_u32 v11, s2, s7, v103
	s_delay_alu instid0(VALU_DEP_3)
	v_dual_cndmask_b32 v2, v111, v116 :: v_dual_lshlrev_b32 v39, 2, v3
	v_add_co_u32 v10, vcc_lo, s7, v105
	s_mul_hi_i32 s27, s8, s22
	s_mul_i32 s26, s8, s22
	v_add_co_ci_u32_e64 v13, s2, s6, v104, s2
	v_add_co_u32 v6, s3, v127, s4
	v_add_co_ci_u32_e32 v41, vcc_lo, s6, v106, vcc_lo
	s_lshl_b64 s[6:7], s[26:27], 2
	v_add_co_ci_u32_e64 v7, vcc_lo, s5, v128, s3
	v_lshlrev_b32_e32 v38, 2, v4
	v_add_co_u32 v4, s2, v127, s6
	v_add_co_u32 v12, s6, v11, v129
	v_add_co_u32 v10, vcc_lo, v10, v129
	v_lshlrev_b32_e32 v37, 2, v5
	v_add_co_ci_u32_e64 v5, s2, s7, v128, s2
	v_add_co_ci_u32_e64 v13, s2, 0, v13, s6
	v_add_co_ci_u32_e32 v11, vcc_lo, 0, v41, vcc_lo
	s_clause 0x1
	global_load_b128 v[41:44], v[12:13], off
	global_load_b128 v[50:53], v[10:11], off
	v_dual_mov_b32 v32, 0 :: v_dual_mov_b32 v33, 0
	v_dual_mov_b32 v34, 0 :: v_dual_mov_b32 v35, 0
	s_or_b32 s9, s13, 16
	s_or_b32 s10, s13, 24
	;; [unrolled: 1-line block ×3, first 2 shown]
	s_mul_hi_i32 s37, s9, s22
	s_mul_i32 s36, s9, s22
	s_mul_hi_i32 s9, s10, s22
	s_mul_i32 s8, s10, s22
	;; [unrolled: 2-line block ×3, first 2 shown]
	v_lshlrev_b32_e32 v36, 2, v8
	s_lshl_b64 s[10:11], s[10:11], 2
	v_dual_mov_b32 v30, v108 :: v_dual_mov_b32 v31, v107
	v_add_co_u32 v48, s5, v127, s10
	s_delay_alu instid0(VALU_DEP_1)
	v_add_co_ci_u32_e64 v49, vcc_lo, s11, v128, s5
	s_lshl_b64 s[26:27], s[36:37], 2
	s_lshl_b64 s[8:9], s[8:9], 2
	s_or_b32 s20, s13, 40
	s_waitcnt vmcnt(1)
	ds_store_b128 v119, v[41:44]
	s_waitcnt vmcnt(0)
	ds_store_b128 v120, v[50:53]
	s_waitcnt lgkmcnt(0)
	s_barrier
	buffer_gl0_inv
	ds_load_b128 v[41:44], v121 offset:16384
	ds_load_b128 v[50:53], v122
	ds_load_b128 v[54:57], v122 offset:1024
	ds_load_b128 v[58:61], v121 offset:20992
	s_waitcnt lgkmcnt(2)
	;;#ASMSTART
	v_dot2_f32_f16 v32, v41, v50, v32
	;;#ASMEND
	;;#ASMSTART
	v_dot2_f32_f16 v32, v42, v51, v32
	;;#ASMEND
	;;#ASMSTART
	v_dot2_f32_f16 v32, v43, v52, v32
	;;#ASMEND
	;;#ASMSTART
	v_dot2_f32_f16 v32, v44, v53, v32
	;;#ASMEND
	s_waitcnt lgkmcnt(1)
	;;#ASMSTART
	v_dot2_f32_f16 v33, v41, v54, v33
	;;#ASMEND
	;;#ASMSTART
	v_dot2_f32_f16 v33, v42, v55, v33
	;;#ASMEND
	;;#ASMSTART
	v_dot2_f32_f16 v33, v43, v56, v33
	;;#ASMEND
	;;#ASMSTART
	v_dot2_f32_f16 v33, v44, v57, v33
	;;#ASMEND
	s_waitcnt lgkmcnt(0)
	;;#ASMSTART
	v_dot2_f32_f16 v34, v58, v50, v34
	;;#ASMEND
	;;#ASMSTART
	v_dot2_f32_f16 v34, v59, v51, v34
	;;#ASMEND
	;;#ASMSTART
	v_dot2_f32_f16 v34, v60, v52, v34
	;;#ASMEND
	;;#ASMSTART
	v_dot2_f32_f16 v34, v61, v53, v34
	;;#ASMEND
	;;#ASMSTART
	v_dot2_f32_f16 v35, v58, v54, v35
	;;#ASMEND
	;;#ASMSTART
	v_dot2_f32_f16 v35, v59, v55, v35
	;;#ASMEND
	;;#ASMSTART
	v_dot2_f32_f16 v35, v60, v56, v35
	;;#ASMEND
	;;#ASMSTART
	v_dot2_f32_f16 v35, v61, v57, v35
	;;#ASMEND
	ds_load_b128 v[41:44], v121 offset:16400
	ds_load_b128 v[50:53], v122 offset:16
	ds_load_b128 v[54:57], v122 offset:1040
	ds_load_b128 v[58:61], v121 offset:21008
	s_waitcnt lgkmcnt(2)
	;;#ASMSTART
	v_dot2_f32_f16 v32, v41, v50, v32
	;;#ASMEND
	;;#ASMSTART
	v_dot2_f32_f16 v32, v42, v51, v32
	;;#ASMEND
	;;#ASMSTART
	v_dot2_f32_f16 v32, v43, v52, v32
	;;#ASMEND
	;;#ASMSTART
	v_dot2_f32_f16 v32, v44, v53, v32
	;;#ASMEND
	s_waitcnt lgkmcnt(1)
	;;#ASMSTART
	v_dot2_f32_f16 v33, v41, v54, v33
	;;#ASMEND
	;;#ASMSTART
	v_dot2_f32_f16 v33, v42, v55, v33
	;;#ASMEND
	;;#ASMSTART
	v_dot2_f32_f16 v33, v43, v56, v33
	;;#ASMEND
	;;#ASMSTART
	v_dot2_f32_f16 v33, v44, v57, v33
	;;#ASMEND
	s_waitcnt lgkmcnt(0)
	;;#ASMSTART
	v_dot2_f32_f16 v34, v58, v50, v34
	;;#ASMEND
	;;#ASMSTART
	v_dot2_f32_f16 v34, v59, v51, v34
	;;#ASMEND
	;;#ASMSTART
	v_dot2_f32_f16 v34, v60, v52, v34
	;;#ASMEND
	;;#ASMSTART
	v_dot2_f32_f16 v34, v61, v53, v34
	;;#ASMEND
	;;#ASMSTART
	v_dot2_f32_f16 v35, v58, v54, v35
	;;#ASMEND
	;;#ASMSTART
	v_dot2_f32_f16 v35, v59, v55, v35
	;;#ASMEND
	;;#ASMSTART
	v_dot2_f32_f16 v35, v60, v56, v35
	;;#ASMEND
	;;#ASMSTART
	v_dot2_f32_f16 v35, v61, v57, v35
	;;#ASMEND
	ds_load_b128 v[41:44], v121 offset:16416
	ds_load_b128 v[50:53], v122 offset:32
	;; [unrolled: 55-line block ×7, first 2 shown]
	ds_load_b128 v[54:57], v122 offset:1136
	ds_load_b128 v[58:61], v121 offset:21104
	s_waitcnt lgkmcnt(2)
	;;#ASMSTART
	v_dot2_f32_f16 v32, v41, v50, v32
	;;#ASMEND
	;;#ASMSTART
	v_dot2_f32_f16 v32, v42, v51, v32
	;;#ASMEND
	;;#ASMSTART
	v_dot2_f32_f16 v32, v43, v52, v32
	;;#ASMEND
	;;#ASMSTART
	v_dot2_f32_f16 v32, v44, v53, v32
	;;#ASMEND
	s_waitcnt lgkmcnt(1)
	;;#ASMSTART
	v_dot2_f32_f16 v33, v41, v54, v33
	;;#ASMEND
	;;#ASMSTART
	v_dot2_f32_f16 v33, v42, v55, v33
	;;#ASMEND
	;;#ASMSTART
	v_dot2_f32_f16 v33, v43, v56, v33
	;;#ASMEND
	;;#ASMSTART
	v_dot2_f32_f16 v33, v44, v57, v33
	;;#ASMEND
	;; [unrolled: 13-line block ×3, first 2 shown]
	;;#ASMSTART
	v_dot2_f32_f16 v35, v58, v54, v35
	;;#ASMEND
	;;#ASMSTART
	v_dot2_f32_f16 v35, v59, v55, v35
	;;#ASMEND
	;; [unrolled: 3-line block ×4, first 2 shown]
	s_barrier
	buffer_gl0_inv
	s_clause 0x1
	global_load_b128 v[41:44], v[12:13], off offset:128
	global_load_b128 v[50:53], v[10:11], off offset:128
	s_waitcnt vmcnt(1)
	ds_store_b128 v119, v[41:44]
	s_waitcnt vmcnt(0)
	ds_store_b128 v120, v[50:53]
	s_waitcnt lgkmcnt(0)
	s_barrier
	buffer_gl0_inv
	ds_load_b128 v[41:44], v121 offset:16384
	ds_load_b128 v[50:53], v122 offset:128
	ds_load_b128 v[54:57], v122 offset:1152
	ds_load_b128 v[58:61], v121 offset:20992
	s_waitcnt lgkmcnt(2)
	;;#ASMSTART
	v_dot2_f32_f16 v32, v41, v50, v32
	;;#ASMEND
	;;#ASMSTART
	v_dot2_f32_f16 v32, v42, v51, v32
	;;#ASMEND
	;;#ASMSTART
	v_dot2_f32_f16 v32, v43, v52, v32
	;;#ASMEND
	;;#ASMSTART
	v_dot2_f32_f16 v32, v44, v53, v32
	;;#ASMEND
	s_waitcnt lgkmcnt(1)
	;;#ASMSTART
	v_dot2_f32_f16 v33, v41, v54, v33
	;;#ASMEND
	;;#ASMSTART
	v_dot2_f32_f16 v33, v42, v55, v33
	;;#ASMEND
	;;#ASMSTART
	v_dot2_f32_f16 v33, v43, v56, v33
	;;#ASMEND
	;;#ASMSTART
	v_dot2_f32_f16 v33, v44, v57, v33
	;;#ASMEND
	s_waitcnt lgkmcnt(0)
	;;#ASMSTART
	v_dot2_f32_f16 v34, v58, v50, v34
	;;#ASMEND
	;;#ASMSTART
	v_dot2_f32_f16 v34, v59, v51, v34
	;;#ASMEND
	;;#ASMSTART
	v_dot2_f32_f16 v34, v60, v52, v34
	;;#ASMEND
	;;#ASMSTART
	v_dot2_f32_f16 v34, v61, v53, v34
	;;#ASMEND
	;;#ASMSTART
	v_dot2_f32_f16 v35, v58, v54, v35
	;;#ASMEND
	;;#ASMSTART
	v_dot2_f32_f16 v35, v59, v55, v35
	;;#ASMEND
	;;#ASMSTART
	v_dot2_f32_f16 v35, v60, v56, v35
	;;#ASMEND
	;;#ASMSTART
	v_dot2_f32_f16 v35, v61, v57, v35
	;;#ASMEND
	ds_load_b128 v[41:44], v121 offset:16400
	ds_load_b128 v[50:53], v122 offset:144
	ds_load_b128 v[54:57], v122 offset:1168
	ds_load_b128 v[58:61], v121 offset:21008
	s_waitcnt lgkmcnt(2)
	;;#ASMSTART
	v_dot2_f32_f16 v32, v41, v50, v32
	;;#ASMEND
	;;#ASMSTART
	v_dot2_f32_f16 v32, v42, v51, v32
	;;#ASMEND
	;;#ASMSTART
	v_dot2_f32_f16 v32, v43, v52, v32
	;;#ASMEND
	;;#ASMSTART
	v_dot2_f32_f16 v32, v44, v53, v32
	;;#ASMEND
	s_waitcnt lgkmcnt(1)
	;;#ASMSTART
	v_dot2_f32_f16 v33, v41, v54, v33
	;;#ASMEND
	;;#ASMSTART
	v_dot2_f32_f16 v33, v42, v55, v33
	;;#ASMEND
	;;#ASMSTART
	v_dot2_f32_f16 v33, v43, v56, v33
	;;#ASMEND
	;;#ASMSTART
	v_dot2_f32_f16 v33, v44, v57, v33
	;;#ASMEND
	s_waitcnt lgkmcnt(0)
	;;#ASMSTART
	v_dot2_f32_f16 v34, v58, v50, v34
	;;#ASMEND
	;;#ASMSTART
	v_dot2_f32_f16 v34, v59, v51, v34
	;;#ASMEND
	;;#ASMSTART
	v_dot2_f32_f16 v34, v60, v52, v34
	;;#ASMEND
	;;#ASMSTART
	v_dot2_f32_f16 v34, v61, v53, v34
	;;#ASMEND
	;;#ASMSTART
	v_dot2_f32_f16 v35, v58, v54, v35
	;;#ASMEND
	;;#ASMSTART
	v_dot2_f32_f16 v35, v59, v55, v35
	;;#ASMEND
	;;#ASMSTART
	v_dot2_f32_f16 v35, v60, v56, v35
	;;#ASMEND
	;;#ASMSTART
	v_dot2_f32_f16 v35, v61, v57, v35
	;;#ASMEND
	;; [unrolled: 55-line block ×8, first 2 shown]
	s_barrier
	buffer_gl0_inv
	s_clause 0x1
	global_load_b128 v[41:44], v[12:13], off offset:256
	global_load_b128 v[50:53], v[10:11], off offset:256
	s_waitcnt vmcnt(1)
	ds_store_b128 v119, v[41:44]
	s_waitcnt vmcnt(0)
	ds_store_b128 v120, v[50:53]
	s_waitcnt lgkmcnt(0)
	s_barrier
	buffer_gl0_inv
	ds_load_b128 v[41:44], v121 offset:16384
	ds_load_b128 v[50:53], v122 offset:256
	ds_load_b128 v[54:57], v122 offset:1280
	ds_load_b128 v[58:61], v121 offset:20992
	s_waitcnt lgkmcnt(2)
	;;#ASMSTART
	v_dot2_f32_f16 v32, v41, v50, v32
	;;#ASMEND
	;;#ASMSTART
	v_dot2_f32_f16 v32, v42, v51, v32
	;;#ASMEND
	;;#ASMSTART
	v_dot2_f32_f16 v32, v43, v52, v32
	;;#ASMEND
	;;#ASMSTART
	v_dot2_f32_f16 v32, v44, v53, v32
	;;#ASMEND
	s_waitcnt lgkmcnt(1)
	;;#ASMSTART
	v_dot2_f32_f16 v33, v41, v54, v33
	;;#ASMEND
	;;#ASMSTART
	v_dot2_f32_f16 v33, v42, v55, v33
	;;#ASMEND
	;;#ASMSTART
	v_dot2_f32_f16 v33, v43, v56, v33
	;;#ASMEND
	;;#ASMSTART
	v_dot2_f32_f16 v33, v44, v57, v33
	;;#ASMEND
	s_waitcnt lgkmcnt(0)
	;;#ASMSTART
	v_dot2_f32_f16 v34, v58, v50, v34
	;;#ASMEND
	;;#ASMSTART
	v_dot2_f32_f16 v34, v59, v51, v34
	;;#ASMEND
	;;#ASMSTART
	v_dot2_f32_f16 v34, v60, v52, v34
	;;#ASMEND
	;;#ASMSTART
	v_dot2_f32_f16 v34, v61, v53, v34
	;;#ASMEND
	;;#ASMSTART
	v_dot2_f32_f16 v35, v58, v54, v35
	;;#ASMEND
	;;#ASMSTART
	v_dot2_f32_f16 v35, v59, v55, v35
	;;#ASMEND
	;;#ASMSTART
	v_dot2_f32_f16 v35, v60, v56, v35
	;;#ASMEND
	;;#ASMSTART
	v_dot2_f32_f16 v35, v61, v57, v35
	;;#ASMEND
	ds_load_b128 v[41:44], v121 offset:16400
	ds_load_b128 v[50:53], v122 offset:272
	ds_load_b128 v[54:57], v122 offset:1296
	ds_load_b128 v[58:61], v121 offset:21008
	s_waitcnt lgkmcnt(2)
	;;#ASMSTART
	v_dot2_f32_f16 v32, v41, v50, v32
	;;#ASMEND
	;;#ASMSTART
	v_dot2_f32_f16 v32, v42, v51, v32
	;;#ASMEND
	;;#ASMSTART
	v_dot2_f32_f16 v32, v43, v52, v32
	;;#ASMEND
	;;#ASMSTART
	v_dot2_f32_f16 v32, v44, v53, v32
	;;#ASMEND
	s_waitcnt lgkmcnt(1)
	;;#ASMSTART
	v_dot2_f32_f16 v33, v41, v54, v33
	;;#ASMEND
	;;#ASMSTART
	v_dot2_f32_f16 v33, v42, v55, v33
	;;#ASMEND
	;;#ASMSTART
	v_dot2_f32_f16 v33, v43, v56, v33
	;;#ASMEND
	;;#ASMSTART
	v_dot2_f32_f16 v33, v44, v57, v33
	;;#ASMEND
	s_waitcnt lgkmcnt(0)
	;;#ASMSTART
	v_dot2_f32_f16 v34, v58, v50, v34
	;;#ASMEND
	;;#ASMSTART
	v_dot2_f32_f16 v34, v59, v51, v34
	;;#ASMEND
	;;#ASMSTART
	v_dot2_f32_f16 v34, v60, v52, v34
	;;#ASMEND
	;;#ASMSTART
	v_dot2_f32_f16 v34, v61, v53, v34
	;;#ASMEND
	;;#ASMSTART
	v_dot2_f32_f16 v35, v58, v54, v35
	;;#ASMEND
	;;#ASMSTART
	v_dot2_f32_f16 v35, v59, v55, v35
	;;#ASMEND
	;;#ASMSTART
	v_dot2_f32_f16 v35, v60, v56, v35
	;;#ASMEND
	;;#ASMSTART
	v_dot2_f32_f16 v35, v61, v57, v35
	;;#ASMEND
	ds_load_b128 v[41:44], v121 offset:16416
	ds_load_b128 v[50:53], v122 offset:288
	ds_load_b128 v[54:57], v122 offset:1312
	ds_load_b128 v[58:61], v121 offset:21024
	s_waitcnt lgkmcnt(2)
	;;#ASMSTART
	v_dot2_f32_f16 v32, v41, v50, v32
	;;#ASMEND
	;;#ASMSTART
	v_dot2_f32_f16 v32, v42, v51, v32
	;;#ASMEND
	;;#ASMSTART
	v_dot2_f32_f16 v32, v43, v52, v32
	;;#ASMEND
	;;#ASMSTART
	v_dot2_f32_f16 v32, v44, v53, v32
	;;#ASMEND
	s_waitcnt lgkmcnt(1)
	;;#ASMSTART
	v_dot2_f32_f16 v33, v41, v54, v33
	;;#ASMEND
	;;#ASMSTART
	v_dot2_f32_f16 v33, v42, v55, v33
	;;#ASMEND
	;;#ASMSTART
	v_dot2_f32_f16 v33, v43, v56, v33
	;;#ASMEND
	;;#ASMSTART
	v_dot2_f32_f16 v33, v44, v57, v33
	;;#ASMEND
	s_waitcnt lgkmcnt(0)
	;;#ASMSTART
	v_dot2_f32_f16 v34, v58, v50, v34
	;;#ASMEND
	;;#ASMSTART
	v_dot2_f32_f16 v34, v59, v51, v34
	;;#ASMEND
	;;#ASMSTART
	v_dot2_f32_f16 v34, v60, v52, v34
	;;#ASMEND
	;;#ASMSTART
	v_dot2_f32_f16 v34, v61, v53, v34
	;;#ASMEND
	;;#ASMSTART
	v_dot2_f32_f16 v35, v58, v54, v35
	;;#ASMEND
	;;#ASMSTART
	v_dot2_f32_f16 v35, v59, v55, v35
	;;#ASMEND
	;;#ASMSTART
	v_dot2_f32_f16 v35, v60, v56, v35
	;;#ASMEND
	;;#ASMSTART
	v_dot2_f32_f16 v35, v61, v57, v35
	;;#ASMEND
	ds_load_b128 v[41:44], v121 offset:16432
	ds_load_b128 v[50:53], v122 offset:304
	ds_load_b128 v[54:57], v122 offset:1328
	ds_load_b128 v[58:61], v121 offset:21040
	s_waitcnt lgkmcnt(2)
	;;#ASMSTART
	v_dot2_f32_f16 v32, v41, v50, v32
	;;#ASMEND
	;;#ASMSTART
	v_dot2_f32_f16 v32, v42, v51, v32
	;;#ASMEND
	;;#ASMSTART
	v_dot2_f32_f16 v32, v43, v52, v32
	;;#ASMEND
	;;#ASMSTART
	v_dot2_f32_f16 v32, v44, v53, v32
	;;#ASMEND
	s_waitcnt lgkmcnt(1)
	;;#ASMSTART
	v_dot2_f32_f16 v33, v41, v54, v33
	;;#ASMEND
	;;#ASMSTART
	v_dot2_f32_f16 v33, v42, v55, v33
	;;#ASMEND
	;;#ASMSTART
	v_dot2_f32_f16 v33, v43, v56, v33
	;;#ASMEND
	;;#ASMSTART
	v_dot2_f32_f16 v33, v44, v57, v33
	;;#ASMEND
	s_waitcnt lgkmcnt(0)
	;;#ASMSTART
	v_dot2_f32_f16 v34, v58, v50, v34
	;;#ASMEND
	;;#ASMSTART
	v_dot2_f32_f16 v34, v59, v51, v34
	;;#ASMEND
	;;#ASMSTART
	v_dot2_f32_f16 v34, v60, v52, v34
	;;#ASMEND
	;;#ASMSTART
	v_dot2_f32_f16 v34, v61, v53, v34
	;;#ASMEND
	;;#ASMSTART
	v_dot2_f32_f16 v35, v58, v54, v35
	;;#ASMEND
	;;#ASMSTART
	v_dot2_f32_f16 v35, v59, v55, v35
	;;#ASMEND
	;;#ASMSTART
	v_dot2_f32_f16 v35, v60, v56, v35
	;;#ASMEND
	;;#ASMSTART
	v_dot2_f32_f16 v35, v61, v57, v35
	;;#ASMEND
	ds_load_b128 v[41:44], v121 offset:16448
	ds_load_b128 v[50:53], v122 offset:320
	ds_load_b128 v[54:57], v122 offset:1344
	ds_load_b128 v[58:61], v121 offset:21056
	s_waitcnt lgkmcnt(2)
	;;#ASMSTART
	v_dot2_f32_f16 v32, v41, v50, v32
	;;#ASMEND
	;;#ASMSTART
	v_dot2_f32_f16 v32, v42, v51, v32
	;;#ASMEND
	;;#ASMSTART
	v_dot2_f32_f16 v32, v43, v52, v32
	;;#ASMEND
	;;#ASMSTART
	v_dot2_f32_f16 v32, v44, v53, v32
	;;#ASMEND
	s_waitcnt lgkmcnt(1)
	;;#ASMSTART
	v_dot2_f32_f16 v33, v41, v54, v33
	;;#ASMEND
	;;#ASMSTART
	v_dot2_f32_f16 v33, v42, v55, v33
	;;#ASMEND
	;;#ASMSTART
	v_dot2_f32_f16 v33, v43, v56, v33
	;;#ASMEND
	;;#ASMSTART
	v_dot2_f32_f16 v33, v44, v57, v33
	;;#ASMEND
	s_waitcnt lgkmcnt(0)
	;;#ASMSTART
	v_dot2_f32_f16 v34, v58, v50, v34
	;;#ASMEND
	;;#ASMSTART
	v_dot2_f32_f16 v34, v59, v51, v34
	;;#ASMEND
	;;#ASMSTART
	v_dot2_f32_f16 v34, v60, v52, v34
	;;#ASMEND
	;;#ASMSTART
	v_dot2_f32_f16 v34, v61, v53, v34
	;;#ASMEND
	;;#ASMSTART
	v_dot2_f32_f16 v35, v58, v54, v35
	;;#ASMEND
	;;#ASMSTART
	v_dot2_f32_f16 v35, v59, v55, v35
	;;#ASMEND
	;;#ASMSTART
	v_dot2_f32_f16 v35, v60, v56, v35
	;;#ASMEND
	;;#ASMSTART
	v_dot2_f32_f16 v35, v61, v57, v35
	;;#ASMEND
	ds_load_b128 v[41:44], v121 offset:16464
	ds_load_b128 v[50:53], v122 offset:336
	ds_load_b128 v[54:57], v122 offset:1360
	ds_load_b128 v[58:61], v121 offset:21072
	s_waitcnt lgkmcnt(2)
	;;#ASMSTART
	v_dot2_f32_f16 v32, v41, v50, v32
	;;#ASMEND
	;;#ASMSTART
	v_dot2_f32_f16 v32, v42, v51, v32
	;;#ASMEND
	;;#ASMSTART
	v_dot2_f32_f16 v32, v43, v52, v32
	;;#ASMEND
	;;#ASMSTART
	v_dot2_f32_f16 v32, v44, v53, v32
	;;#ASMEND
	s_waitcnt lgkmcnt(1)
	;;#ASMSTART
	v_dot2_f32_f16 v33, v41, v54, v33
	;;#ASMEND
	;;#ASMSTART
	v_dot2_f32_f16 v33, v42, v55, v33
	;;#ASMEND
	;;#ASMSTART
	v_dot2_f32_f16 v33, v43, v56, v33
	;;#ASMEND
	;;#ASMSTART
	v_dot2_f32_f16 v33, v44, v57, v33
	;;#ASMEND
	s_waitcnt lgkmcnt(0)
	;;#ASMSTART
	v_dot2_f32_f16 v34, v58, v50, v34
	;;#ASMEND
	;;#ASMSTART
	v_dot2_f32_f16 v34, v59, v51, v34
	;;#ASMEND
	;;#ASMSTART
	v_dot2_f32_f16 v34, v60, v52, v34
	;;#ASMEND
	;;#ASMSTART
	v_dot2_f32_f16 v34, v61, v53, v34
	;;#ASMEND
	;;#ASMSTART
	v_dot2_f32_f16 v35, v58, v54, v35
	;;#ASMEND
	;;#ASMSTART
	v_dot2_f32_f16 v35, v59, v55, v35
	;;#ASMEND
	;;#ASMSTART
	v_dot2_f32_f16 v35, v60, v56, v35
	;;#ASMEND
	;;#ASMSTART
	v_dot2_f32_f16 v35, v61, v57, v35
	;;#ASMEND
	ds_load_b128 v[41:44], v121 offset:16480
	ds_load_b128 v[50:53], v122 offset:352
	ds_load_b128 v[54:57], v122 offset:1376
	ds_load_b128 v[58:61], v121 offset:21088
	s_waitcnt lgkmcnt(2)
	;;#ASMSTART
	v_dot2_f32_f16 v32, v41, v50, v32
	;;#ASMEND
	;;#ASMSTART
	v_dot2_f32_f16 v32, v42, v51, v32
	;;#ASMEND
	;;#ASMSTART
	v_dot2_f32_f16 v32, v43, v52, v32
	;;#ASMEND
	;;#ASMSTART
	v_dot2_f32_f16 v32, v44, v53, v32
	;;#ASMEND
	s_waitcnt lgkmcnt(1)
	;;#ASMSTART
	v_dot2_f32_f16 v33, v41, v54, v33
	;;#ASMEND
	;;#ASMSTART
	v_dot2_f32_f16 v33, v42, v55, v33
	;;#ASMEND
	;;#ASMSTART
	v_dot2_f32_f16 v33, v43, v56, v33
	;;#ASMEND
	;;#ASMSTART
	v_dot2_f32_f16 v33, v44, v57, v33
	;;#ASMEND
	s_waitcnt lgkmcnt(0)
	;;#ASMSTART
	v_dot2_f32_f16 v34, v58, v50, v34
	;;#ASMEND
	;;#ASMSTART
	v_dot2_f32_f16 v34, v59, v51, v34
	;;#ASMEND
	;;#ASMSTART
	v_dot2_f32_f16 v34, v60, v52, v34
	;;#ASMEND
	;;#ASMSTART
	v_dot2_f32_f16 v34, v61, v53, v34
	;;#ASMEND
	;;#ASMSTART
	v_dot2_f32_f16 v35, v58, v54, v35
	;;#ASMEND
	;;#ASMSTART
	v_dot2_f32_f16 v35, v59, v55, v35
	;;#ASMEND
	;;#ASMSTART
	v_dot2_f32_f16 v35, v60, v56, v35
	;;#ASMEND
	;;#ASMSTART
	v_dot2_f32_f16 v35, v61, v57, v35
	;;#ASMEND
	ds_load_b128 v[41:44], v121 offset:16496
	ds_load_b128 v[50:53], v122 offset:368
	ds_load_b128 v[54:57], v122 offset:1392
	ds_load_b128 v[58:61], v121 offset:21104
	s_waitcnt lgkmcnt(2)
	;;#ASMSTART
	v_dot2_f32_f16 v32, v41, v50, v32
	;;#ASMEND
	;;#ASMSTART
	v_dot2_f32_f16 v32, v42, v51, v32
	;;#ASMEND
	;;#ASMSTART
	v_dot2_f32_f16 v32, v43, v52, v32
	;;#ASMEND
	;;#ASMSTART
	v_dot2_f32_f16 v32, v44, v53, v32
	;;#ASMEND
	s_waitcnt lgkmcnt(1)
	;;#ASMSTART
	v_dot2_f32_f16 v33, v41, v54, v33
	;;#ASMEND
	;;#ASMSTART
	v_dot2_f32_f16 v33, v42, v55, v33
	;;#ASMEND
	;;#ASMSTART
	v_dot2_f32_f16 v33, v43, v56, v33
	;;#ASMEND
	;;#ASMSTART
	v_dot2_f32_f16 v33, v44, v57, v33
	;;#ASMEND
	s_waitcnt lgkmcnt(0)
	;;#ASMSTART
	v_dot2_f32_f16 v34, v58, v50, v34
	;;#ASMEND
	;;#ASMSTART
	v_dot2_f32_f16 v34, v59, v51, v34
	;;#ASMEND
	;;#ASMSTART
	v_dot2_f32_f16 v34, v60, v52, v34
	;;#ASMEND
	;;#ASMSTART
	v_dot2_f32_f16 v34, v61, v53, v34
	;;#ASMEND
	;;#ASMSTART
	v_dot2_f32_f16 v35, v58, v54, v35
	;;#ASMEND
	;;#ASMSTART
	v_dot2_f32_f16 v35, v59, v55, v35
	;;#ASMEND
	;;#ASMSTART
	v_dot2_f32_f16 v35, v60, v56, v35
	;;#ASMEND
	;;#ASMSTART
	v_dot2_f32_f16 v35, v61, v57, v35
	;;#ASMEND
	s_barrier
	buffer_gl0_inv
	s_clause 0x1
	global_load_b128 v[41:44], v[12:13], off offset:384
	global_load_b128 v[50:53], v[10:11], off offset:384
	s_waitcnt vmcnt(1)
	ds_store_b128 v119, v[41:44]
	s_waitcnt vmcnt(0)
	ds_store_b128 v120, v[50:53]
	s_waitcnt lgkmcnt(0)
	s_barrier
	buffer_gl0_inv
	ds_load_b128 v[41:44], v121 offset:16384
	ds_load_b128 v[50:53], v122 offset:384
	ds_load_b128 v[54:57], v122 offset:1408
	ds_load_b128 v[58:61], v121 offset:20992
	s_waitcnt lgkmcnt(2)
	;;#ASMSTART
	v_dot2_f32_f16 v32, v41, v50, v32
	;;#ASMEND
	;;#ASMSTART
	v_dot2_f32_f16 v32, v42, v51, v32
	;;#ASMEND
	;;#ASMSTART
	v_dot2_f32_f16 v32, v43, v52, v32
	;;#ASMEND
	;;#ASMSTART
	v_dot2_f32_f16 v32, v44, v53, v32
	;;#ASMEND
	s_waitcnt lgkmcnt(1)
	;;#ASMSTART
	v_dot2_f32_f16 v33, v41, v54, v33
	;;#ASMEND
	;;#ASMSTART
	v_dot2_f32_f16 v33, v42, v55, v33
	;;#ASMEND
	;;#ASMSTART
	v_dot2_f32_f16 v33, v43, v56, v33
	;;#ASMEND
	;;#ASMSTART
	v_dot2_f32_f16 v33, v44, v57, v33
	;;#ASMEND
	s_waitcnt lgkmcnt(0)
	;;#ASMSTART
	v_dot2_f32_f16 v34, v58, v50, v34
	;;#ASMEND
	;;#ASMSTART
	v_dot2_f32_f16 v34, v59, v51, v34
	;;#ASMEND
	;;#ASMSTART
	v_dot2_f32_f16 v34, v60, v52, v34
	;;#ASMEND
	;;#ASMSTART
	v_dot2_f32_f16 v34, v61, v53, v34
	;;#ASMEND
	;;#ASMSTART
	v_dot2_f32_f16 v35, v58, v54, v35
	;;#ASMEND
	;;#ASMSTART
	v_dot2_f32_f16 v35, v59, v55, v35
	;;#ASMEND
	;;#ASMSTART
	v_dot2_f32_f16 v35, v60, v56, v35
	;;#ASMEND
	;;#ASMSTART
	v_dot2_f32_f16 v35, v61, v57, v35
	;;#ASMEND
	ds_load_b128 v[41:44], v121 offset:16400
	ds_load_b128 v[50:53], v122 offset:400
	ds_load_b128 v[54:57], v122 offset:1424
	ds_load_b128 v[58:61], v121 offset:21008
	s_waitcnt lgkmcnt(2)
	;;#ASMSTART
	v_dot2_f32_f16 v32, v41, v50, v32
	;;#ASMEND
	;;#ASMSTART
	v_dot2_f32_f16 v32, v42, v51, v32
	;;#ASMEND
	;;#ASMSTART
	v_dot2_f32_f16 v32, v43, v52, v32
	;;#ASMEND
	;;#ASMSTART
	v_dot2_f32_f16 v32, v44, v53, v32
	;;#ASMEND
	s_waitcnt lgkmcnt(1)
	;;#ASMSTART
	v_dot2_f32_f16 v33, v41, v54, v33
	;;#ASMEND
	;;#ASMSTART
	v_dot2_f32_f16 v33, v42, v55, v33
	;;#ASMEND
	;;#ASMSTART
	v_dot2_f32_f16 v33, v43, v56, v33
	;;#ASMEND
	;;#ASMSTART
	v_dot2_f32_f16 v33, v44, v57, v33
	;;#ASMEND
	s_waitcnt lgkmcnt(0)
	;;#ASMSTART
	v_dot2_f32_f16 v34, v58, v50, v34
	;;#ASMEND
	;;#ASMSTART
	v_dot2_f32_f16 v34, v59, v51, v34
	;;#ASMEND
	;;#ASMSTART
	v_dot2_f32_f16 v34, v60, v52, v34
	;;#ASMEND
	;;#ASMSTART
	v_dot2_f32_f16 v34, v61, v53, v34
	;;#ASMEND
	;;#ASMSTART
	v_dot2_f32_f16 v35, v58, v54, v35
	;;#ASMEND
	;;#ASMSTART
	v_dot2_f32_f16 v35, v59, v55, v35
	;;#ASMEND
	;;#ASMSTART
	v_dot2_f32_f16 v35, v60, v56, v35
	;;#ASMEND
	;;#ASMSTART
	v_dot2_f32_f16 v35, v61, v57, v35
	;;#ASMEND
	;; [unrolled: 55-line block ×8, first 2 shown]
	s_barrier
	buffer_gl0_inv
	s_clause 0x1
	global_load_b128 v[41:44], v[12:13], off offset:512
	global_load_b128 v[50:53], v[10:11], off offset:512
	s_waitcnt vmcnt(1)
	ds_store_b128 v119, v[41:44]
	s_waitcnt vmcnt(0)
	ds_store_b128 v120, v[50:53]
	s_waitcnt lgkmcnt(0)
	s_barrier
	buffer_gl0_inv
	ds_load_b128 v[41:44], v121 offset:16384
	ds_load_b128 v[50:53], v122 offset:512
	ds_load_b128 v[54:57], v122 offset:1536
	ds_load_b128 v[58:61], v121 offset:20992
	s_waitcnt lgkmcnt(2)
	;;#ASMSTART
	v_dot2_f32_f16 v32, v41, v50, v32
	;;#ASMEND
	;;#ASMSTART
	v_dot2_f32_f16 v32, v42, v51, v32
	;;#ASMEND
	;;#ASMSTART
	v_dot2_f32_f16 v32, v43, v52, v32
	;;#ASMEND
	;;#ASMSTART
	v_dot2_f32_f16 v32, v44, v53, v32
	;;#ASMEND
	s_waitcnt lgkmcnt(1)
	;;#ASMSTART
	v_dot2_f32_f16 v33, v41, v54, v33
	;;#ASMEND
	;;#ASMSTART
	v_dot2_f32_f16 v33, v42, v55, v33
	;;#ASMEND
	;;#ASMSTART
	v_dot2_f32_f16 v33, v43, v56, v33
	;;#ASMEND
	;;#ASMSTART
	v_dot2_f32_f16 v33, v44, v57, v33
	;;#ASMEND
	s_waitcnt lgkmcnt(0)
	;;#ASMSTART
	v_dot2_f32_f16 v34, v58, v50, v34
	;;#ASMEND
	;;#ASMSTART
	v_dot2_f32_f16 v34, v59, v51, v34
	;;#ASMEND
	;;#ASMSTART
	v_dot2_f32_f16 v34, v60, v52, v34
	;;#ASMEND
	;;#ASMSTART
	v_dot2_f32_f16 v34, v61, v53, v34
	;;#ASMEND
	;;#ASMSTART
	v_dot2_f32_f16 v35, v58, v54, v35
	;;#ASMEND
	;;#ASMSTART
	v_dot2_f32_f16 v35, v59, v55, v35
	;;#ASMEND
	;;#ASMSTART
	v_dot2_f32_f16 v35, v60, v56, v35
	;;#ASMEND
	;;#ASMSTART
	v_dot2_f32_f16 v35, v61, v57, v35
	;;#ASMEND
	ds_load_b128 v[41:44], v121 offset:16400
	ds_load_b128 v[50:53], v122 offset:528
	ds_load_b128 v[54:57], v122 offset:1552
	ds_load_b128 v[58:61], v121 offset:21008
	s_waitcnt lgkmcnt(2)
	;;#ASMSTART
	v_dot2_f32_f16 v32, v41, v50, v32
	;;#ASMEND
	;;#ASMSTART
	v_dot2_f32_f16 v32, v42, v51, v32
	;;#ASMEND
	;;#ASMSTART
	v_dot2_f32_f16 v32, v43, v52, v32
	;;#ASMEND
	;;#ASMSTART
	v_dot2_f32_f16 v32, v44, v53, v32
	;;#ASMEND
	s_waitcnt lgkmcnt(1)
	;;#ASMSTART
	v_dot2_f32_f16 v33, v41, v54, v33
	;;#ASMEND
	;;#ASMSTART
	v_dot2_f32_f16 v33, v42, v55, v33
	;;#ASMEND
	;;#ASMSTART
	v_dot2_f32_f16 v33, v43, v56, v33
	;;#ASMEND
	;;#ASMSTART
	v_dot2_f32_f16 v33, v44, v57, v33
	;;#ASMEND
	s_waitcnt lgkmcnt(0)
	;;#ASMSTART
	v_dot2_f32_f16 v34, v58, v50, v34
	;;#ASMEND
	;;#ASMSTART
	v_dot2_f32_f16 v34, v59, v51, v34
	;;#ASMEND
	;;#ASMSTART
	v_dot2_f32_f16 v34, v60, v52, v34
	;;#ASMEND
	;;#ASMSTART
	v_dot2_f32_f16 v34, v61, v53, v34
	;;#ASMEND
	;;#ASMSTART
	v_dot2_f32_f16 v35, v58, v54, v35
	;;#ASMEND
	;;#ASMSTART
	v_dot2_f32_f16 v35, v59, v55, v35
	;;#ASMEND
	;;#ASMSTART
	v_dot2_f32_f16 v35, v60, v56, v35
	;;#ASMEND
	;;#ASMSTART
	v_dot2_f32_f16 v35, v61, v57, v35
	;;#ASMEND
	;; [unrolled: 55-line block ×8, first 2 shown]
	s_barrier
	buffer_gl0_inv
	s_clause 0x1
	global_load_b128 v[41:44], v[12:13], off offset:640
	global_load_b128 v[50:53], v[10:11], off offset:640
	s_waitcnt vmcnt(1)
	ds_store_b128 v119, v[41:44]
	s_waitcnt vmcnt(0)
	ds_store_b128 v120, v[50:53]
	s_waitcnt lgkmcnt(0)
	s_barrier
	buffer_gl0_inv
	ds_load_b128 v[41:44], v121 offset:16384
	ds_load_b128 v[50:53], v122 offset:640
	ds_load_b128 v[54:57], v122 offset:1664
	ds_load_b128 v[58:61], v121 offset:20992
	s_waitcnt lgkmcnt(2)
	;;#ASMSTART
	v_dot2_f32_f16 v32, v41, v50, v32
	;;#ASMEND
	;;#ASMSTART
	v_dot2_f32_f16 v32, v42, v51, v32
	;;#ASMEND
	;;#ASMSTART
	v_dot2_f32_f16 v32, v43, v52, v32
	;;#ASMEND
	;;#ASMSTART
	v_dot2_f32_f16 v32, v44, v53, v32
	;;#ASMEND
	s_waitcnt lgkmcnt(1)
	;;#ASMSTART
	v_dot2_f32_f16 v33, v41, v54, v33
	;;#ASMEND
	;;#ASMSTART
	v_dot2_f32_f16 v33, v42, v55, v33
	;;#ASMEND
	;;#ASMSTART
	v_dot2_f32_f16 v33, v43, v56, v33
	;;#ASMEND
	;;#ASMSTART
	v_dot2_f32_f16 v33, v44, v57, v33
	;;#ASMEND
	s_waitcnt lgkmcnt(0)
	;;#ASMSTART
	v_dot2_f32_f16 v34, v58, v50, v34
	;;#ASMEND
	;;#ASMSTART
	v_dot2_f32_f16 v34, v59, v51, v34
	;;#ASMEND
	;;#ASMSTART
	v_dot2_f32_f16 v34, v60, v52, v34
	;;#ASMEND
	;;#ASMSTART
	v_dot2_f32_f16 v34, v61, v53, v34
	;;#ASMEND
	;;#ASMSTART
	v_dot2_f32_f16 v35, v58, v54, v35
	;;#ASMEND
	;;#ASMSTART
	v_dot2_f32_f16 v35, v59, v55, v35
	;;#ASMEND
	;;#ASMSTART
	v_dot2_f32_f16 v35, v60, v56, v35
	;;#ASMEND
	;;#ASMSTART
	v_dot2_f32_f16 v35, v61, v57, v35
	;;#ASMEND
	ds_load_b128 v[41:44], v121 offset:16400
	ds_load_b128 v[50:53], v122 offset:656
	ds_load_b128 v[54:57], v122 offset:1680
	ds_load_b128 v[58:61], v121 offset:21008
	s_waitcnt lgkmcnt(2)
	;;#ASMSTART
	v_dot2_f32_f16 v32, v41, v50, v32
	;;#ASMEND
	;;#ASMSTART
	v_dot2_f32_f16 v32, v42, v51, v32
	;;#ASMEND
	;;#ASMSTART
	v_dot2_f32_f16 v32, v43, v52, v32
	;;#ASMEND
	;;#ASMSTART
	v_dot2_f32_f16 v32, v44, v53, v32
	;;#ASMEND
	s_waitcnt lgkmcnt(1)
	;;#ASMSTART
	v_dot2_f32_f16 v33, v41, v54, v33
	;;#ASMEND
	;;#ASMSTART
	v_dot2_f32_f16 v33, v42, v55, v33
	;;#ASMEND
	;;#ASMSTART
	v_dot2_f32_f16 v33, v43, v56, v33
	;;#ASMEND
	;;#ASMSTART
	v_dot2_f32_f16 v33, v44, v57, v33
	;;#ASMEND
	s_waitcnt lgkmcnt(0)
	;;#ASMSTART
	v_dot2_f32_f16 v34, v58, v50, v34
	;;#ASMEND
	;;#ASMSTART
	v_dot2_f32_f16 v34, v59, v51, v34
	;;#ASMEND
	;;#ASMSTART
	v_dot2_f32_f16 v34, v60, v52, v34
	;;#ASMEND
	;;#ASMSTART
	v_dot2_f32_f16 v34, v61, v53, v34
	;;#ASMEND
	;;#ASMSTART
	v_dot2_f32_f16 v35, v58, v54, v35
	;;#ASMEND
	;;#ASMSTART
	v_dot2_f32_f16 v35, v59, v55, v35
	;;#ASMEND
	;;#ASMSTART
	v_dot2_f32_f16 v35, v60, v56, v35
	;;#ASMEND
	;;#ASMSTART
	v_dot2_f32_f16 v35, v61, v57, v35
	;;#ASMEND
	;; [unrolled: 55-line block ×8, first 2 shown]
	s_barrier
	buffer_gl0_inv
	s_clause 0x1
	global_load_b128 v[41:44], v[12:13], off offset:768
	global_load_b128 v[50:53], v[10:11], off offset:768
	s_waitcnt vmcnt(1)
	ds_store_b128 v119, v[41:44]
	s_waitcnt vmcnt(0)
	ds_store_b128 v120, v[50:53]
	s_waitcnt lgkmcnt(0)
	s_barrier
	buffer_gl0_inv
	ds_load_b128 v[41:44], v121 offset:16384
	ds_load_b128 v[50:53], v122 offset:768
	ds_load_b128 v[54:57], v122 offset:1792
	ds_load_b128 v[58:61], v121 offset:20992
	s_waitcnt lgkmcnt(2)
	;;#ASMSTART
	v_dot2_f32_f16 v32, v41, v50, v32
	;;#ASMEND
	;;#ASMSTART
	v_dot2_f32_f16 v32, v42, v51, v32
	;;#ASMEND
	;;#ASMSTART
	v_dot2_f32_f16 v32, v43, v52, v32
	;;#ASMEND
	;;#ASMSTART
	v_dot2_f32_f16 v32, v44, v53, v32
	;;#ASMEND
	s_waitcnt lgkmcnt(1)
	;;#ASMSTART
	v_dot2_f32_f16 v33, v41, v54, v33
	;;#ASMEND
	;;#ASMSTART
	v_dot2_f32_f16 v33, v42, v55, v33
	;;#ASMEND
	;;#ASMSTART
	v_dot2_f32_f16 v33, v43, v56, v33
	;;#ASMEND
	;;#ASMSTART
	v_dot2_f32_f16 v33, v44, v57, v33
	;;#ASMEND
	s_waitcnt lgkmcnt(0)
	;;#ASMSTART
	v_dot2_f32_f16 v34, v58, v50, v34
	;;#ASMEND
	;;#ASMSTART
	v_dot2_f32_f16 v34, v59, v51, v34
	;;#ASMEND
	;;#ASMSTART
	v_dot2_f32_f16 v34, v60, v52, v34
	;;#ASMEND
	;;#ASMSTART
	v_dot2_f32_f16 v34, v61, v53, v34
	;;#ASMEND
	;;#ASMSTART
	v_dot2_f32_f16 v35, v58, v54, v35
	;;#ASMEND
	;;#ASMSTART
	v_dot2_f32_f16 v35, v59, v55, v35
	;;#ASMEND
	;;#ASMSTART
	v_dot2_f32_f16 v35, v60, v56, v35
	;;#ASMEND
	;;#ASMSTART
	v_dot2_f32_f16 v35, v61, v57, v35
	;;#ASMEND
	ds_load_b128 v[41:44], v121 offset:16400
	ds_load_b128 v[50:53], v122 offset:784
	ds_load_b128 v[54:57], v122 offset:1808
	ds_load_b128 v[58:61], v121 offset:21008
	s_waitcnt lgkmcnt(2)
	;;#ASMSTART
	v_dot2_f32_f16 v32, v41, v50, v32
	;;#ASMEND
	;;#ASMSTART
	v_dot2_f32_f16 v32, v42, v51, v32
	;;#ASMEND
	;;#ASMSTART
	v_dot2_f32_f16 v32, v43, v52, v32
	;;#ASMEND
	;;#ASMSTART
	v_dot2_f32_f16 v32, v44, v53, v32
	;;#ASMEND
	s_waitcnt lgkmcnt(1)
	;;#ASMSTART
	v_dot2_f32_f16 v33, v41, v54, v33
	;;#ASMEND
	;;#ASMSTART
	v_dot2_f32_f16 v33, v42, v55, v33
	;;#ASMEND
	;;#ASMSTART
	v_dot2_f32_f16 v33, v43, v56, v33
	;;#ASMEND
	;;#ASMSTART
	v_dot2_f32_f16 v33, v44, v57, v33
	;;#ASMEND
	s_waitcnt lgkmcnt(0)
	;;#ASMSTART
	v_dot2_f32_f16 v34, v58, v50, v34
	;;#ASMEND
	;;#ASMSTART
	v_dot2_f32_f16 v34, v59, v51, v34
	;;#ASMEND
	;;#ASMSTART
	v_dot2_f32_f16 v34, v60, v52, v34
	;;#ASMEND
	;;#ASMSTART
	v_dot2_f32_f16 v34, v61, v53, v34
	;;#ASMEND
	;;#ASMSTART
	v_dot2_f32_f16 v35, v58, v54, v35
	;;#ASMEND
	;;#ASMSTART
	v_dot2_f32_f16 v35, v59, v55, v35
	;;#ASMEND
	;;#ASMSTART
	v_dot2_f32_f16 v35, v60, v56, v35
	;;#ASMEND
	;;#ASMSTART
	v_dot2_f32_f16 v35, v61, v57, v35
	;;#ASMEND
	;; [unrolled: 55-line block ×8, first 2 shown]
	s_barrier
	buffer_gl0_inv
	s_clause 0x1
	global_load_b128 v[41:44], v[12:13], off offset:896
	global_load_b128 v[10:13], v[10:11], off offset:896
	s_waitcnt vmcnt(1)
	ds_store_b128 v119, v[41:44]
	s_waitcnt vmcnt(0)
	ds_store_b128 v120, v[10:13]
	s_waitcnt lgkmcnt(0)
	s_barrier
	buffer_gl0_inv
	ds_load_b128 v[10:13], v121 offset:16384
	ds_load_b128 v[41:44], v122 offset:896
	ds_load_b128 v[50:53], v122 offset:1920
	ds_load_b128 v[54:57], v121 offset:20992
	s_waitcnt lgkmcnt(2)
	;;#ASMSTART
	v_dot2_f32_f16 v32, v10, v41, v32
	;;#ASMEND
	;;#ASMSTART
	v_dot2_f32_f16 v32, v11, v42, v32
	;;#ASMEND
	;;#ASMSTART
	v_dot2_f32_f16 v32, v12, v43, v32
	;;#ASMEND
	;;#ASMSTART
	v_dot2_f32_f16 v32, v13, v44, v32
	;;#ASMEND
	s_waitcnt lgkmcnt(1)
	;;#ASMSTART
	v_dot2_f32_f16 v33, v10, v50, v33
	;;#ASMEND
	;;#ASMSTART
	v_dot2_f32_f16 v33, v11, v51, v33
	;;#ASMEND
	;;#ASMSTART
	v_dot2_f32_f16 v33, v12, v52, v33
	;;#ASMEND
	;;#ASMSTART
	v_dot2_f32_f16 v33, v13, v53, v33
	;;#ASMEND
	s_waitcnt lgkmcnt(0)
	;;#ASMSTART
	v_dot2_f32_f16 v34, v54, v41, v34
	;;#ASMEND
	;;#ASMSTART
	v_dot2_f32_f16 v34, v55, v42, v34
	;;#ASMEND
	;;#ASMSTART
	v_dot2_f32_f16 v34, v56, v43, v34
	;;#ASMEND
	;;#ASMSTART
	v_dot2_f32_f16 v34, v57, v44, v34
	;;#ASMEND
	;;#ASMSTART
	v_dot2_f32_f16 v35, v54, v50, v35
	;;#ASMEND
	;;#ASMSTART
	v_dot2_f32_f16 v35, v55, v51, v35
	;;#ASMEND
	;;#ASMSTART
	v_dot2_f32_f16 v35, v56, v52, v35
	;;#ASMEND
	;;#ASMSTART
	v_dot2_f32_f16 v35, v57, v53, v35
	;;#ASMEND
	ds_load_b128 v[10:13], v121 offset:16400
	ds_load_b128 v[41:44], v122 offset:912
	ds_load_b128 v[50:53], v122 offset:1936
	ds_load_b128 v[54:57], v121 offset:21008
	s_waitcnt lgkmcnt(2)
	;;#ASMSTART
	v_dot2_f32_f16 v32, v10, v41, v32
	;;#ASMEND
	;;#ASMSTART
	v_dot2_f32_f16 v32, v11, v42, v32
	;;#ASMEND
	;;#ASMSTART
	v_dot2_f32_f16 v32, v12, v43, v32
	;;#ASMEND
	;;#ASMSTART
	v_dot2_f32_f16 v32, v13, v44, v32
	;;#ASMEND
	s_waitcnt lgkmcnt(1)
	;;#ASMSTART
	v_dot2_f32_f16 v33, v10, v50, v33
	;;#ASMEND
	;;#ASMSTART
	v_dot2_f32_f16 v33, v11, v51, v33
	;;#ASMEND
	;;#ASMSTART
	v_dot2_f32_f16 v33, v12, v52, v33
	;;#ASMEND
	;;#ASMSTART
	v_dot2_f32_f16 v33, v13, v53, v33
	;;#ASMEND
	s_waitcnt lgkmcnt(0)
	;;#ASMSTART
	v_dot2_f32_f16 v34, v54, v41, v34
	;;#ASMEND
	;;#ASMSTART
	v_dot2_f32_f16 v34, v55, v42, v34
	;;#ASMEND
	;;#ASMSTART
	v_dot2_f32_f16 v34, v56, v43, v34
	;;#ASMEND
	;;#ASMSTART
	v_dot2_f32_f16 v34, v57, v44, v34
	;;#ASMEND
	;;#ASMSTART
	v_dot2_f32_f16 v35, v54, v50, v35
	;;#ASMEND
	;;#ASMSTART
	v_dot2_f32_f16 v35, v55, v51, v35
	;;#ASMEND
	;;#ASMSTART
	v_dot2_f32_f16 v35, v56, v52, v35
	;;#ASMEND
	;;#ASMSTART
	v_dot2_f32_f16 v35, v57, v53, v35
	;;#ASMEND
	;; [unrolled: 55-line block ×7, first 2 shown]
	ds_load_b128 v[10:13], v121 offset:16496
	ds_load_b128 v[41:44], v122 offset:1008
	;; [unrolled: 1-line block ×4, first 2 shown]
	s_waitcnt lgkmcnt(2)
	;;#ASMSTART
	v_dot2_f32_f16 v32, v10, v41, v32
	;;#ASMEND
	;;#ASMSTART
	v_dot2_f32_f16 v32, v11, v42, v32
	;;#ASMEND
	;;#ASMSTART
	v_dot2_f32_f16 v32, v12, v43, v32
	;;#ASMEND
	;;#ASMSTART
	v_dot2_f32_f16 v32, v13, v44, v32
	;;#ASMEND
	s_waitcnt lgkmcnt(1)
	;;#ASMSTART
	v_dot2_f32_f16 v33, v10, v50, v33
	;;#ASMEND
	;;#ASMSTART
	v_dot2_f32_f16 v33, v11, v51, v33
	;;#ASMEND
	;;#ASMSTART
	v_dot2_f32_f16 v33, v12, v52, v33
	;;#ASMEND
	;;#ASMSTART
	v_dot2_f32_f16 v33, v13, v53, v33
	;;#ASMEND
	;; [unrolled: 13-line block ×3, first 2 shown]
	v_add_nc_u32_e32 v0, s13, v102
	;;#ASMSTART
	v_dot2_f32_f16 v35, v54, v50, v35
	;;#ASMEND
	;;#ASMSTART
	v_dot2_f32_f16 v35, v55, v51, v35
	;;#ASMEND
	;; [unrolled: 3-line block ×4, first 2 shown]
	v_ashrrev_i32_e32 v1, 31, v0
	v_mov_b32_e32 v183, v118
	s_delay_alu instid0(VALU_DEP_2) | instskip(SKIP_1) | instid1(VALU_DEP_1)
	v_lshlrev_b64 v[8:9], 1, v[0:1]
	v_add_co_u32 v0, s4, v127, s8
	v_add_co_ci_u32_e64 v1, s2, s9, v128, s4
	s_delay_alu instid0(VALU_DEP_3) | instskip(NEXT) | instid1(VALU_DEP_4)
	v_add_co_u32 v8, vcc_lo, s40, v8
	v_add_co_ci_u32_e32 v9, vcc_lo, s41, v9, vcc_lo
	s_clause 0x1
	flat_load_u16 v12, v[8:9]
	flat_load_u16 v13, v[8:9] offset:64
	s_waitcnt vmcnt(0) lgkmcnt(0)
	s_barrier
	buffer_gl0_inv
	s_clause 0x1
	global_load_b128 v[8:11], v[6:7], off
	global_load_b128 v[41:44], v[6:7], off offset:512
	v_cvt_f32_f16_e32 v6, v12
	v_cvt_f32_f16_e32 v7, v13
	v_lshlrev_b32_e32 v40, 2, v2
	v_add_co_u32 v2, s3, v127, s26
	s_delay_alu instid0(VALU_DEP_3) | instskip(SKIP_2) | instid1(VALU_DEP_3)
	v_dual_add_f32 v12, v32, v6 :: v_dual_add_f32 v13, v34, v7
	v_dual_add_f32 v7, v35, v7 :: v_dual_add_f32 v6, v33, v6
	v_add_co_ci_u32_e64 v3, s2, s27, v128, s3
	v_dual_add_f32 v32, 0x40051340, v12 :: v_dual_add_f32 v33, 0x40051340, v13
	s_delay_alu instid0(VALU_DEP_3) | instskip(NEXT) | instid1(VALU_DEP_2)
	v_dual_add_f32 v34, 0x40051340, v6 :: v_dual_add_f32 v35, 0x40051340, v7
	v_max3_f32 v32, v31, v32, v33
	s_delay_alu instid0(VALU_DEP_2) | instskip(SKIP_4) | instid1(VALU_DEP_1)
	v_max3_f32 v33, v30, v34, v35
	ds_bpermute_b32 v34, v40, v32
	ds_bpermute_b32 v35, v40, v33
	s_waitcnt lgkmcnt(0)
	v_max_f32_e32 v35, v35, v35
	v_max_f32_e32 v33, v33, v35
	ds_bpermute_b32 v35, v39, v33
	s_waitcnt lgkmcnt(0)
	v_dual_max_f32 v35, v35, v35 :: v_dual_max_f32 v34, v34, v34
	s_delay_alu instid0(VALU_DEP_1)
	v_max_f32_e32 v33, v33, v35
	ds_bpermute_b32 v35, v38, v33
	s_waitcnt lgkmcnt(0)
	v_dual_max_f32 v32, v32, v34 :: v_dual_max_f32 v35, v35, v35
	ds_bpermute_b32 v34, v39, v32
	v_max_f32_e32 v33, v33, v35
	ds_bpermute_b32 v35, v37, v33
	s_waitcnt lgkmcnt(1)
	v_max_f32_e32 v34, v34, v34
	s_waitcnt lgkmcnt(0)
	s_delay_alu instid0(VALU_DEP_1)
	v_dual_max_f32 v32, v32, v34 :: v_dual_max_f32 v35, v35, v35
	ds_bpermute_b32 v34, v38, v32
	v_max_f32_e32 v33, v33, v35
	ds_bpermute_b32 v35, v36, v33
	s_waitcnt lgkmcnt(1)
	v_max_f32_e32 v34, v34, v34
	s_waitcnt lgkmcnt(0)
	s_delay_alu instid0(VALU_DEP_1) | instskip(SKIP_2) | instid1(VALU_DEP_1)
	v_dual_max_f32 v32, v32, v34 :: v_dual_max_f32 v35, v35, v35
	ds_bpermute_b32 v34, v37, v32
	v_max_f32_e32 v108, v33, v35
	v_sub_f32_e32 v6, v6, v108
	v_sub_f32_e32 v7, v7, v108
	s_delay_alu instid0(VALU_DEP_2) | instskip(SKIP_1) | instid1(VALU_DEP_3)
	v_mul_f32_e32 v33, 0x3fb8aa3b, v6
	v_cmp_ngt_f32_e32 vcc_lo, 0xc2ce8ed0, v6
	v_cmp_ngt_f32_e64 s4, 0xc2ce8ed0, v7
	v_cmp_nlt_f32_e64 s7, 0x42b17218, v6
	v_cmp_nlt_f32_e64 s10, 0x42b17218, v7
	v_fma_f32 v40, 0x3fb8aa3b, v6, -v33
	s_waitcnt lgkmcnt(0)
	v_max_f32_e32 v34, v34, v34
	v_rndne_f32_e32 v45, v33
	s_delay_alu instid0(VALU_DEP_2) | instskip(SKIP_3) | instid1(VALU_DEP_1)
	v_max_f32_e32 v32, v32, v34
	ds_bpermute_b32 v34, v36, v32
	s_waitcnt lgkmcnt(0)
	v_max_f32_e32 v34, v34, v34
	v_max_f32_e32 v107, v32, v34
	s_delay_alu instid0(VALU_DEP_1) | instskip(SKIP_1) | instid1(VALU_DEP_2)
	v_dual_sub_f32 v31, v31, v107 :: v_dual_sub_f32 v30, v30, v108
	v_sub_f32_e32 v13, v13, v107
	v_mul_f32_e32 v35, 0x3fb8aa3b, v31
	s_delay_alu instid0(VALU_DEP_3) | instskip(SKIP_2) | instid1(VALU_DEP_4)
	v_dual_sub_f32 v12, v12, v107 :: v_dual_mul_f32 v37, 0x3fb8aa3b, v30
	v_cmp_ngt_f32_e64 s5, 0xc2ce8ed0, v30
	v_cmp_nlt_f32_e64 s11, 0x42b17218, v30
	v_fma_f32 v50, 0x3fb8aa3b, v31, -v35
	v_rndne_f32_e32 v51, v35
	v_fma_f32 v54, 0x3fb8aa3b, v30, -v37
	v_rndne_f32_e32 v55, v37
	v_mul_f32_e32 v32, 0x3fb8aa3b, v13
	v_cmp_ngt_f32_e64 s3, 0xc2ce8ed0, v31
	v_cmp_nlt_f32_e64 s9, 0x42b17218, v31
	v_fmac_f32_e32 v54, 0x32a5705f, v30
	v_sub_f32_e32 v30, v37, v55
	v_fmac_f32_e32 v50, 0x32a5705f, v31
	v_sub_f32_e32 v31, v35, v51
	v_fma_f32 v38, 0x3fb8aa3b, v13, -v32
	v_rndne_f32_e32 v39, v32
	v_add_f32_e32 v30, v30, v54
	v_cvt_i32_f32_e32 v37, v55
	v_mul_f32_e32 v34, 0x3fb8aa3b, v12
	v_cmp_ngt_f32_e64 s6, 0xc2ce8ed0, v13
	v_cmp_nlt_f32_e64 s12, 0x42b17218, v13
	v_exp_f32_e32 v30, v30
	v_dual_fmac_f32 v38, 0x32a5705f, v13 :: v_dual_add_f32 v31, v31, v50
	v_sub_f32_e32 v13, v32, v39
	v_mul_f32_e32 v36, 0x3fb8aa3b, v7
	v_fma_f32 v46, 0x3fb8aa3b, v12, -v34
	v_rndne_f32_e32 v47, v34
	v_cmp_ngt_f32_e64 s2, 0xc2ce8ed0, v12
	v_add_f32_e32 v13, v13, v38
	v_fma_f32 v52, 0x3fb8aa3b, v7, -v36
	s_delay_alu instid0(TRANS32_DEP_1)
	v_ldexp_f32 v30, v30, v37
	v_rndne_f32_e32 v53, v36
	v_cmp_nlt_f32_e64 s8, 0x42b17218, v12
	v_fmac_f32_e32 v40, 0x32a5705f, v6
	v_fmac_f32_e32 v46, 0x32a5705f, v12
	v_cndmask_b32_e64 v30, 0, v30, s5
	v_sub_f32_e32 v12, v34, v47
	v_exp_f32_e32 v13, v13
	v_cvt_i32_f32_e32 v32, v39
	v_cvt_i32_f32_e32 v34, v47
	v_cndmask_b32_e64 v134, 0x7f800000, v30, s11
	v_dual_fmac_f32 v52, 0x32a5705f, v7 :: v_dual_sub_f32 v7, v36, v53
	v_sub_f32_e32 v6, v33, v45
	v_add_f32_e32 v12, v12, v46
	v_cvt_i32_f32_e32 v33, v45
	v_cvt_i32_f32_e32 v36, v53
	v_add_f32_e32 v7, v7, v52
	v_add_f32_e32 v6, v6, v40
	v_exp_f32_e32 v12, v12
	v_exp_f32_e32 v31, v31
	v_cvt_i32_f32_e32 v35, v51
	v_exp_f32_e32 v7, v7
	v_exp_f32_e32 v6, v6
	v_ldexp_f32 v13, v13, v32
	v_cvt_f16_f32_e64 v94, v134
	v_ldexp_f32 v12, v12, v34
	s_delay_alu instid0(TRANS32_DEP_3) | instskip(NEXT) | instid1(VALU_DEP_4)
	v_ldexp_f32 v31, v31, v35
	v_cndmask_b32_e64 v13, 0, v13, s6
	s_delay_alu instid0(TRANS32_DEP_2) | instskip(NEXT) | instid1(TRANS32_DEP_1)
	v_ldexp_f32 v7, v7, v36
	v_ldexp_f32 v6, v6, v33
	v_cndmask_b32_e64 v12, 0, v12, s2
	v_cndmask_b32_e64 v31, 0, v31, s3
	;; [unrolled: 1-line block ×4, first 2 shown]
	v_cndmask_b32_e32 v6, 0, v6, vcc_lo
	v_cndmask_b32_e64 v139, 0x7f800000, v12, s8
	v_cndmask_b32_e64 v135, 0x7f800000, v31, s9
	v_pk_mul_f16 v99, v94, v21 op_sel_hi:[0,1]
	v_cndmask_b32_e64 v137, 0x7f800000, v7, s10
	v_cndmask_b32_e64 v136, 0x7f800000, v6, s7
	v_cvt_f16_f32_e64 v6, v138
	v_cvt_f16_f32_e64 v12, v139
	;; [unrolled: 1-line block ×5, first 2 shown]
	v_pk_mul_f16 v140, v94, v19 op_sel_hi:[0,1]
	v_pk_mul_f16 v141, v94, v20 op_sel_hi:[0,1]
	;; [unrolled: 1-line block ×3, first 2 shown]
	v_pack_b32_f16 v6, v6, v13
	v_pack_b32_f16 v7, v12, v7
	v_pk_mul_f16 v96, v47, v29 op_sel_hi:[0,1]
	v_pk_mul_f16 v97, v47, v27 op_sel_hi:[0,1]
	;; [unrolled: 1-line block ×7, first 2 shown]
	ds_store_2addr_b32 v130, v7, v6 offset1:32
	s_waitcnt vmcnt(1)
	ds_store_b128 v124, v[8:11]
	s_waitcnt vmcnt(0)
	ds_store_b128 v125, v[41:44]
	s_waitcnt lgkmcnt(0)
	s_barrier
	buffer_gl0_inv
	ds_load_2addr_b64 v[6:9], v126 offset1:32
	ds_load_2addr_b64 v[10:13], v126 offset0:64 offset1:96
	ds_load_b128 v[14:17], v123
	ds_load_b128 v[19:22], v123 offset:16
	ds_load_2addr_b64 v[27:30], v126 offset0:128 offset1:160
	ds_load_2addr_b64 v[31:34], v126 offset0:192 offset1:224
	ds_load_2addr_b64 v[35:38], v131 offset1:32
	ds_load_2addr_b64 v[39:42], v131 offset0:64 offset1:96
	ds_load_2addr_b64 v[43:46], v131 offset0:128 offset1:160
	ds_load_2addr_b64 v[50:53], v131 offset0:192 offset1:224
	ds_load_2addr_b64 v[54:57], v132 offset1:32
	ds_load_2addr_b64 v[58:61], v132 offset0:64 offset1:96
	;; [unrolled: 4-line block ×3, first 2 shown]
	ds_load_2addr_b64 v[78:81], v133 offset0:128 offset1:160
	ds_load_2addr_b64 v[82:85], v133 offset0:192 offset1:224
	s_waitcnt lgkmcnt(0)
	s_barrier
	buffer_gl0_inv
	s_clause 0x1
	global_load_b128 v[86:89], v[4:5], off
	global_load_b128 v[90:93], v[4:5], off offset:512
	v_pk_mul_f16 v25, v47, v25 op_sel_hi:[0,1]
	v_pk_mul_f16 v23, v47, v23 op_sel_hi:[0,1]
	v_pk_mul_f16 v4, v6, v14 op_sel_hi:[1,0]
	v_pk_mul_f16 v5, v6, v14 op_sel:[0,1]
	v_pk_mul_f16 v6, v7, v14 op_sel_hi:[1,0]
	v_pk_fma_f16 v7, v7, v14, v99 op_sel:[0,1,0]
	v_pk_fma_f16 v95, v8, v14, v95 op_sel_hi:[1,0,1]
	v_pk_fma_f16 v8, v8, v14, v140 op_sel:[0,1,0]
	v_pk_fma_f16 v96, v9, v14, v96 op_sel_hi:[1,0,1]
	;; [unrolled: 2-line block ×7, first 2 shown]
	v_pk_fma_f16 v5, v94, v18, v5 op_sel_hi:[0,1,1]
	v_pk_fma_f16 v6, v47, v26, v6 op_sel_hi:[0,1,1]
	v_pk_fma_f16 v7, v28, v15, v7 op_sel:[0,1,0]
	v_pk_fma_f16 v14, v29, v15, v95 op_sel_hi:[1,0,1]
	v_pk_fma_f16 v8, v29, v15, v8 op_sel:[0,1,0]
	;; [unrolled: 2-line block ×48, first 2 shown]
	v_pk_fma_f16 v21, v71, v21, v6 op_sel_hi:[1,0,1]
	s_waitcnt vmcnt(1)
	ds_store_b128 v124, v[86:89]
	s_waitcnt vmcnt(0)
	ds_store_b128 v125, v[90:93]
	s_waitcnt lgkmcnt(0)
	s_barrier
	buffer_gl0_inv
	ds_load_2addr_b64 v[4:7], v126 offset1:32
	ds_load_2addr_b64 v[8:11], v126 offset0:64 offset1:96
	ds_load_b128 v[12:15], v123 offset:32
	ds_load_b128 v[16:19], v123 offset:48
	ds_load_2addr_b64 v[23:26], v126 offset0:128 offset1:160
	ds_load_2addr_b64 v[27:30], v126 offset0:192 offset1:224
	ds_load_2addr_b64 v[31:34], v131 offset1:32
	ds_load_2addr_b64 v[35:38], v131 offset0:64 offset1:96
	ds_load_2addr_b64 v[39:42], v131 offset0:128 offset1:160
	ds_load_2addr_b64 v[43:46], v131 offset0:192 offset1:224
	ds_load_2addr_b64 v[50:53], v132 offset1:32
	ds_load_2addr_b64 v[54:57], v132 offset0:64 offset1:96
	;; [unrolled: 4-line block ×3, first 2 shown]
	ds_load_2addr_b64 v[74:77], v133 offset0:128 offset1:160
	ds_load_2addr_b64 v[86:89], v133 offset0:192 offset1:224
	s_waitcnt lgkmcnt(0)
	s_barrier
	buffer_gl0_inv
	s_clause 0x1
	global_load_b128 v[90:93], v[2:3], off
	global_load_b128 v[94:97], v[2:3], off offset:512
	v_pk_fma_f16 v2, v79, v22, v20 op_sel:[0,1,0]
	v_pk_fma_f16 v3, v80, v22, v47 op_sel_hi:[1,0,1]
	v_pk_fma_f16 v20, v80, v22, v98 op_sel:[0,1,0]
	v_pk_fma_f16 v47, v81, v22, v99 op_sel_hi:[1,0,1]
	v_pk_fma_f16 v80, v81, v22, v140 op_sel:[0,1,0]
	v_pk_fma_f16 v81, v82, v22, v141 op_sel_hi:[1,0,1]
	v_pk_fma_f16 v141, v78, v22, v149 op_sel_hi:[1,0,1]
	v_pk_fma_f16 v78, v78, v22, v150 op_sel:[0,1,0]
	v_pk_fma_f16 v82, v82, v22, v142 op_sel:[0,1,0]
	v_pk_fma_f16 v98, v83, v22, v143 op_sel_hi:[1,0,1]
	v_pk_fma_f16 v83, v83, v22, v144 op_sel:[0,1,0]
	v_pk_fma_f16 v99, v84, v22, v145 op_sel_hi:[1,0,1]
	;; [unrolled: 2-line block ×4, first 2 shown]
	v_pk_fma_f16 v22, v4, v12, v141 op_sel_hi:[1,0,1]
	v_pk_fma_f16 v4, v4, v12, v78 op_sel:[0,1,0]
	v_pk_fma_f16 v2, v5, v12, v2 op_sel:[0,1,0]
	v_pk_fma_f16 v3, v6, v12, v3 op_sel_hi:[1,0,1]
	v_pk_fma_f16 v21, v5, v12, v21 op_sel_hi:[1,0,1]
	v_pk_fma_f16 v5, v6, v12, v20 op_sel:[0,1,0]
	v_pk_fma_f16 v6, v7, v12, v47 op_sel_hi:[1,0,1]
	v_pk_fma_f16 v7, v7, v12, v80 op_sel:[0,1,0]
	;; [unrolled: 2-line block ×31, first 2 shown]
	s_waitcnt vmcnt(1)
	ds_store_b128 v124, v[90:93]
	s_waitcnt vmcnt(0)
	ds_store_b128 v125, v[94:97]
	s_waitcnt lgkmcnt(0)
	s_barrier
	buffer_gl0_inv
	ds_load_2addr_b64 v[2:5], v126 offset1:32
	ds_load_2addr_b64 v[6:9], v126 offset0:64 offset1:96
	ds_load_b128 v[78:81], v123 offset:64
	ds_load_b128 v[82:85], v123 offset:80
	ds_load_2addr_b64 v[10:13], v126 offset0:128 offset1:160
	ds_load_2addr_b64 v[20:23], v126 offset0:192 offset1:224
	ds_load_2addr_b64 v[24:27], v131 offset1:32
	ds_load_2addr_b64 v[28:31], v131 offset0:64 offset1:96
	ds_load_2addr_b64 v[90:93], v131 offset0:128 offset1:160
	ds_load_2addr_b64 v[94:97], v131 offset0:192 offset1:224
	ds_load_2addr_b64 v[140:143], v132 offset1:32
	ds_load_2addr_b64 v[144:147], v132 offset0:64 offset1:96
	;; [unrolled: 4-line block ×3, first 2 shown]
	ds_load_2addr_b64 v[164:167], v133 offset0:128 offset1:160
	ds_load_2addr_b64 v[168:171], v133 offset0:192 offset1:224
	s_waitcnt lgkmcnt(0)
	s_barrier
	buffer_gl0_inv
	s_clause 0x1
	global_load_b128 v[32:35], v[0:1], off
	global_load_b128 v[36:39], v[0:1], off offset:512
	v_pk_fma_f16 v0, v51, v16, v14 op_sel_hi:[1,0,1]
	v_pk_fma_f16 v1, v51, v16, v40 op_sel:[0,1,0]
	v_pk_fma_f16 v14, v52, v16, v47 op_sel_hi:[1,0,1]
	v_pk_fma_f16 v40, v52, v16, v41 op_sel:[0,1,0]
	;; [unrolled: 2-line block ×55, first 2 shown]
	s_waitcnt vmcnt(1)
	ds_store_b128 v124, v[32:35]
	s_waitcnt vmcnt(0)
	ds_store_b128 v125, v[36:39]
	s_waitcnt lgkmcnt(0)
	s_barrier
	buffer_gl0_inv
	ds_load_2addr_b64 v[50:53], v126 offset1:32
	ds_load_2addr_b64 v[54:57], v126 offset0:64 offset1:96
	ds_load_b128 v[32:35], v123 offset:96
	ds_load_b128 v[0:3], v123 offset:112
	ds_load_2addr_b64 v[58:61], v126 offset0:128 offset1:160
	ds_load_2addr_b64 v[62:65], v126 offset0:192 offset1:224
	ds_load_2addr_b64 v[66:69], v131 offset1:32
	ds_load_2addr_b64 v[70:73], v131 offset0:64 offset1:96
	ds_load_2addr_b64 v[44:47], v131 offset0:128 offset1:160
	ds_load_2addr_b64 v[40:43], v131 offset0:192 offset1:224
	ds_load_2addr_b64 v[36:39], v132 offset1:32
	ds_load_2addr_b64 v[28:31], v132 offset0:64 offset1:96
	;; [unrolled: 4-line block ×3, first 2 shown]
	ds_load_2addr_b64 v[8:11], v133 offset0:128 offset1:160
	ds_load_2addr_b64 v[4:7], v133 offset0:192 offset1:224
	s_waitcnt lgkmcnt(0)
	s_barrier
	buffer_gl0_inv
	s_clause 0x1
	global_load_b128 v[74:77], v[48:49], off
	global_load_b128 v[86:89], v[48:49], off offset:512
	v_pk_fma_f16 v48, v90, v81, v78 op_sel_hi:[1,0,1]
	v_pk_fma_f16 v49, v90, v81, v79 op_sel:[0,1,0]
	v_pk_fma_f16 v78, v91, v81, v98 op_sel_hi:[1,0,1]
	v_pk_fma_f16 v79, v91, v81, v99 op_sel:[0,1,0]
	;; [unrolled: 2-line block ×40, first 2 shown]
	s_mul_hi_i32 s3, s20, s22
	s_mul_i32 s2, s20, s22
	v_pk_fma_f16 v48, v50, v32, v48 op_sel_hi:[1,0,1]
	v_pk_fma_f16 v49, v50, v32, v49 op_sel:[0,1,0]
	v_pk_fma_f16 v50, v51, v32, v78 op_sel_hi:[1,0,1]
	v_pk_fma_f16 v51, v51, v32, v79 op_sel:[0,1,0]
	;; [unrolled: 2-line block ×8, first 2 shown]
	s_lshl_b64 s[2:3], s[2:3], 2
	v_pk_fma_f16 v48, v58, v33, v48 op_sel_hi:[1,0,1]
	v_add_co_u32 v172, vcc_lo, v127, s2
	v_add_co_ci_u32_e32 v173, vcc_lo, s3, v128, vcc_lo
	v_pk_fma_f16 v49, v58, v33, v49 op_sel:[0,1,0]
	v_pk_fma_f16 v50, v59, v33, v50 op_sel_hi:[1,0,1]
	v_pk_fma_f16 v51, v59, v33, v51 op_sel:[0,1,0]
	v_pk_fma_f16 v57, v60, v33, v78 op_sel_hi:[1,0,1]
	;; [unrolled: 2-line block ×15, first 2 shown]
	v_pk_fma_f16 v34, v73, v34, v63 op_sel:[0,1,0]
	s_waitcnt vmcnt(1)
	ds_store_b128 v124, v[74:77]
	s_waitcnt vmcnt(0)
	ds_store_b128 v125, v[86:89]
	s_waitcnt lgkmcnt(0)
	s_barrier
	buffer_gl0_inv
	ds_load_2addr_b64 v[146:149], v126 offset1:32
	ds_load_2addr_b64 v[150:153], v126 offset0:64 offset1:96
	ds_load_b128 v[80:83], v123 offset:128
	ds_load_b128 v[48:51], v123 offset:144
	ds_load_2addr_b64 v[154:157], v126 offset0:128 offset1:160
	ds_load_2addr_b64 v[158:161], v126 offset0:192 offset1:224
	ds_load_2addr_b64 v[162:165], v131 offset1:32
	ds_load_2addr_b64 v[96:99], v131 offset0:64 offset1:96
	ds_load_2addr_b64 v[92:95], v131 offset0:128 offset1:160
	ds_load_2addr_b64 v[88:91], v131 offset0:192 offset1:224
	ds_load_2addr_b64 v[84:87], v132 offset1:32
	ds_load_2addr_b64 v[76:79], v132 offset0:64 offset1:96
	;; [unrolled: 4-line block ×3, first 2 shown]
	ds_load_2addr_b64 v[56:59], v133 offset0:128 offset1:160
	ds_load_2addr_b64 v[52:55], v133 offset0:192 offset1:224
	s_waitcnt lgkmcnt(0)
	s_barrier
	buffer_gl0_inv
	s_clause 0x1
	global_load_b128 v[166:169], v[172:173], off
	global_load_b128 v[170:173], v[172:173], off offset:512
	v_add_f32_e32 v118, v139, v138
	v_add_f32_e32 v184, v136, v137
	v_pk_fma_f16 v32, v44, v35, v32 op_sel_hi:[1,0,1]
	v_pk_fma_f16 v33, v44, v35, v33 op_sel:[0,1,0]
	v_pk_fma_f16 v44, v45, v35, v140 op_sel_hi:[1,0,1]
	v_fmac_f32_e32 v118, v183, v135
	v_pk_fma_f16 v45, v45, v35, v141 op_sel:[0,1,0]
	v_pk_fma_f16 v135, v46, v35, v142 op_sel_hi:[1,0,1]
	v_pk_fma_f16 v46, v46, v35, v143 op_sel:[0,1,0]
	v_pk_fma_f16 v136, v47, v35, v144 op_sel_hi:[1,0,1]
	;; [unrolled: 2-line block ×34, first 2 shown]
	v_pk_fma_f16 v11, v11, v3, v19 op_sel:[0,1,0]
	s_or_b32 s2, s13, 48
	v_pk_fma_f16 v17, v4, v3, v26 op_sel_hi:[1,0,1]
	s_mul_hi_i32 s3, s2, s22
	s_mul_i32 s2, s2, s22
	v_pk_fma_f16 v4, v4, v3, v12 op_sel:[0,1,0]
	v_pk_fma_f16 v12, v5, v3, v20 op_sel_hi:[1,0,1]
	v_pk_fma_f16 v5, v5, v3, v13 op_sel:[0,1,0]
	v_pk_fma_f16 v13, v6, v3, v21 op_sel_hi:[1,0,1]
	;; [unrolled: 2-line block ×7, first 2 shown]
	v_pk_fma_f16 v11, v149, v80, v11 op_sel:[0,1,0]
	s_lshl_b64 s[2:3], s[2:3], 2
	v_pk_fma_f16 v15, v150, v80, v17 op_sel_hi:[1,0,1]
	v_add_co_u32 v174, vcc_lo, v127, s2
	v_add_co_ci_u32_e32 v175, vcc_lo, s3, v128, vcc_lo
	v_pk_fma_f16 v4, v150, v80, v4 op_sel:[0,1,0]
	v_pk_fma_f16 v12, v151, v80, v12 op_sel_hi:[1,0,1]
	v_pk_fma_f16 v5, v151, v80, v5 op_sel:[0,1,0]
	v_pk_fma_f16 v13, v152, v80, v13 op_sel_hi:[1,0,1]
	;; [unrolled: 2-line block ×15, first 2 shown]
	v_pk_fma_f16 v190, v165, v82, v11 op_sel:[0,1,0]
	s_waitcnt vmcnt(1)
	ds_store_b128 v124, v[166:169]
	s_waitcnt vmcnt(0)
	ds_store_b128 v125, v[170:173]
	s_waitcnt lgkmcnt(0)
	s_barrier
	buffer_gl0_inv
	ds_load_2addr_b64 v[0:3], v126 offset1:32
	ds_load_2addr_b64 v[4:7], v126 offset0:64 offset1:96
	ds_load_b128 v[8:11], v123 offset:160
	ds_load_b128 v[12:15], v123 offset:176
	ds_load_2addr_b64 v[16:19], v126 offset0:128 offset1:160
	ds_load_2addr_b64 v[20:23], v126 offset0:192 offset1:224
	ds_load_2addr_b64 v[24:27], v131 offset1:32
	ds_load_2addr_b64 v[28:31], v131 offset0:64 offset1:96
	ds_load_2addr_b64 v[32:35], v131 offset0:128 offset1:160
	ds_load_2addr_b64 v[36:39], v131 offset0:192 offset1:224
	ds_load_2addr_b64 v[40:43], v132 offset1:32
	ds_load_2addr_b64 v[44:47], v132 offset0:64 offset1:96
	;; [unrolled: 4-line block ×3, first 2 shown]
	ds_load_2addr_b64 v[151:154], v133 offset0:128 offset1:160
	ds_load_2addr_b64 v[155:158], v133 offset0:192 offset1:224
	s_waitcnt lgkmcnt(0)
	s_barrier
	buffer_gl0_inv
	s_clause 0x1
	global_load_b128 v[159:162], v[174:175], off
	global_load_b128 v[163:166], v[174:175], off offset:512
	v_mov_b32_e32 v167, v117
	v_mov_b32_e32 v117, v184
	v_pk_fma_f16 v80, v96, v82, v80 op_sel_hi:[1,0,1]
	v_pk_fma_f16 v96, v96, v82, v176 op_sel:[0,1,0]
	v_pk_fma_f16 v169, v98, v82, v179 op_sel_hi:[1,0,1]
	v_pk_fma_f16 v98, v98, v82, v180 op_sel:[0,1,0]
	v_fmac_f32_e32 v117, v167, v134
	v_pk_fma_f16 v134, v97, v82, v177 op_sel_hi:[1,0,1]
	v_pk_fma_f16 v97, v97, v82, v178 op_sel:[0,1,0]
	v_pk_fma_f16 v170, v99, v82, v181 op_sel_hi:[1,0,1]
	v_pk_fma_f16 v81, v99, v82, v81 op_sel:[0,1,0]
	;; [unrolled: 2-line block ×39, first 2 shown]
	s_or_b32 s2, s13, 56
	v_pk_fma_f16 v60, v53, v51, v68 op_sel_hi:[1,0,1]
	s_mul_hi_i32 s3, s2, s22
	s_mul_i32 s2, s2, s22
	v_pk_fma_f16 v53, v53, v51, v61 op_sel:[0,1,0]
	v_pk_fma_f16 v61, v54, v51, v69 op_sel_hi:[1,0,1]
	v_pk_fma_f16 v54, v54, v51, v62 op_sel:[0,1,0]
	v_pk_fma_f16 v62, v55, v51, v70 op_sel_hi:[1,0,1]
	;; [unrolled: 2-line block ×7, first 2 shown]
	v_pk_fma_f16 v4, v4, v8, v52 op_sel:[0,1,0]
	s_lshl_b64 s[2:3], s[2:3], 2
	v_pk_fma_f16 v52, v5, v8, v60 op_sel_hi:[1,0,1]
	v_add_co_u32 v167, vcc_lo, v127, s2
	v_add_co_ci_u32_e32 v168, vcc_lo, s3, v128, vcc_lo
	v_pk_fma_f16 v5, v5, v8, v53 op_sel:[0,1,0]
	v_pk_fma_f16 v53, v6, v8, v61 op_sel_hi:[1,0,1]
	v_pk_fma_f16 v6, v6, v8, v54 op_sel:[0,1,0]
	v_pk_fma_f16 v54, v7, v8, v62 op_sel_hi:[1,0,1]
	;; [unrolled: 2-line block ×15, first 2 shown]
	v_pk_fma_f16 v28, v28, v10, v4 op_sel:[0,1,0]
	s_waitcnt vmcnt(1)
	ds_store_b128 v124, v[159:162]
	s_waitcnt vmcnt(0)
	ds_store_b128 v125, v[163:166]
	s_waitcnt lgkmcnt(0)
	s_barrier
	buffer_gl0_inv
	ds_load_2addr_b64 v[0:3], v126 offset1:32
	ds_load_2addr_b64 v[4:7], v126 offset0:64 offset1:96
	ds_load_b128 v[16:19], v123 offset:192
	ds_load_b128 v[20:23], v123 offset:208
	ds_load_2addr_b64 v[24:27], v126 offset0:128 offset1:160
	ds_load_2addr_b64 v[48:51], v126 offset0:192 offset1:224
	ds_load_2addr_b64 v[52:55], v131 offset1:32
	ds_load_2addr_b64 v[56:59], v131 offset0:64 offset1:96
	ds_load_2addr_b64 v[60:63], v131 offset0:128 offset1:160
	ds_load_2addr_b64 v[64:67], v131 offset0:192 offset1:224
	ds_load_2addr_b64 v[68:71], v132 offset1:32
	ds_load_2addr_b64 v[72:75], v132 offset0:64 offset1:96
	;; [unrolled: 4-line block ×3, first 2 shown]
	ds_load_2addr_b64 v[92:95], v133 offset0:128 offset1:160
	ds_load_2addr_b64 v[96:99], v133 offset0:192 offset1:224
	s_waitcnt lgkmcnt(0)
	s_barrier
	buffer_gl0_inv
	s_clause 0x1
	global_load_b128 v[159:162], v[167:168], off
	global_load_b128 v[163:166], v[167:168], off offset:512
	v_pk_fma_f16 v134, v29, v10, v134 op_sel_hi:[1,0,1]
	v_pk_fma_f16 v29, v29, v10, v169 op_sel:[0,1,0]
	v_pk_fma_f16 v167, v30, v10, v170 op_sel_hi:[1,0,1]
	v_pk_fma_f16 v30, v30, v10, v171 op_sel:[0,1,0]
	;; [unrolled: 2-line block ×107, first 2 shown]
	s_waitcnt vmcnt(1)
	ds_store_b128 v124, v[159:162]
	s_waitcnt vmcnt(0)
	ds_store_b128 v125, v[163:166]
	s_waitcnt lgkmcnt(0)
	s_barrier
	buffer_gl0_inv
	ds_load_2addr_b64 v[0:3], v126 offset1:32
	ds_load_2addr_b64 v[4:7], v126 offset0:64 offset1:96
	ds_load_b128 v[8:11], v123 offset:224
	ds_load_b128 v[27:30], v123 offset:240
	ds_load_2addr_b64 v[12:15], v126 offset0:128 offset1:160
	ds_load_2addr_b64 v[16:19], v126 offset0:192 offset1:224
	ds_load_2addr_b64 v[20:23], v131 offset1:32
	ds_load_2addr_b64 v[31:34], v131 offset0:64 offset1:96
	ds_load_2addr_b64 v[35:38], v131 offset0:128 offset1:160
	ds_load_2addr_b64 v[39:42], v131 offset0:192 offset1:224
	ds_load_2addr_b64 v[43:46], v132 offset1:32
	ds_load_2addr_b64 v[47:50], v132 offset0:64 offset1:96
	;; [unrolled: 4-line block ×3, first 2 shown]
	ds_load_2addr_b64 v[67:70], v133 offset0:128 offset1:160
	ds_load_2addr_b64 v[71:74], v133 offset0:192 offset1:224
	s_waitcnt lgkmcnt(0)
	s_barrier
	buffer_gl0_inv
	s_load_b32 s2, s[16:17], 0x4
	v_pk_fma_f16 v24, v0, v8, v24 op_sel_hi:[1,0,1]
	v_pk_fma_f16 v0, v0, v8, v25 op_sel:[0,1,0]
	v_pk_fma_f16 v25, v1, v8, v26 op_sel_hi:[1,0,1]
	v_pk_fma_f16 v1, v1, v8, v75 op_sel:[0,1,0]
	;; [unrolled: 2-line block ×56, first 2 shown]
	s_waitcnt lgkmcnt(0)
	s_lshl_b32 s2, s2, 6
	v_pk_fma_f16 v24, v67, v30, v8 op_sel_hi:[1,0,1]
	v_pk_fma_f16 v18, v67, v30, v0 op_sel:[0,1,0]
	v_pk_fma_f16 v26, v68, v30, v9 op_sel_hi:[1,0,1]
	v_pk_fma_f16 v21, v68, v30, v1 op_sel:[0,1,0]
	;; [unrolled: 2-line block ×8, first 2 shown]
	s_add_i32 s13, s2, s13
	s_delay_alu instid0(SALU_CYCLE_1)
	s_cmp_ge_i32 s13, s34
	s_cbranch_scc0 .LBB17_9
; %bb.10:
	v_dual_mov_b32 v0, 32 :: v_dual_mov_b32 v3, v111
.LBB17_11:
	s_delay_alu instid0(VALU_DEP_1)
	v_cmp_lt_i32_e32 vcc_lo, v116, v0
	s_cmp_lg_u64 s[24:25], 0
	s_cselect_b32 s2, -1, 0
	s_cmp_eq_u32 s14, 0
	v_cndmask_b32_e32 v1, v3, v116, vcc_lo
	v_cmp_lt_i32_e32 vcc_lo, v115, v0
	s_cselect_b32 s3, -1, 0
	s_delay_alu instid0(SALU_CYCLE_1) | instskip(NEXT) | instid1(VALU_DEP_2)
	s_and_b32 s2, s3, s2
	v_dual_cndmask_b32 v4, v3, v115 :: v_dual_lshlrev_b32 v1, 2, v1
	v_cmp_lt_i32_e32 vcc_lo, v114, v0
	ds_bpermute_b32 v2, v1, v118
	ds_bpermute_b32 v1, v1, v117
	v_lshlrev_b32_e32 v4, 2, v4
	s_waitcnt lgkmcnt(0)
	v_dual_add_f32 v2, v118, v2 :: v_dual_add_f32 v1, v117, v1
	ds_bpermute_b32 v5, v4, v2
	ds_bpermute_b32 v4, v4, v1
	v_cndmask_b32_e32 v6, v3, v114, vcc_lo
	v_cmp_lt_i32_e32 vcc_lo, v113, v0
	s_waitcnt lgkmcnt(0)
	v_dual_add_f32 v2, v2, v5 :: v_dual_add_f32 v1, v1, v4
	s_delay_alu instid0(VALU_DEP_3)
	v_lshlrev_b32_e32 v6, 2, v6
	ds_bpermute_b32 v5, v6, v1
	s_waitcnt lgkmcnt(0)
	v_add_f32_e32 v1, v1, v5
	ds_bpermute_b32 v4, v6, v2
	v_cndmask_b32_e32 v6, v3, v113, vcc_lo
	v_cmp_lt_i32_e32 vcc_lo, v112, v0
	s_delay_alu instid0(VALU_DEP_2)
	v_lshlrev_b32_e32 v6, 2, v6
	v_cndmask_b32_e32 v0, v3, v112, vcc_lo
	s_and_b32 vcc_lo, exec_lo, s2
	ds_bpermute_b32 v5, v6, v1
	v_lshlrev_b32_e32 v0, 2, v0
	s_waitcnt lgkmcnt(0)
	v_dual_add_f32 v2, v2, v4 :: v_dual_add_f32 v1, v1, v5
	ds_bpermute_b32 v4, v6, v2
	s_waitcnt lgkmcnt(0)
	v_add_f32_e32 v2, v2, v4
	ds_bpermute_b32 v3, v0, v2
	ds_bpermute_b32 v0, v0, v1
	s_waitcnt lgkmcnt(0)
	v_dual_add_f32 v2, v2, v3 :: v_dual_add_f32 v3, v1, v0
	s_cbranch_vccz .LBB17_14
; %bb.12:
	v_add_nc_u32_e32 v0, s15, v110
	s_delay_alu instid0(VALU_DEP_1) | instskip(NEXT) | instid1(VALU_DEP_1)
	v_ashrrev_i32_e32 v1, 31, v0
	v_lshlrev_b64 v[0:1], 2, v[0:1]
	s_delay_alu instid0(VALU_DEP_1) | instskip(NEXT) | instid1(VALU_DEP_2)
	v_add_co_u32 v0, vcc_lo, s24, v0
	v_add_co_ci_u32_e32 v1, vcc_lo, s25, v1, vcc_lo
	global_load_b64 v[0:1], v[0:1], off
	v_max_f32_e32 v4, v107, v107
	v_max_f32_e32 v6, v108, v108
	s_waitcnt vmcnt(0)
	v_max_f32_e32 v5, v0, v0
	v_max_f32_e32 v7, v1, v1
	s_delay_alu instid0(VALU_DEP_1) | instskip(NEXT) | instid1(VALU_DEP_1)
	v_dual_max_f32 v4, v4, v5 :: v_dual_max_f32 v5, v6, v7
	v_dual_sub_f32 v6, v107, v4 :: v_dual_sub_f32 v7, v108, v5
	v_dual_sub_f32 v1, v1, v5 :: v_dual_sub_f32 v0, v0, v4
	v_mov_b32_e32 v108, v5
	s_delay_alu instid0(VALU_DEP_3) | instskip(SKIP_1) | instid1(VALU_DEP_4)
	v_cmp_ngt_f32_e32 vcc_lo, 0xc2ce8ed0, v6
	v_mov_b32_e32 v107, v4
	v_dual_mul_f32 v11, 0x3fb8aa3b, v1 :: v_dual_mul_f32 v8, 0x3fb8aa3b, v6
	v_mul_f32_e32 v9, 0x3fb8aa3b, v0
	s_delay_alu instid0(VALU_DEP_2) | instskip(NEXT) | instid1(VALU_DEP_3)
	v_fma_f32 v34, 0x3fb8aa3b, v1, -v11
	v_fma_f32 v12, 0x3fb8aa3b, v6, -v8
	v_rndne_f32_e32 v13, v8
	s_delay_alu instid0(VALU_DEP_4) | instskip(SKIP_4) | instid1(VALU_DEP_4)
	v_fma_f32 v30, 0x3fb8aa3b, v0, -v9
	v_rndne_f32_e32 v31, v9
	v_rndne_f32_e32 v35, v11
	v_fmac_f32_e32 v12, 0x32a5705f, v6
	v_sub_f32_e32 v8, v8, v13
	v_dual_fmac_f32 v34, 0x32a5705f, v1 :: v_dual_sub_f32 v9, v9, v31
	s_delay_alu instid0(VALU_DEP_4) | instskip(NEXT) | instid1(VALU_DEP_3)
	v_dual_sub_f32 v11, v11, v35 :: v_dual_fmac_f32 v30, 0x32a5705f, v0
	v_add_f32_e32 v8, v8, v12
	v_cvt_i32_f32_e32 v12, v13
	v_cvt_i32_f32_e32 v13, v31
	s_delay_alu instid0(VALU_DEP_4) | instskip(SKIP_3) | instid1(VALU_DEP_3)
	v_dual_add_f32 v11, v11, v34 :: v_dual_mul_f32 v10, 0x3fb8aa3b, v7
	v_add_f32_e32 v9, v9, v30
	v_exp_f32_e32 v8, v8
	v_cvt_i32_f32_e32 v31, v35
	v_exp_f32_e32 v11, v11
	v_fma_f32 v32, 0x3fb8aa3b, v7, -v10
	v_exp_f32_e32 v9, v9
	v_rndne_f32_e32 v33, v10
	s_delay_alu instid0(TRANS32_DEP_3) | instskip(NEXT) | instid1(VALU_DEP_2)
	v_ldexp_f32 v8, v8, v12
	v_cvt_i32_f32_e32 v30, v33
	s_waitcnt_depctr 0xfff
	v_ldexp_f32 v11, v11, v31
	v_sub_f32_e32 v10, v10, v33
	v_ldexp_f32 v9, v9, v13
	v_cndmask_b32_e32 v8, 0, v8, vcc_lo
	v_cmp_ngt_f32_e32 vcc_lo, 0xc2ce8ed0, v0
	s_delay_alu instid0(VALU_DEP_3) | instskip(NEXT) | instid1(VALU_DEP_1)
	v_dual_fmac_f32 v32, 0x32a5705f, v7 :: v_dual_cndmask_b32 v9, 0, v9
	v_add_f32_e32 v10, v10, v32
	v_cmp_ngt_f32_e32 vcc_lo, 0xc2ce8ed0, v7
	s_delay_alu instid0(VALU_DEP_2) | instskip(SKIP_2) | instid1(VALU_DEP_1)
	v_exp_f32_e32 v10, v10
	s_waitcnt_depctr 0xfff
	v_ldexp_f32 v10, v10, v30
	v_cndmask_b32_e32 v10, 0, v10, vcc_lo
	v_cmp_ngt_f32_e32 vcc_lo, 0xc2ce8ed0, v1
	v_cndmask_b32_e32 v11, 0, v11, vcc_lo
	v_cmp_nlt_f32_e32 vcc_lo, 0x42b17218, v6
	v_cndmask_b32_e32 v6, 0x7f800000, v8, vcc_lo
	v_cmp_nlt_f32_e32 vcc_lo, 0x42b17218, v0
	s_delay_alu instid0(VALU_DEP_2) | instskip(SKIP_2) | instid1(VALU_DEP_3)
	v_cvt_f16_f32_e32 v8, v6
	v_cndmask_b32_e32 v0, 0x7f800000, v9, vcc_lo
	v_cmp_nlt_f32_e32 vcc_lo, 0x42b17218, v7
	v_pk_mul_f16 v24, v8, v24 op_sel_hi:[0,1]
	s_delay_alu instid0(VALU_DEP_3)
	v_fmac_f32_e32 v0, v2, v6
	v_cndmask_b32_e32 v7, 0x7f800000, v10, vcc_lo
	v_cmp_nlt_f32_e32 vcc_lo, 0x42b17218, v1
	v_pk_mul_f16 v26, v8, v26 op_sel_hi:[0,1]
	v_pk_mul_f16 v28, v8, v28 op_sel_hi:[0,1]
	;; [unrolled: 1-line block ×3, first 2 shown]
	v_cvt_f16_f32_e32 v2, v7
	v_cndmask_b32_e32 v1, 0x7f800000, v11, vcc_lo
	v_pk_mul_f16 v25, v8, v25 op_sel_hi:[0,1]
	v_pk_mul_f16 v27, v8, v27 op_sel_hi:[0,1]
	;; [unrolled: 1-line block ×4, first 2 shown]
	v_fmac_f32_e32 v1, v3, v7
	v_pk_mul_f16 v18, v2, v18 op_sel_hi:[0,1]
	v_pk_mul_f16 v21, v2, v21 op_sel_hi:[0,1]
	;; [unrolled: 1-line block ×4, first 2 shown]
	v_mov_b32_e32 v3, v1
	v_pk_mul_f16 v16, v2, v16 op_sel_hi:[0,1]
	v_pk_mul_f16 v17, v2, v17 op_sel_hi:[0,1]
	;; [unrolled: 1-line block ×4, first 2 shown]
	v_mov_b32_e32 v2, v0
	s_mov_b32 s2, exec_lo
	v_cmpx_gt_i32_e64 s38, v100
	s_cbranch_execnz .LBB17_15
.LBB17_13:
	s_nop 0
	s_sendmsg sendmsg(MSG_DEALLOC_VGPRS)
	s_endpgm
.LBB17_14:
	s_delay_alu instid0(VALU_DEP_1)
	v_dual_mov_b32 v0, v2 :: v_dual_mov_b32 v1, v3
	s_mov_b32 s2, exec_lo
	v_cmpx_gt_i32_e64 s38, v100
	s_cbranch_execz .LBB17_13
.LBB17_15:
	s_load_b32 s1, s[0:1], 0xd4
	v_mov_b32_e32 v6, 1.0
	s_waitcnt lgkmcnt(0)
	s_cmp_lg_u32 s1, 1
	s_cselect_b32 s3, -1, 0
	s_cmp_eq_u32 s1, 1
	s_cselect_b32 s2, -1, 0
	s_and_b32 vcc_lo, exec_lo, s3
	s_cbranch_vccnz .LBB17_17
; %bb.16:
	v_div_scale_f32 v4, null, v2, v2, 1.0
	s_delay_alu instid0(VALU_DEP_1) | instskip(SKIP_2) | instid1(VALU_DEP_1)
	v_rcp_f32_e32 v5, v4
	s_waitcnt_depctr 0xfff
	v_fma_f32 v6, -v4, v5, 1.0
	v_fmac_f32_e32 v5, v6, v5
	v_div_scale_f32 v6, vcc_lo, 1.0, v2, 1.0
	s_delay_alu instid0(VALU_DEP_1) | instskip(NEXT) | instid1(VALU_DEP_1)
	v_mul_f32_e32 v7, v6, v5
	v_fma_f32 v8, -v4, v7, v6
	s_delay_alu instid0(VALU_DEP_1) | instskip(NEXT) | instid1(VALU_DEP_1)
	v_fmac_f32_e32 v7, v8, v5
	v_fma_f32 v4, -v4, v7, v6
	s_delay_alu instid0(VALU_DEP_1) | instskip(NEXT) | instid1(VALU_DEP_1)
	v_div_fmas_f32 v4, v4, v5, v7
	v_div_fixup_f32 v6, v4, v2, 1.0
.LBB17_17:
	v_mad_u64_u32 v[4:5], null, s33, s38, v[100:101]
	v_lshrrev_b32_e32 v11, 16, v29
	v_cvt_f32_f16_e32 v7, v26
	v_cvt_f32_f16_e32 v10, v24
	v_mov_b32_e32 v12, 0
	v_cvt_f32_f16_e32 v13, v29
	v_lshrrev_b32_e32 v29, 16, v27
	v_mul_lo_u32 v4, v4, s39
	v_cvt_f32_f16_e32 v40, v27
	v_cvt_f32_f16_e32 v27, v11
	v_lshrrev_b32_e32 v8, 16, v24
	v_lshrrev_b32_e32 v24, 16, v28
	;; [unrolled: 1-line block ×3, first 2 shown]
	v_cvt_f32_f16_e32 v26, v28
	v_lshrrev_b32_e32 v41, 16, v25
	v_add3_u32 v9, s15, v110, v4
	v_cmp_eq_u32_e32 vcc_lo, 0, v101
	v_cvt_f32_f16_e32 v2, v2
	s_delay_alu instid0(VALU_DEP_3)
	v_mad_u64_u32 v[4:5], null, s1, v9, s[14:15]
	v_mul_f32_e32 v9, v6, v7
	v_dual_mul_f32 v28, v6, v13 :: v_dual_mov_b32 v31, v12
	v_cvt_f32_f16_e32 v5, v8
	v_cvt_f32_f16_e32 v13, v24
	v_dual_mul_f32 v26, v6, v26 :: v_dual_mov_b32 v35, v12
	v_lshl_add_u32 v11, v4, 9, v109
	v_mul_f32_e32 v7, v6, v10
	v_mul_f32_e32 v8, v6, v5
	v_cvt_f32_f16_e32 v5, v25
	v_cvt_f32_f16_e32 v24, v29
	v_add_nc_u32_e32 v30, 0x80, v11
	v_lshlrev_b64 v[32:33], 2, v[11:12]
	v_mul_f32_e32 v29, v6, v27
	v_dual_mul_f32 v27, v6, v13 :: v_dual_add_nc_u32 v34, 0x100, v11
	s_delay_alu instid0(VALU_DEP_4)
	v_lshlrev_b64 v[30:31], 2, v[30:31]
	v_dual_mul_f32 v10, v6, v2 :: v_dual_add_nc_u32 v11, 0x180, v11
	v_add_co_u32 v36, s0, s28, v32
	v_cvt_f32_f16_e32 v2, v41
	v_add_co_ci_u32_e64 v37, s0, s29, v33, s0
	v_add_co_u32 v38, s0, s28, v30
	v_mul_f32_e32 v30, v6, v5
	v_lshrrev_b32_e32 v5, 16, v22
	v_mul_f32_e32 v33, v6, v24
	v_lshlrev_b64 v[24:25], 2, v[34:35]
	v_add_co_ci_u32_e64 v39, s0, s29, v31, s0
	v_mul_f32_e32 v31, v6, v2
	v_lshrrev_b32_e32 v2, 16, v23
	v_lshlrev_b64 v[11:12], 2, v[11:12]
	v_cvt_f32_f16_e32 v5, v5
	v_add_co_u32 v34, s0, s28, v24
	s_delay_alu instid0(VALU_DEP_4)
	v_cvt_f32_f16_e32 v2, v2
	v_cvt_f32_f16_e32 v13, v23
	;; [unrolled: 1-line block ×3, first 2 shown]
	v_add_co_ci_u32_e64 v35, s0, s29, v25, s0
	v_mul_f32_e32 v23, v6, v5
	v_add_co_u32 v5, s0, s28, v11
	v_mul_f32_e32 v32, v6, v40
	v_mul_f32_e32 v25, v6, v2
	;; [unrolled: 1-line block ×4, first 2 shown]
	v_add_co_ci_u32_e64 v6, s0, s29, v12, s0
	s_and_b32 s0, vcc_lo, s3
	s_clause 0x3
	global_store_b128 v[36:37], v[7:10], off
	global_store_b128 v[38:39], v[26:29], off
	global_store_b128 v[34:35], v[30:33], off
	global_store_b128 v[5:6], v[22:25], off
	s_and_saveexec_b32 s3, s0
	s_cbranch_execz .LBB17_19
; %bb.18:
	v_ashrrev_i32_e32 v5, 31, v4
	v_dual_mov_b32 v7, v107 :: v_dual_mov_b32 v8, v0
	s_delay_alu instid0(VALU_DEP_2) | instskip(NEXT) | instid1(VALU_DEP_1)
	v_lshlrev_b64 v[5:6], 3, v[4:5]
	v_add_co_u32 v5, vcc_lo, s30, v5
	s_delay_alu instid0(VALU_DEP_2)
	v_add_co_ci_u32_e32 v6, vcc_lo, s31, v6, vcc_lo
	global_store_b64 v[5:6], v[7:8], off
.LBB17_19:
	s_or_b32 exec_lo, exec_lo, s3
	v_mov_b32_e32 v0, 1.0
	s_and_not1_b32 vcc_lo, exec_lo, s2
	s_cbranch_vccnz .LBB17_21
; %bb.20:
	v_div_scale_f32 v0, null, v3, v3, 1.0
	s_delay_alu instid0(VALU_DEP_1) | instskip(SKIP_2) | instid1(VALU_DEP_1)
	v_rcp_f32_e32 v2, v0
	s_waitcnt_depctr 0xfff
	v_fma_f32 v5, -v0, v2, 1.0
	v_fmac_f32_e32 v2, v5, v2
	v_div_scale_f32 v5, vcc_lo, 1.0, v3, 1.0
	s_delay_alu instid0(VALU_DEP_1) | instskip(NEXT) | instid1(VALU_DEP_1)
	v_mul_f32_e32 v6, v5, v2
	v_fma_f32 v7, -v0, v6, v5
	s_delay_alu instid0(VALU_DEP_1) | instskip(NEXT) | instid1(VALU_DEP_1)
	v_fmac_f32_e32 v6, v7, v2
	v_fma_f32 v0, -v0, v6, v5
	s_delay_alu instid0(VALU_DEP_1) | instskip(NEXT) | instid1(VALU_DEP_1)
	v_div_fmas_f32 v0, v0, v2, v6
	v_div_fixup_f32 v0, v0, v3, 1.0
.LBB17_21:
	v_lshrrev_b32_e32 v3, 16, v21
	v_cvt_f32_f16_e32 v6, v18
	v_add_nc_u32_e32 v2, s1, v4
	v_cvt_f32_f16_e32 v4, v21
	v_lshrrev_b32_e32 v5, 16, v18
	v_mov_b32_e32 v12, 0
	v_cvt_f32_f16_e32 v10, v3
	v_mul_f32_e32 v3, v0, v6
	v_lshl_add_u32 v11, v2, 9, v109
	v_cvt_f32_f16_e32 v13, v5
	v_mul_f32_e32 v5, v0, v4
	v_mul_f32_e32 v6, v0, v10
	v_lshrrev_b32_e32 v9, 16, v20
	v_lshlrev_b64 v[7:8], 2, v[11:12]
	v_dual_mul_f32 v4, v0, v13 :: v_dual_add_nc_u32 v25, 0x100, v11
	v_lshrrev_b32_e32 v10, 16, v19
	v_cvt_f32_f16_e32 v23, v19
	v_cvt_f32_f16_e32 v9, v9
	v_add_co_u32 v21, vcc_lo, s28, v7
	v_add_co_ci_u32_e32 v22, vcc_lo, s29, v8, vcc_lo
	v_dual_mov_b32 v8, v12 :: v_dual_add_nc_u32 v7, 0x80, v11
	v_add_nc_u32_e32 v11, 0x180, v11
	v_cvt_f32_f16_e32 v13, v20
	v_cvt_f32_f16_e32 v20, v10
	v_mul_f32_e32 v10, v0, v9
	v_lshlrev_b64 v[18:19], 2, v[7:8]
	v_mul_f32_e32 v7, v0, v23
	v_mul_f32_e32 v9, v0, v13
	v_lshrrev_b32_e32 v13, 16, v17
	v_mov_b32_e32 v26, v12
	v_mul_f32_e32 v8, v0, v20
	v_add_co_u32 v23, vcc_lo, s28, v18
	v_lshrrev_b32_e32 v18, 16, v16
	v_cvt_f32_f16_e32 v13, v13
	v_cvt_f32_f16_e32 v17, v17
	v_lshlrev_b64 v[25:26], 2, v[25:26]
	v_add_co_ci_u32_e32 v24, vcc_lo, s29, v19, vcc_lo
	v_cvt_f32_f16_e32 v20, v18
	v_mul_f32_e32 v19, v0, v13
	v_mul_f32_e32 v18, v0, v17
	v_lshrrev_b32_e32 v13, 16, v14
	v_lshlrev_b64 v[27:28], 2, v[11:12]
	v_mul_f32_e32 v17, v0, v20
	v_lshrrev_b32_e32 v20, 16, v15
	v_cvt_f32_f16_e32 v16, v16
	v_add_co_u32 v25, vcc_lo, s28, v25
	v_cvt_f32_f16_e32 v13, v13
	v_cvt_f32_f16_e32 v29, v14
	;; [unrolled: 1-line block ×4, first 2 shown]
	v_add_co_ci_u32_e32 v26, vcc_lo, s29, v26, vcc_lo
	v_add_co_u32 v27, vcc_lo, s28, v27
	v_mul_f32_e32 v16, v0, v16
	v_mul_f32_e32 v14, v0, v13
	;; [unrolled: 1-line block ×5, first 2 shown]
	v_add_co_ci_u32_e32 v28, vcc_lo, s29, v28, vcc_lo
	s_clause 0x3
	global_store_b128 v[21:22], v[3:6], off
	global_store_b128 v[23:24], v[7:10], off
	;; [unrolled: 1-line block ×4, first 2 shown]
	s_and_b32 exec_lo, exec_lo, s0
	s_cbranch_execz .LBB17_13
; %bb.22:
	v_ashrrev_i32_e32 v3, 31, v2
	v_mov_b32_e32 v0, v108
	s_delay_alu instid0(VALU_DEP_2) | instskip(NEXT) | instid1(VALU_DEP_1)
	v_lshlrev_b64 v[2:3], 3, v[2:3]
	v_add_co_u32 v2, vcc_lo, s30, v2
	s_delay_alu instid0(VALU_DEP_2)
	v_add_co_ci_u32_e32 v3, vcc_lo, s31, v3, vcc_lo
	global_store_b64 v[2:3], v[0:1], off
	s_nop 0
	s_sendmsg sendmsg(MSG_DEALLOC_VGPRS)
	s_endpgm
	.section	.rodata,"a",@progbits
	.p2align	6, 0x0
	.amdhsa_kernel _ZL15flash_attn_tileILi512ELi512ELi4ELi4ELb0EEvPKcS1_S1_S1_S1_PKiPfP15HIP_vector_typeIfLj2EEffffjfiS5_IjLj3EEiiiiiiiiiiiliiliiiiil
		.amdhsa_group_segment_fixed_size 27648
		.amdhsa_private_segment_fixed_size 0
		.amdhsa_kernarg_size 464
		.amdhsa_user_sgpr_count 13
		.amdhsa_user_sgpr_dispatch_ptr 0
		.amdhsa_user_sgpr_queue_ptr 0
		.amdhsa_user_sgpr_kernarg_segment_ptr 1
		.amdhsa_user_sgpr_dispatch_id 0
		.amdhsa_user_sgpr_private_segment_size 0
		.amdhsa_wavefront_size32 1
		.amdhsa_uses_dynamic_stack 0
		.amdhsa_enable_private_segment 0
		.amdhsa_system_sgpr_workgroup_id_x 1
		.amdhsa_system_sgpr_workgroup_id_y 1
		.amdhsa_system_sgpr_workgroup_id_z 1
		.amdhsa_system_sgpr_workgroup_info 0
		.amdhsa_system_vgpr_workitem_id 1
		.amdhsa_next_free_vgpr 191
		.amdhsa_next_free_sgpr 42
		.amdhsa_reserve_vcc 1
		.amdhsa_float_round_mode_32 0
		.amdhsa_float_round_mode_16_64 0
		.amdhsa_float_denorm_mode_32 3
		.amdhsa_float_denorm_mode_16_64 3
		.amdhsa_dx10_clamp 1
		.amdhsa_ieee_mode 1
		.amdhsa_fp16_overflow 0
		.amdhsa_workgroup_processor_mode 1
		.amdhsa_memory_ordered 1
		.amdhsa_forward_progress 0
		.amdhsa_shared_vgpr_count 0
		.amdhsa_exception_fp_ieee_invalid_op 0
		.amdhsa_exception_fp_denorm_src 0
		.amdhsa_exception_fp_ieee_div_zero 0
		.amdhsa_exception_fp_ieee_overflow 0
		.amdhsa_exception_fp_ieee_underflow 0
		.amdhsa_exception_fp_ieee_inexact 0
		.amdhsa_exception_int_div_zero 0
	.end_amdhsa_kernel
	.section	.text._ZL15flash_attn_tileILi512ELi512ELi4ELi4ELb0EEvPKcS1_S1_S1_S1_PKiPfP15HIP_vector_typeIfLj2EEffffjfiS5_IjLj3EEiiiiiiiiiiiliiliiiiil,"axG",@progbits,_ZL15flash_attn_tileILi512ELi512ELi4ELi4ELb0EEvPKcS1_S1_S1_S1_PKiPfP15HIP_vector_typeIfLj2EEffffjfiS5_IjLj3EEiiiiiiiiiiiliiliiiiil,comdat
.Lfunc_end17:
	.size	_ZL15flash_attn_tileILi512ELi512ELi4ELi4ELb0EEvPKcS1_S1_S1_S1_PKiPfP15HIP_vector_typeIfLj2EEffffjfiS5_IjLj3EEiiiiiiiiiiiliiliiiiil, .Lfunc_end17-_ZL15flash_attn_tileILi512ELi512ELi4ELi4ELb0EEvPKcS1_S1_S1_S1_PKiPfP15HIP_vector_typeIfLj2EEffffjfiS5_IjLj3EEiiiiiiiiiiiliiliiiiil
                                        ; -- End function
	.section	.AMDGPU.csdata,"",@progbits
; Kernel info:
; codeLenInByte = 39688
; NumSgprs: 44
; NumVgprs: 191
; ScratchSize: 0
; MemoryBound: 0
; FloatMode: 240
; IeeeMode: 1
; LDSByteSize: 27648 bytes/workgroup (compile time only)
; SGPRBlocks: 5
; VGPRBlocks: 23
; NumSGPRsForWavesPerEU: 44
; NumVGPRsForWavesPerEU: 191
; Occupancy: 8
; WaveLimiterHint : 1
; COMPUTE_PGM_RSRC2:SCRATCH_EN: 0
; COMPUTE_PGM_RSRC2:USER_SGPR: 13
; COMPUTE_PGM_RSRC2:TRAP_HANDLER: 0
; COMPUTE_PGM_RSRC2:TGID_X_EN: 1
; COMPUTE_PGM_RSRC2:TGID_Y_EN: 1
; COMPUTE_PGM_RSRC2:TGID_Z_EN: 1
; COMPUTE_PGM_RSRC2:TIDIG_COMP_CNT: 1
	.section	.text._ZL33flash_attn_stream_k_fixup_uniformILi512ELi4ELi4EEvPfPK15HIP_vector_typeIfLj2EEiiiiiiS1_IjLj3EES5_S5_,"axG",@progbits,_ZL33flash_attn_stream_k_fixup_uniformILi512ELi4ELi4EEvPfPK15HIP_vector_typeIfLj2EEiiiiiiS1_IjLj3EES5_S5_,comdat
	.globl	_ZL33flash_attn_stream_k_fixup_uniformILi512ELi4ELi4EEvPfPK15HIP_vector_typeIfLj2EEiiiiiiS1_IjLj3EES5_S5_ ; -- Begin function _ZL33flash_attn_stream_k_fixup_uniformILi512ELi4ELi4EEvPfPK15HIP_vector_typeIfLj2EEiiiiiiS1_IjLj3EES5_S5_
	.p2align	8
	.type	_ZL33flash_attn_stream_k_fixup_uniformILi512ELi4ELi4EEvPfPK15HIP_vector_typeIfLj2EEiiiiiiS1_IjLj3EES5_S5_,@function
_ZL33flash_attn_stream_k_fixup_uniformILi512ELi4ELi4EEvPfPK15HIP_vector_typeIfLj2EEiiiiiiS1_IjLj3EES5_S5_: ; @_ZL33flash_attn_stream_k_fixup_uniformILi512ELi4ELi4EEvPfPK15HIP_vector_typeIfLj2EEiiiiiiS1_IjLj3EES5_S5_
; %bb.0:
	s_clause 0x1
	s_load_b256 s[4:11], s[0:1], 0x1c
	s_load_b128 s[16:19], s[0:1], 0x3c
	s_waitcnt lgkmcnt(0)
	s_mul_hi_u32 s2, s7, s13
	s_delay_alu instid0(SALU_CYCLE_1) | instskip(NEXT) | instid1(SALU_CYCLE_1)
	s_add_i32 s2, s13, s2
	s_lshr_b32 s2, s2, s8
	s_delay_alu instid0(SALU_CYCLE_1) | instskip(SKIP_2) | instid1(SALU_CYCLE_1)
	s_mul_i32 s3, s2, s9
	s_load_b64 s[8:9], s[0:1], 0x10
	s_sub_i32 s7, s13, s3
	s_mul_hi_u32 s3, s7, s10
	s_delay_alu instid0(SALU_CYCLE_1) | instskip(NEXT) | instid1(SALU_CYCLE_1)
	s_add_i32 s3, s7, s3
	s_lshr_b32 s3, s3, s11
	s_delay_alu instid0(SALU_CYCLE_1) | instskip(NEXT) | instid1(SALU_CYCLE_1)
	s_mul_i32 s10, s3, s16
	s_sub_i32 s7, s7, s10
	s_delay_alu instid0(SALU_CYCLE_1) | instskip(NEXT) | instid1(SALU_CYCLE_1)
	s_mul_hi_u32 s10, s7, s17
	s_add_i32 s10, s7, s10
	s_delay_alu instid0(SALU_CYCLE_1) | instskip(NEXT) | instid1(SALU_CYCLE_1)
	s_lshr_b32 s10, s10, s18
	s_mul_i32 s11, s10, s19
	s_lshl_b32 s10, s10, 2
	s_sub_i32 s7, s7, s11
	s_delay_alu instid0(SALU_CYCLE_1) | instskip(NEXT) | instid1(SALU_CYCLE_1)
	s_lshl_b32 s11, s7, 2
	s_add_i32 s11, s11, s14
	s_waitcnt lgkmcnt(0)
	s_cmp_lt_i32 s11, s8
	s_cselect_b32 s11, -1, 0
	s_add_i32 s12, s10, s15
	s_delay_alu instid0(SALU_CYCLE_1) | instskip(SKIP_1) | instid1(SALU_CYCLE_1)
	s_cmp_lt_i32 s12, s5
	s_cselect_b32 s12, -1, 0
	s_and_b32 s11, s11, s12
	s_delay_alu instid0(SALU_CYCLE_1)
	s_and_not1_b32 vcc_lo, exec_lo, s11
	s_cbranch_vccnz .LBB18_6
; %bb.1:
	s_mul_i32 s2, s2, s8
	s_mul_i32 s5, s3, s5
	s_add_i32 s2, s2, s14
	s_mul_i32 s7, s9, s7
	s_mul_i32 s2, s2, s9
	s_lshl_b32 s7, s7, 11
	s_add_i32 s8, s2, s15
	s_load_b128 s[0:3], s[0:1], 0x0
	s_add_i32 s5, s8, s5
	s_lshl_b32 s9, s14, 2
	s_add_i32 s5, s5, s10
	s_delay_alu instid0(SALU_CYCLE_1) | instskip(NEXT) | instid1(SALU_CYCLE_1)
	s_lshl_b32 s5, s5, 9
	s_add_i32 s7, s7, s5
	s_mul_i32 s5, s13, s6
	v_or_b32_e32 v1, s7, v0
	s_add_i32 s10, s5, s6
	s_delay_alu instid0(VALU_DEP_1) | instskip(NEXT) | instid1(VALU_DEP_1)
	v_ashrrev_i32_e32 v2, 31, v1
	v_lshlrev_b64 v[1:2], 2, v[1:2]
	s_waitcnt lgkmcnt(0)
	s_delay_alu instid0(VALU_DEP_1) | instskip(NEXT) | instid1(VALU_DEP_2)
	v_add_co_u32 v1, vcc_lo, s0, v1
	v_add_co_ci_u32_e32 v2, vcc_lo, s1, v2, vcc_lo
	s_add_i32 s0, s9, s15
	s_lshl_b32 s1, s10, 4
	s_delay_alu instid0(SALU_CYCLE_1) | instskip(SKIP_2) | instid1(SALU_CYCLE_1)
	s_add_i32 s0, s0, s1
	global_load_b32 v5, v[1:2], off
	s_add_i32 s0, s0, -16
	s_ashr_i32 s1, s0, 31
	s_delay_alu instid0(SALU_CYCLE_1) | instskip(NEXT) | instid1(SALU_CYCLE_1)
	s_lshl_b64 s[0:1], s[0:1], 3
	s_add_u32 s0, s2, s0
	s_addc_u32 s1, s3, s1
	s_add_i32 s7, s10, -2
	s_load_b32 s11, s[0:1], 0x4
	s_cmp_lt_i32 s7, s5
	s_cbranch_scc1 .LBB18_4
; %bb.2:
	s_lshl_b32 s16, s4, 6
	s_load_b32 s12, s[0:1], 0x0
	s_ashr_i32 s17, s16, 31
	s_delay_alu instid0(SALU_CYCLE_1) | instskip(NEXT) | instid1(SALU_CYCLE_1)
	s_lshl_b64 s[0:1], s[16:17], 2
	s_add_u32 s7, s2, s0
	s_addc_u32 s8, s3, s1
	s_add_i32 s13, s13, 1
	s_lshl_b32 s0, s14, 11
	s_lshl_b32 s1, s15, 9
	s_mul_i32 s6, s6, s13
	s_add_i32 s0, s1, s0
	s_lshl_b32 s1, s6, 13
	s_delay_alu instid0(SALU_CYCLE_1)
	s_add_i32 s0, s0, s1
	s_lshl_b32 s1, s6, 4
	v_or_b32_e32 v0, s0, v0
	s_lshl_b32 s0, s4, 4
	s_add_i32 s1, s15, s1
	s_waitcnt lgkmcnt(0)
	v_mov_b32_e32 v6, s11
	s_add_i32 s0, s1, s0
	v_dual_mov_b32 v0, s12 :: v_dual_add_nc_u32 v3, 0xffffc000, v0
	s_add_i32 s0, s0, s9
	s_add_i32 s4, s10, -1
	s_sub_i32 s0, s0, 32
.LBB18_3:                               ; =>This Inner Loop Header: Depth=1
	s_delay_alu instid0(VALU_DEP_1) | instskip(SKIP_1) | instid1(SALU_CYCLE_1)
	v_ashrrev_i32_e32 v4, 31, v3
	s_ashr_i32 s1, s0, 31
	s_lshl_b64 s[10:11], s[0:1], 3
	s_delay_alu instid0(SALU_CYCLE_1) | instskip(NEXT) | instid1(VALU_DEP_1)
	s_add_u32 s10, s2, s10
	v_lshlrev_b64 v[7:8], 2, v[3:4]
	s_addc_u32 s11, s3, s11
	s_add_i32 s4, s4, -1
	s_add_i32 s0, s0, -16
	s_cmp_le_i32 s4, s5
	s_load_b64 s[10:11], s[10:11], 0x0
	v_add_co_u32 v7, vcc_lo, s7, v7
	v_add_co_ci_u32_e32 v8, vcc_lo, s8, v8, vcc_lo
	global_load_b32 v4, v[7:8], off
	v_max_f32_e32 v7, v0, v0
	s_waitcnt lgkmcnt(0)
	v_max_f32_e64 v8, s10, s10
	s_delay_alu instid0(VALU_DEP_1) | instskip(NEXT) | instid1(VALU_DEP_1)
	v_max_f32_e32 v7, v7, v8
	v_sub_f32_e32 v8, s10, v7
	s_delay_alu instid0(VALU_DEP_1) | instskip(NEXT) | instid1(VALU_DEP_1)
	v_dual_sub_f32 v0, v0, v7 :: v_dual_mul_f32 v9, 0x3fb8aa3b, v8
	v_fma_f32 v10, 0x3fb8aa3b, v8, -v9
	v_rndne_f32_e32 v11, v9
	s_delay_alu instid0(VALU_DEP_3) | instskip(NEXT) | instid1(VALU_DEP_2)
	v_mul_f32_e32 v12, 0x3fb8aa3b, v0
	v_dual_fmac_f32 v10, 0x32a5705f, v8 :: v_dual_sub_f32 v9, v9, v11
	v_cvt_i32_f32_e32 v11, v11
	s_delay_alu instid0(VALU_DEP_3) | instskip(SKIP_1) | instid1(VALU_DEP_4)
	v_fma_f32 v13, 0x3fb8aa3b, v0, -v12
	v_rndne_f32_e32 v14, v12
	v_add_f32_e32 v9, v9, v10
	v_cmp_ngt_f32_e32 vcc_lo, 0xc2ce8ed0, v8
	s_delay_alu instid0(VALU_DEP_3) | instskip(NEXT) | instid1(VALU_DEP_3)
	v_sub_f32_e32 v10, v12, v14
	v_exp_f32_e32 v9, v9
	s_waitcnt_depctr 0xfff
	v_ldexp_f32 v9, v9, v11
	v_cvt_i32_f32_e32 v11, v14
	s_delay_alu instid0(VALU_DEP_2) | instskip(SKIP_1) | instid1(VALU_DEP_2)
	v_cndmask_b32_e32 v9, 0, v9, vcc_lo
	v_cmp_nlt_f32_e32 vcc_lo, 0x42b17218, v8
	v_cndmask_b32_e32 v9, 0x7f800000, v9, vcc_lo
	v_cmp_ngt_f32_e32 vcc_lo, 0xc2ce8ed0, v0
	v_fmac_f32_e32 v13, 0x32a5705f, v0
	s_delay_alu instid0(VALU_DEP_1) | instskip(NEXT) | instid1(VALU_DEP_1)
	v_add_f32_e32 v10, v10, v13
	v_exp_f32_e32 v10, v10
	s_waitcnt_depctr 0xfff
	v_ldexp_f32 v10, v10, v11
	s_delay_alu instid0(VALU_DEP_1)
	v_dual_mov_b32 v11, v6 :: v_dual_cndmask_b32 v10, 0, v10
	v_cmp_le_f32_e32 vcc_lo, 0xc1a00000, v8
	s_waitcnt vmcnt(1)
	v_dual_cndmask_b32 v8, 0, v9 :: v_dual_mov_b32 v9, v5
	v_cmp_nlt_f32_e32 vcc_lo, 0x42b17218, v0
	v_cndmask_b32_e32 v5, 0x7f800000, v10, vcc_lo
	s_delay_alu instid0(VALU_DEP_3) | instskip(SKIP_2) | instid1(VALU_DEP_3)
	v_mul_f32_e32 v10, s11, v8
	v_cmp_le_f32_e32 vcc_lo, 0xc1a00000, v0
	v_mov_b32_e32 v0, v7
	v_mov_b32_e32 v6, v10
	s_waitcnt vmcnt(0)
	v_dual_cndmask_b32 v12, 0, v5 :: v_dual_mul_f32 v5, v4, v8
	s_delay_alu instid0(VALU_DEP_1) | instskip(NEXT) | instid1(VALU_DEP_2)
	v_dual_fmac_f32 v6, v11, v12 :: v_dual_add_nc_u32 v3, 0xffffe000, v3
	v_fmac_f32_e32 v5, v9, v12
	s_cbranch_scc0 .LBB18_3
	s_branch .LBB18_5
.LBB18_4:
	s_waitcnt lgkmcnt(0)
	v_mov_b32_e32 v6, s11
.LBB18_5:
	s_waitcnt vmcnt(0)
	s_delay_alu instid0(VALU_DEP_1) | instskip(NEXT) | instid1(VALU_DEP_1)
	v_div_scale_f32 v0, null, v6, v6, v5
	v_rcp_f32_e32 v3, v0
	s_waitcnt_depctr 0xfff
	v_fma_f32 v4, -v0, v3, 1.0
	s_delay_alu instid0(VALU_DEP_1) | instskip(SKIP_1) | instid1(VALU_DEP_1)
	v_fmac_f32_e32 v3, v4, v3
	v_div_scale_f32 v4, vcc_lo, v5, v6, v5
	v_mul_f32_e32 v7, v4, v3
	s_delay_alu instid0(VALU_DEP_1) | instskip(NEXT) | instid1(VALU_DEP_1)
	v_fma_f32 v8, -v0, v7, v4
	v_fmac_f32_e32 v7, v8, v3
	s_delay_alu instid0(VALU_DEP_1) | instskip(NEXT) | instid1(VALU_DEP_1)
	v_fma_f32 v0, -v0, v7, v4
	v_div_fmas_f32 v0, v0, v3, v7
	s_delay_alu instid0(VALU_DEP_1)
	v_div_fixup_f32 v0, v0, v6, v5
	global_store_b32 v[1:2], v0, off
.LBB18_6:
	s_nop 0
	s_sendmsg sendmsg(MSG_DEALLOC_VGPRS)
	s_endpgm
	.section	.rodata,"a",@progbits
	.p2align	6, 0x0
	.amdhsa_kernel _ZL33flash_attn_stream_k_fixup_uniformILi512ELi4ELi4EEvPfPK15HIP_vector_typeIfLj2EEiiiiiiS1_IjLj3EES5_S5_
		.amdhsa_group_segment_fixed_size 0
		.amdhsa_private_segment_fixed_size 0
		.amdhsa_kernarg_size 76
		.amdhsa_user_sgpr_count 13
		.amdhsa_user_sgpr_dispatch_ptr 0
		.amdhsa_user_sgpr_queue_ptr 0
		.amdhsa_user_sgpr_kernarg_segment_ptr 1
		.amdhsa_user_sgpr_dispatch_id 0
		.amdhsa_user_sgpr_private_segment_size 0
		.amdhsa_wavefront_size32 1
		.amdhsa_uses_dynamic_stack 0
		.amdhsa_enable_private_segment 0
		.amdhsa_system_sgpr_workgroup_id_x 1
		.amdhsa_system_sgpr_workgroup_id_y 1
		.amdhsa_system_sgpr_workgroup_id_z 1
		.amdhsa_system_sgpr_workgroup_info 0
		.amdhsa_system_vgpr_workitem_id 0
		.amdhsa_next_free_vgpr 15
		.amdhsa_next_free_sgpr 20
		.amdhsa_reserve_vcc 1
		.amdhsa_float_round_mode_32 0
		.amdhsa_float_round_mode_16_64 0
		.amdhsa_float_denorm_mode_32 3
		.amdhsa_float_denorm_mode_16_64 3
		.amdhsa_dx10_clamp 1
		.amdhsa_ieee_mode 1
		.amdhsa_fp16_overflow 0
		.amdhsa_workgroup_processor_mode 1
		.amdhsa_memory_ordered 1
		.amdhsa_forward_progress 0
		.amdhsa_shared_vgpr_count 0
		.amdhsa_exception_fp_ieee_invalid_op 0
		.amdhsa_exception_fp_denorm_src 0
		.amdhsa_exception_fp_ieee_div_zero 0
		.amdhsa_exception_fp_ieee_overflow 0
		.amdhsa_exception_fp_ieee_underflow 0
		.amdhsa_exception_fp_ieee_inexact 0
		.amdhsa_exception_int_div_zero 0
	.end_amdhsa_kernel
	.section	.text._ZL33flash_attn_stream_k_fixup_uniformILi512ELi4ELi4EEvPfPK15HIP_vector_typeIfLj2EEiiiiiiS1_IjLj3EES5_S5_,"axG",@progbits,_ZL33flash_attn_stream_k_fixup_uniformILi512ELi4ELi4EEvPfPK15HIP_vector_typeIfLj2EEiiiiiiS1_IjLj3EES5_S5_,comdat
.Lfunc_end18:
	.size	_ZL33flash_attn_stream_k_fixup_uniformILi512ELi4ELi4EEvPfPK15HIP_vector_typeIfLj2EEiiiiiiS1_IjLj3EES5_S5_, .Lfunc_end18-_ZL33flash_attn_stream_k_fixup_uniformILi512ELi4ELi4EEvPfPK15HIP_vector_typeIfLj2EEiiiiiiS1_IjLj3EES5_S5_
                                        ; -- End function
	.section	.AMDGPU.csdata,"",@progbits
; Kernel info:
; codeLenInByte = 996
; NumSgprs: 22
; NumVgprs: 15
; ScratchSize: 0
; MemoryBound: 0
; FloatMode: 240
; IeeeMode: 1
; LDSByteSize: 0 bytes/workgroup (compile time only)
; SGPRBlocks: 2
; VGPRBlocks: 1
; NumSGPRsForWavesPerEU: 22
; NumVGPRsForWavesPerEU: 15
; Occupancy: 16
; WaveLimiterHint : 0
; COMPUTE_PGM_RSRC2:SCRATCH_EN: 0
; COMPUTE_PGM_RSRC2:USER_SGPR: 13
; COMPUTE_PGM_RSRC2:TRAP_HANDLER: 0
; COMPUTE_PGM_RSRC2:TGID_X_EN: 1
; COMPUTE_PGM_RSRC2:TGID_Y_EN: 1
; COMPUTE_PGM_RSRC2:TGID_Z_EN: 1
; COMPUTE_PGM_RSRC2:TIDIG_COMP_CNT: 0
	.section	.text._ZL33flash_attn_stream_k_fixup_generalILi512ELi4ELi4EEvPfPK15HIP_vector_typeIfLj2EEiiiiS1_IjLj3EES5_S5_S5_,"axG",@progbits,_ZL33flash_attn_stream_k_fixup_generalILi512ELi4ELi4EEvPfPK15HIP_vector_typeIfLj2EEiiiiS1_IjLj3EES5_S5_S5_,comdat
	.globl	_ZL33flash_attn_stream_k_fixup_generalILi512ELi4ELi4EEvPfPK15HIP_vector_typeIfLj2EEiiiiS1_IjLj3EES5_S5_S5_ ; -- Begin function _ZL33flash_attn_stream_k_fixup_generalILi512ELi4ELi4EEvPfPK15HIP_vector_typeIfLj2EEiiiiS1_IjLj3EES5_S5_S5_
	.p2align	8
	.type	_ZL33flash_attn_stream_k_fixup_generalILi512ELi4ELi4EEvPfPK15HIP_vector_typeIfLj2EEiiiiS1_IjLj3EES5_S5_S5_,@function
_ZL33flash_attn_stream_k_fixup_generalILi512ELi4ELi4EEvPfPK15HIP_vector_typeIfLj2EEiiiiS1_IjLj3EES5_S5_S5_: ; @_ZL33flash_attn_stream_k_fixup_generalILi512ELi4ELi4EEvPfPK15HIP_vector_typeIfLj2EEiiiiS1_IjLj3EES5_S5_S5_
; %bb.0:
	s_clause 0x1
	s_load_b128 s[4:7], s[0:1], 0x10
	s_load_b32 s20, s[0:1], 0x50
	s_mov_b32 s2, 0
	s_waitcnt lgkmcnt(0)
	s_mul_hi_i32 s3, s7, s13
	s_mul_i32 s12, s7, s13
	s_cmp_lg_u64 s[2:3], 0
	s_cbranch_scc0 .LBB19_21
; %bb.1:
	v_cvt_f32_ubyte0_e32 v1, 0
	v_cvt_f32_u32_e32 v2, s20
	s_sub_u32 s10, 0, s20
	s_subb_u32 s11, 0, 0
	s_delay_alu instid0(VALU_DEP_1) | instskip(NEXT) | instid1(VALU_DEP_1)
	v_fmamk_f32 v1, v1, 0x4f800000, v2
	v_rcp_f32_e32 v1, v1
	s_waitcnt_depctr 0xfff
	v_mul_f32_e32 v1, 0x5f7ffffc, v1
	s_delay_alu instid0(VALU_DEP_1) | instskip(NEXT) | instid1(VALU_DEP_1)
	v_mul_f32_e32 v2, 0x2f800000, v1
	v_trunc_f32_e32 v2, v2
	s_delay_alu instid0(VALU_DEP_1) | instskip(SKIP_1) | instid1(VALU_DEP_2)
	v_fmamk_f32 v1, v2, 0xcf800000, v1
	v_cvt_u32_f32_e32 v2, v2
	v_cvt_u32_f32_e32 v1, v1
	s_delay_alu instid0(VALU_DEP_2) | instskip(NEXT) | instid1(VALU_DEP_2)
	v_readfirstlane_b32 s8, v2
	v_readfirstlane_b32 s9, v1
	s_delay_alu instid0(VALU_DEP_2) | instskip(NEXT) | instid1(VALU_DEP_1)
	s_mul_i32 s16, s10, s8
	s_mul_hi_u32 s18, s10, s9
	s_mul_i32 s17, s11, s9
	s_add_i32 s16, s18, s16
	s_mul_i32 s19, s10, s9
	s_add_i32 s16, s16, s17
	s_mul_hi_u32 s18, s9, s19
	s_mul_hi_u32 s21, s8, s19
	s_mul_i32 s17, s8, s19
	s_mul_hi_u32 s19, s9, s16
	s_mul_i32 s9, s9, s16
	s_mul_hi_u32 s22, s8, s16
	s_add_u32 s9, s18, s9
	s_addc_u32 s18, 0, s19
	s_add_u32 s9, s9, s17
	s_mul_i32 s16, s8, s16
	s_addc_u32 s9, s18, s21
	s_addc_u32 s17, s22, 0
	s_add_u32 s9, s9, s16
	s_addc_u32 s16, 0, s17
	v_add_co_u32 v1, s9, v1, s9
	s_delay_alu instid0(VALU_DEP_1) | instskip(SKIP_1) | instid1(VALU_DEP_1)
	s_cmp_lg_u32 s9, 0
	s_addc_u32 s8, s8, s16
	v_readfirstlane_b32 s9, v1
	s_mul_i32 s16, s10, s8
	s_delay_alu instid0(VALU_DEP_1)
	s_mul_hi_u32 s17, s10, s9
	s_mul_i32 s11, s11, s9
	s_add_i32 s16, s17, s16
	s_mul_i32 s10, s10, s9
	s_add_i32 s16, s16, s11
	s_mul_hi_u32 s17, s8, s10
	s_mul_i32 s18, s8, s10
	s_mul_hi_u32 s10, s9, s10
	s_mul_hi_u32 s19, s9, s16
	s_mul_i32 s9, s9, s16
	s_mul_hi_u32 s11, s8, s16
	s_add_u32 s9, s10, s9
	s_addc_u32 s10, 0, s19
	s_add_u32 s9, s9, s18
	s_mul_i32 s16, s8, s16
	s_addc_u32 s9, s10, s17
	s_addc_u32 s10, s11, 0
	s_add_u32 s9, s9, s16
	s_addc_u32 s10, 0, s10
	v_add_co_u32 v1, s9, v1, s9
	s_delay_alu instid0(VALU_DEP_1) | instskip(SKIP_2) | instid1(SALU_CYCLE_1)
	s_cmp_lg_u32 s9, 0
	s_addc_u32 s16, s8, s10
	s_ashr_i32 s8, s3, 31
	s_add_u32 s10, s12, s8
	s_addc_u32 s11, s3, s8
	v_readfirstlane_b32 s3, v1
	s_mov_b32 s9, s8
	s_delay_alu instid0(SALU_CYCLE_1) | instskip(NEXT) | instid1(SALU_CYCLE_1)
	s_xor_b64 s[10:11], s[10:11], s[8:9]
	s_mul_i32 s18, s10, s16
	s_delay_alu instid0(VALU_DEP_1)
	s_mul_hi_u32 s19, s10, s3
	s_mul_hi_u32 s17, s10, s16
	;; [unrolled: 1-line block ×3, first 2 shown]
	s_mul_i32 s3, s11, s3
	s_add_u32 s18, s19, s18
	s_addc_u32 s17, 0, s17
	s_mul_hi_u32 s21, s11, s16
	s_add_u32 s3, s18, s3
	s_mul_i32 s16, s11, s16
	s_addc_u32 s3, s17, s22
	s_addc_u32 s17, s21, 0
	s_add_u32 s3, s3, s16
	s_addc_u32 s16, 0, s17
	s_mul_i32 s18, s20, s3
	s_add_u32 s17, s3, 1
	v_sub_co_u32 v1, s10, s10, s18
	s_mul_hi_u32 s18, s20, s3
	s_addc_u32 s19, s16, 0
	s_mul_i32 s21, s20, s16
	s_delay_alu instid0(VALU_DEP_1)
	v_sub_co_u32 v2, s22, v1, s20
	s_add_u32 s23, s3, 2
	s_addc_u32 s24, s16, 0
	s_add_i32 s18, s18, s21
	s_cmp_lg_u32 s10, 0
	v_readfirstlane_b32 s10, v2
	s_subb_u32 s11, s11, s18
	s_cmp_lg_u32 s22, 0
	s_subb_u32 s18, s11, 0
	s_delay_alu instid0(VALU_DEP_1) | instskip(SKIP_4) | instid1(SALU_CYCLE_1)
	s_cmp_ge_u32 s10, s20
	s_cselect_b32 s10, -1, 0
	s_cmp_eq_u32 s18, 0
	v_readfirstlane_b32 s18, v1
	s_cselect_b32 s10, s10, -1
	s_cmp_lg_u32 s10, 0
	s_cselect_b32 s10, s23, s17
	s_cselect_b32 s17, s24, s19
	s_cmp_ge_u32 s18, s20
	s_cselect_b32 s18, -1, 0
	s_cmp_eq_u32 s11, 0
	s_cselect_b32 s11, s18, -1
	s_delay_alu instid0(SALU_CYCLE_1) | instskip(SKIP_2) | instid1(SALU_CYCLE_1)
	s_cmp_lg_u32 s11, 0
	s_cselect_b32 s11, s17, s16
	s_cselect_b32 s10, s10, s3
	s_xor_b64 s[10:11], s[10:11], s[8:9]
	s_delay_alu instid0(SALU_CYCLE_1)
	s_sub_u32 s16, s10, s8
	s_load_b128 s[8:11], s[0:1], 0x44
	s_and_not1_b32 vcc_lo, exec_lo, s2
	s_cbranch_vccnz .LBB19_3
.LBB19_2:
	v_cvt_f32_u32_e32 v1, s20
	s_sub_i32 s3, 0, s20
	s_delay_alu instid0(VALU_DEP_1) | instskip(SKIP_2) | instid1(VALU_DEP_1)
	v_rcp_iflag_f32_e32 v1, v1
	s_waitcnt_depctr 0xfff
	v_mul_f32_e32 v1, 0x4f7ffffe, v1
	v_cvt_u32_f32_e32 v1, v1
	s_delay_alu instid0(VALU_DEP_1) | instskip(NEXT) | instid1(VALU_DEP_1)
	v_readfirstlane_b32 s2, v1
	s_mul_i32 s3, s3, s2
	s_delay_alu instid0(SALU_CYCLE_1) | instskip(NEXT) | instid1(SALU_CYCLE_1)
	s_mul_hi_u32 s3, s2, s3
	s_add_i32 s2, s2, s3
	s_delay_alu instid0(SALU_CYCLE_1) | instskip(NEXT) | instid1(SALU_CYCLE_1)
	s_mul_hi_u32 s2, s12, s2
	s_mul_i32 s3, s2, s20
	s_waitcnt lgkmcnt(0)
	s_add_i32 s11, s2, 1
	s_sub_i32 s3, s12, s3
	s_delay_alu instid0(SALU_CYCLE_1)
	s_sub_i32 s12, s3, s20
	s_cmp_ge_u32 s3, s20
	s_cselect_b32 s2, s11, s2
	s_cselect_b32 s3, s12, s3
	s_add_i32 s11, s2, 1
	s_cmp_ge_u32 s3, s20
	s_cselect_b32 s16, s11, s2
.LBB19_3:
	s_waitcnt lgkmcnt(0)
	s_add_i32 s11, s13, 1
	s_mov_b32 s2, 0
	s_mul_hi_i32 s3, s7, s11
	s_mul_i32 s11, s7, s11
	s_cmp_lg_u64 s[2:3], 0
	s_cbranch_scc0 .LBB19_22
; %bb.4:
	v_cvt_f32_ubyte0_e32 v1, 0
	v_cvt_f32_u32_e32 v2, s20
	s_sub_u32 s18, 0, s20
	s_subb_u32 s19, 0, 0
	s_delay_alu instid0(VALU_DEP_1) | instskip(NEXT) | instid1(VALU_DEP_1)
	v_fmamk_f32 v1, v1, 0x4f800000, v2
	v_rcp_f32_e32 v1, v1
	s_waitcnt_depctr 0xfff
	v_mul_f32_e32 v1, 0x5f7ffffc, v1
	s_delay_alu instid0(VALU_DEP_1) | instskip(NEXT) | instid1(VALU_DEP_1)
	v_mul_f32_e32 v2, 0x2f800000, v1
	v_trunc_f32_e32 v2, v2
	s_delay_alu instid0(VALU_DEP_1) | instskip(SKIP_1) | instid1(VALU_DEP_2)
	v_fmamk_f32 v1, v2, 0xcf800000, v1
	v_cvt_u32_f32_e32 v2, v2
	v_cvt_u32_f32_e32 v1, v1
	s_delay_alu instid0(VALU_DEP_2) | instskip(NEXT) | instid1(VALU_DEP_2)
	v_readfirstlane_b32 s12, v2
	v_readfirstlane_b32 s17, v1
	s_delay_alu instid0(VALU_DEP_2) | instskip(NEXT) | instid1(VALU_DEP_1)
	s_mul_i32 s21, s18, s12
	s_mul_hi_u32 s23, s18, s17
	s_mul_i32 s22, s19, s17
	s_add_i32 s21, s23, s21
	s_mul_i32 s24, s18, s17
	s_add_i32 s21, s21, s22
	s_mul_hi_u32 s23, s17, s24
	s_mul_hi_u32 s25, s12, s24
	s_mul_i32 s22, s12, s24
	s_mul_hi_u32 s24, s17, s21
	s_mul_i32 s17, s17, s21
	s_mul_hi_u32 s26, s12, s21
	s_add_u32 s17, s23, s17
	s_addc_u32 s23, 0, s24
	s_add_u32 s17, s17, s22
	s_mul_i32 s21, s12, s21
	s_addc_u32 s17, s23, s25
	s_addc_u32 s22, s26, 0
	s_add_u32 s17, s17, s21
	s_addc_u32 s21, 0, s22
	v_add_co_u32 v1, s17, v1, s17
	s_delay_alu instid0(VALU_DEP_1) | instskip(SKIP_1) | instid1(VALU_DEP_1)
	s_cmp_lg_u32 s17, 0
	s_addc_u32 s12, s12, s21
	v_readfirstlane_b32 s17, v1
	s_mul_i32 s21, s18, s12
	s_delay_alu instid0(VALU_DEP_1)
	s_mul_hi_u32 s22, s18, s17
	s_mul_i32 s19, s19, s17
	s_add_i32 s21, s22, s21
	s_mul_i32 s18, s18, s17
	s_add_i32 s21, s21, s19
	s_mul_hi_u32 s22, s12, s18
	s_mul_i32 s23, s12, s18
	s_mul_hi_u32 s18, s17, s18
	s_mul_hi_u32 s24, s17, s21
	s_mul_i32 s17, s17, s21
	s_mul_hi_u32 s19, s12, s21
	s_add_u32 s17, s18, s17
	s_addc_u32 s18, 0, s24
	s_add_u32 s17, s17, s23
	s_mul_i32 s21, s12, s21
	s_addc_u32 s17, s18, s22
	s_addc_u32 s18, s19, 0
	s_add_u32 s17, s17, s21
	s_addc_u32 s18, 0, s18
	v_add_co_u32 v1, s17, v1, s17
	s_delay_alu instid0(VALU_DEP_1) | instskip(SKIP_2) | instid1(SALU_CYCLE_1)
	s_cmp_lg_u32 s17, 0
	s_addc_u32 s12, s12, s18
	s_ashr_i32 s18, s3, 31
	s_add_u32 s22, s11, s18
	s_addc_u32 s23, s3, s18
	v_readfirstlane_b32 s3, v1
	s_mov_b32 s19, s18
	s_delay_alu instid0(SALU_CYCLE_1) | instskip(NEXT) | instid1(SALU_CYCLE_1)
	s_xor_b64 s[22:23], s[22:23], s[18:19]
	s_mul_i32 s21, s22, s12
	s_delay_alu instid0(VALU_DEP_1)
	s_mul_hi_u32 s24, s22, s3
	s_mul_hi_u32 s17, s22, s12
	s_mul_hi_u32 s26, s23, s3
	s_mul_i32 s3, s23, s3
	s_add_u32 s21, s24, s21
	s_addc_u32 s17, 0, s17
	s_mul_hi_u32 s25, s23, s12
	s_add_u32 s3, s21, s3
	s_mul_i32 s12, s23, s12
	s_addc_u32 s3, s17, s26
	s_addc_u32 s17, s25, 0
	s_add_u32 s3, s3, s12
	s_addc_u32 s12, 0, s17
	s_mul_i32 s21, s20, s3
	s_add_u32 s17, s3, 1
	v_sub_co_u32 v1, s21, s22, s21
	s_mul_hi_u32 s22, s20, s3
	s_addc_u32 s24, s12, 0
	s_mul_i32 s25, s20, s12
	s_delay_alu instid0(VALU_DEP_1)
	v_sub_co_u32 v2, s26, v1, s20
	s_add_u32 s27, s3, 2
	s_addc_u32 s28, s12, 0
	s_add_i32 s22, s22, s25
	s_cmp_lg_u32 s21, 0
	v_readfirstlane_b32 s21, v2
	s_subb_u32 s22, s23, s22
	s_cmp_lg_u32 s26, 0
	s_subb_u32 s23, s22, 0
	s_delay_alu instid0(VALU_DEP_1) | instskip(SKIP_4) | instid1(SALU_CYCLE_1)
	s_cmp_ge_u32 s21, s20
	s_cselect_b32 s21, -1, 0
	s_cmp_eq_u32 s23, 0
	v_readfirstlane_b32 s23, v1
	s_cselect_b32 s21, s21, -1
	s_cmp_lg_u32 s21, 0
	s_cselect_b32 s17, s27, s17
	s_cselect_b32 s21, s28, s24
	s_cmp_ge_u32 s23, s20
	s_cselect_b32 s23, -1, 0
	s_cmp_eq_u32 s22, 0
	s_cselect_b32 s22, s23, -1
	s_delay_alu instid0(SALU_CYCLE_1) | instskip(SKIP_2) | instid1(SALU_CYCLE_1)
	s_cmp_lg_u32 s22, 0
	s_cselect_b32 s23, s21, s12
	s_cselect_b32 s22, s17, s3
	s_xor_b64 s[22:23], s[22:23], s[18:19]
	s_delay_alu instid0(SALU_CYCLE_1)
	s_sub_u32 s18, s22, s18
	s_and_not1_b32 vcc_lo, exec_lo, s2
	s_cbranch_vccnz .LBB19_6
.LBB19_5:
	v_cvt_f32_u32_e32 v1, s20
	s_sub_i32 s3, 0, s20
	s_delay_alu instid0(VALU_DEP_1) | instskip(SKIP_2) | instid1(VALU_DEP_1)
	v_rcp_iflag_f32_e32 v1, v1
	s_waitcnt_depctr 0xfff
	v_mul_f32_e32 v1, 0x4f7ffffe, v1
	v_cvt_u32_f32_e32 v1, v1
	s_delay_alu instid0(VALU_DEP_1) | instskip(NEXT) | instid1(VALU_DEP_1)
	v_readfirstlane_b32 s2, v1
	s_mul_i32 s3, s3, s2
	s_delay_alu instid0(SALU_CYCLE_1) | instskip(NEXT) | instid1(SALU_CYCLE_1)
	s_mul_hi_u32 s3, s2, s3
	s_add_i32 s2, s2, s3
	s_delay_alu instid0(SALU_CYCLE_1) | instskip(NEXT) | instid1(SALU_CYCLE_1)
	s_mul_hi_u32 s2, s11, s2
	s_mul_i32 s3, s2, s20
	s_delay_alu instid0(SALU_CYCLE_1)
	s_sub_i32 s3, s11, s3
	s_add_i32 s11, s2, 1
	s_sub_i32 s12, s3, s20
	s_cmp_ge_u32 s3, s20
	s_cselect_b32 s2, s11, s2
	s_cselect_b32 s3, s12, s3
	s_add_i32 s11, s2, 1
	s_cmp_ge_u32 s3, s20
	s_cselect_b32 s18, s11, s2
.LBB19_6:
	s_delay_alu instid0(SALU_CYCLE_1) | instskip(SKIP_3) | instid1(SALU_CYCLE_1)
	s_cmp_eq_u32 s16, s18
	s_mul_hi_u32 s2, s16, s8
	s_cselect_b32 s3, -1, 0
	s_add_i32 s2, s2, s16
	s_lshr_b32 s11, s2, s9
	s_delay_alu instid0(SALU_CYCLE_1) | instskip(NEXT) | instid1(SALU_CYCLE_1)
	s_mul_i32 s2, s11, s10
	s_cmp_eq_u32 s2, s16
	s_mul_hi_u32 s2, s18, s8
	s_cselect_b32 s12, -1, 0
	s_add_i32 s2, s2, s18
	s_delay_alu instid0(SALU_CYCLE_1) | instskip(NEXT) | instid1(SALU_CYCLE_1)
	s_lshr_b32 s2, s2, s9
	s_cmp_eq_u32 s11, s2
	s_mul_i32 s2, s2, s10
	s_cselect_b32 s17, -1, 0
	s_cmp_lg_u32 s2, s18
	s_cselect_b32 s2, -1, 0
	s_or_b32 s3, s3, s12
	s_and_b32 s2, s17, s2
	s_delay_alu instid0(SALU_CYCLE_1) | instskip(NEXT) | instid1(SALU_CYCLE_1)
	s_or_b32 s2, s3, s2
	s_and_b32 vcc_lo, exec_lo, s2
	s_cbranch_vccnz .LBB19_24
; %bb.7:
	s_load_b256 s[24:31], s[0:1], 0x20
	s_waitcnt lgkmcnt(0)
	s_mul_hi_u32 s2, s16, s24
	s_delay_alu instid0(SALU_CYCLE_1) | instskip(NEXT) | instid1(SALU_CYCLE_1)
	s_add_i32 s2, s2, s16
	s_lshr_b32 s17, s2, s25
	s_load_b32 s2, s[0:1], 0x40
	s_mul_i32 s3, s17, s26
	s_delay_alu instid0(SALU_CYCLE_1) | instskip(NEXT) | instid1(SALU_CYCLE_1)
	s_sub_i32 s3, s16, s3
	s_mul_hi_u32 s12, s3, s27
	s_delay_alu instid0(SALU_CYCLE_1) | instskip(NEXT) | instid1(SALU_CYCLE_1)
	s_add_i32 s12, s3, s12
	s_lshr_b32 s21, s12, s28
	s_delay_alu instid0(SALU_CYCLE_1) | instskip(NEXT) | instid1(SALU_CYCLE_1)
	s_mul_i32 s12, s21, s29
	s_sub_i32 s3, s3, s12
	s_delay_alu instid0(SALU_CYCLE_1) | instskip(NEXT) | instid1(SALU_CYCLE_1)
	s_mul_hi_u32 s12, s3, s30
	s_add_i32 s12, s3, s12
	s_delay_alu instid0(SALU_CYCLE_1)
	s_lshr_b32 s12, s12, s31
	s_waitcnt lgkmcnt(0)
	s_mul_i32 s2, s12, s2
	s_lshl_b32 s23, s12, 2
	s_sub_i32 s2, s3, s2
	s_mov_b32 s12, 0
	s_mul_hi_u32 s3, s2, s8
	s_delay_alu instid0(SALU_CYCLE_1) | instskip(NEXT) | instid1(SALU_CYCLE_1)
	s_add_i32 s2, s2, s3
	s_lshr_b32 s22, s2, s9
	s_delay_alu instid0(SALU_CYCLE_1) | instskip(NEXT) | instid1(SALU_CYCLE_1)
	s_lshl_b32 s2, s22, 2
	s_add_i32 s2, s2, s14
	s_delay_alu instid0(SALU_CYCLE_1) | instskip(SKIP_2) | instid1(SALU_CYCLE_1)
	s_cmp_lt_i32 s2, s4
	s_cselect_b32 s2, -1, 0
	s_add_i32 s3, s23, s15
	s_cmp_lt_i32 s3, s6
	s_cselect_b32 s3, -1, 0
	s_delay_alu instid0(SALU_CYCLE_1) | instskip(NEXT) | instid1(SALU_CYCLE_1)
	s_and_b32 s2, s2, s3
	s_and_not1_b32 vcc_lo, exec_lo, s2
	s_cbranch_vccnz .LBB19_24
; %bb.8:
	s_load_b128 s[0:3], s[0:1], 0x0
	s_lshl_b32 s18, s20, 6
	s_mov_b32 s19, s12
	s_lshl_b32 s24, s14, 2
	s_lshl_b64 s[18:19], s[18:19], 2
	s_mul_i32 s4, s17, s4
	s_add_i32 s17, s24, s15
	s_mul_i32 s21, s21, s6
	v_cvt_f32_ubyte0_e32 v4, 0
	v_cvt_f32_u32_e32 v5, s20
	s_waitcnt lgkmcnt(0)
	s_add_u32 s18, s2, s18
	s_addc_u32 s19, s3, s19
	s_add_i32 s4, s4, s14
	s_delay_alu instid0(SALU_CYCLE_1) | instskip(SKIP_4) | instid1(SALU_CYCLE_1)
	s_mul_i32 s4, s4, s5
	s_mul_i32 s5, s5, s22
	s_add_i32 s4, s4, s15
	s_lshl_b32 s5, s5, 11
	s_add_i32 s4, s4, s21
	s_add_i32 s4, s4, s23
	s_delay_alu instid0(SALU_CYCLE_1) | instskip(NEXT) | instid1(SALU_CYCLE_1)
	s_lshl_b32 s4, s4, 9
	s_add_i32 s5, s5, s4
	s_delay_alu instid0(SALU_CYCLE_1) | instskip(SKIP_1) | instid1(VALU_DEP_2)
	v_or_b32_e32 v1, s5, v0
	v_lshl_or_b32 v0, s17, 9, v0
	v_ashrrev_i32_e32 v2, 31, v1
	s_delay_alu instid0(VALU_DEP_1) | instskip(NEXT) | instid1(VALU_DEP_1)
	v_lshlrev_b64 v[1:2], 2, v[1:2]
	v_add_co_u32 v1, vcc_lo, s0, v1
	s_delay_alu instid0(VALU_DEP_2) | instskip(SKIP_1) | instid1(SALU_CYCLE_1)
	v_add_co_ci_u32_e32 v2, vcc_lo, s1, v2, vcc_lo
	s_lshl_b32 s0, s13, 4
	s_add_i32 s0, s17, s0
	global_load_b32 v3, v[1:2], off
	s_ashr_i32 s1, s0, 31
	s_delay_alu instid0(SALU_CYCLE_1) | instskip(NEXT) | instid1(SALU_CYCLE_1)
	s_lshl_b64 s[0:1], s[0:1], 3
	s_add_u32 s0, s2, s0
	s_addc_u32 s1, s3, s1
	s_add_i32 s14, s13, -1
	s_load_b64 s[0:1], s[0:1], 0x0
	v_fmac_f32_e32 v5, 0x4f800000, v4
	s_sub_i32 s6, 0, s20
	s_waitcnt lgkmcnt(0)
	v_mov_b32_e32 v8, s0
	s_delay_alu instid0(VALU_DEP_2) | instskip(SKIP_2) | instid1(VALU_DEP_2)
	v_rcp_f32_e32 v4, v5
	v_cvt_f32_u32_e32 v5, s20
	v_mov_b32_e32 v7, s1
	v_rcp_iflag_f32_e32 v5, v5
	s_waitcnt_depctr 0xfff
	v_mul_f32_e32 v4, 0x5f7ffffc, v4
	s_delay_alu instid0(VALU_DEP_1) | instskip(SKIP_1) | instid1(VALU_DEP_2)
	v_mul_f32_e32 v6, 0x2f800000, v4
	v_mul_f32_e32 v9, 0x4f7ffffe, v5
	v_trunc_f32_e32 v6, v6
	s_delay_alu instid0(VALU_DEP_1) | instskip(SKIP_1) | instid1(VALU_DEP_4)
	v_fmac_f32_e32 v4, 0xcf800000, v6
	v_cvt_u32_f32_e32 v5, v6
	v_cvt_u32_f32_e32 v6, v9
	s_delay_alu instid0(VALU_DEP_3)
	v_cvt_u32_f32_e32 v4, v4
.LBB19_9:                               ; =>This Inner Loop Header: Depth=1
	s_mul_hi_i32 s13, s14, s7
	s_mul_i32 s4, s14, s7
	s_cmp_lg_u64 s[12:13], 0
	s_mov_b32 s5, -1
                                        ; implicit-def: $sgpr0_sgpr1
	s_cbranch_scc0 .LBB19_11
; %bb.10:                               ;   in Loop: Header=BB19_9 Depth=1
	v_readfirstlane_b32 s0, v4
	v_readfirstlane_b32 s1, v5
	s_sub_u32 s5, 0, s20
	s_subb_u32 s15, 0, 0
	s_delay_alu instid0(VALU_DEP_2) | instskip(NEXT) | instid1(VALU_DEP_1)
	s_mul_hi_u32 s21, s5, s0
	s_mul_i32 s22, s5, s1
	s_mul_i32 s23, s15, s0
	s_add_i32 s21, s21, s22
	s_mul_i32 s22, s5, s0
	s_add_i32 s21, s21, s23
	s_mul_hi_u32 s23, s0, s22
	s_mul_i32 s24, s0, s21
	s_mul_hi_u32 s0, s0, s21
	s_add_u32 s23, s23, s24
	s_mul_i32 s25, s1, s22
	s_addc_u32 s0, 0, s0
	s_mul_hi_u32 s22, s1, s22
	s_mul_hi_u32 s24, s1, s21
	s_add_u32 s23, s23, s25
	s_addc_u32 s0, s0, s22
	s_mul_i32 s21, s1, s21
	s_addc_u32 s22, s24, 0
	s_add_u32 s0, s0, s21
	s_addc_u32 s21, 0, s22
	v_add_co_u32 v9, s0, v4, s0
	s_delay_alu instid0(VALU_DEP_1) | instskip(SKIP_1) | instid1(VALU_DEP_1)
	s_cmp_lg_u32 s0, 0
	s_addc_u32 s1, s1, s21
	v_readfirstlane_b32 s0, v9
	s_mul_i32 s21, s5, s1
	s_delay_alu instid0(VALU_DEP_1)
	s_mul_hi_u32 s22, s5, s0
	s_mul_i32 s15, s15, s0
	s_add_i32 s21, s22, s21
	s_mul_i32 s5, s5, s0
	s_add_i32 s21, s21, s15
	s_mul_hi_u32 s15, s1, s5
	s_mul_i32 s23, s1, s5
	s_mul_i32 s24, s0, s21
	s_mul_hi_u32 s5, s0, s5
	s_mul_hi_u32 s0, s0, s21
	s_add_u32 s5, s5, s24
	s_addc_u32 s0, 0, s0
	s_mul_hi_u32 s22, s1, s21
	s_add_u32 s5, s5, s23
	s_addc_u32 s0, s0, s15
	s_mul_i32 s5, s1, s21
	s_addc_u32 s15, s22, 0
	s_add_u32 s0, s0, s5
	s_addc_u32 s5, 0, s15
	v_add_co_u32 v9, s0, v9, s0
	s_delay_alu instid0(VALU_DEP_1) | instskip(SKIP_2) | instid1(SALU_CYCLE_1)
	s_cmp_lg_u32 s0, 0
	s_addc_u32 s5, s1, s5
	s_ashr_i32 s0, s13, 31
	s_add_u32 s22, s4, s0
	s_addc_u32 s23, s13, s0
	v_readfirstlane_b32 s13, v9
	s_mov_b32 s1, s0
	s_delay_alu instid0(SALU_CYCLE_1) | instskip(NEXT) | instid1(SALU_CYCLE_1)
	s_xor_b64 s[22:23], s[22:23], s[0:1]
	s_mul_i32 s15, s22, s5
	s_delay_alu instid0(VALU_DEP_1)
	s_mul_hi_u32 s21, s22, s13
	s_mul_hi_u32 s24, s22, s5
	s_add_u32 s15, s21, s15
	s_mul_i32 s25, s23, s13
	s_addc_u32 s21, 0, s24
	s_mul_hi_u32 s13, s23, s13
	s_mul_hi_u32 s24, s23, s5
	s_add_u32 s15, s15, s25
	s_addc_u32 s13, s21, s13
	s_mul_i32 s5, s23, s5
	s_addc_u32 s15, s24, 0
	s_add_u32 s5, s13, s5
	s_addc_u32 s13, 0, s15
	s_mul_i32 s21, s20, s5
	s_add_u32 s15, s5, 1
	v_sub_co_u32 v9, s21, s22, s21
	s_addc_u32 s22, s13, 0
	s_mul_i32 s25, s20, s13
	s_mul_hi_u32 s27, s20, s5
	s_delay_alu instid0(VALU_DEP_1)
	v_sub_co_u32 v10, s26, v9, s20
	s_add_u32 s24, s5, 2
	s_addc_u32 s28, s13, 0
	s_add_i32 s27, s27, s25
	s_cmp_lg_u32 s21, 0
	v_readfirstlane_b32 s21, v10
	s_subb_u32 s23, s23, s27
	s_cmp_lg_u32 s26, 0
	s_subb_u32 s25, s23, 0
	s_delay_alu instid0(VALU_DEP_1) | instskip(SKIP_4) | instid1(SALU_CYCLE_1)
	s_cmp_ge_u32 s21, s20
	s_cselect_b32 s21, -1, 0
	s_cmp_eq_u32 s25, 0
	v_readfirstlane_b32 s25, v9
	s_cselect_b32 s21, s21, -1
	s_cmp_lg_u32 s21, 0
	s_cselect_b32 s15, s24, s15
	s_cselect_b32 s21, s28, s22
	s_cmp_ge_u32 s25, s20
	s_cselect_b32 s22, -1, 0
	s_cmp_eq_u32 s23, 0
	s_cselect_b32 s22, s22, -1
	s_delay_alu instid0(SALU_CYCLE_1) | instskip(SKIP_4) | instid1(SALU_CYCLE_1)
	s_cmp_lg_u32 s22, 0
	s_cselect_b32 s23, s21, s13
	s_cselect_b32 s22, s15, s5
	s_mov_b32 s5, 0
	s_xor_b64 s[22:23], s[22:23], s[0:1]
	s_sub_u32 s0, s22, s0
.LBB19_11:                              ;   in Loop: Header=BB19_9 Depth=1
	s_and_not1_b32 vcc_lo, exec_lo, s5
	s_cbranch_vccnz .LBB19_13
; %bb.12:                               ;   in Loop: Header=BB19_9 Depth=1
	v_readfirstlane_b32 s0, v6
	s_delay_alu instid0(VALU_DEP_1) | instskip(NEXT) | instid1(SALU_CYCLE_1)
	s_mul_i32 s1, s6, s0
	s_mul_hi_u32 s1, s0, s1
	s_delay_alu instid0(SALU_CYCLE_1) | instskip(NEXT) | instid1(SALU_CYCLE_1)
	s_add_i32 s0, s0, s1
	s_mul_hi_u32 s0, s4, s0
	s_delay_alu instid0(SALU_CYCLE_1) | instskip(NEXT) | instid1(SALU_CYCLE_1)
	s_mul_i32 s1, s0, s20
	s_sub_i32 s1, s4, s1
	s_add_i32 s4, s0, 1
	s_sub_i32 s5, s1, s20
	s_cmp_ge_u32 s1, s20
	s_cselect_b32 s0, s4, s0
	s_cselect_b32 s1, s5, s1
	s_add_i32 s4, s0, 1
	s_cmp_ge_u32 s1, s20
	s_cselect_b32 s0, s4, s0
.LBB19_13:                              ;   in Loop: Header=BB19_9 Depth=1
	s_delay_alu instid0(SALU_CYCLE_1)
	s_cmp_lg_u32 s16, s0
	s_cbranch_scc0 .LBB19_17
; %bb.14:                               ;   in Loop: Header=BB19_9 Depth=1
	s_add_i32 s1, s14, s20
	s_mov_b32 s5, s12
	s_lshl_b32 s1, s1, 4
	s_mov_b32 s15, s16
	s_add_i32 s4, s1, s17
	s_mul_hi_u32 s1, s0, s8
	s_lshl_b64 s[4:5], s[4:5], 3
	s_delay_alu instid0(SALU_CYCLE_1) | instskip(SKIP_2) | instid1(SALU_CYCLE_1)
	s_add_u32 s4, s2, s4
	s_addc_u32 s5, s3, s5
	s_add_i32 s1, s1, s0
	s_lshr_b32 s1, s1, s9
	s_delay_alu instid0(SALU_CYCLE_1) | instskip(NEXT) | instid1(SALU_CYCLE_1)
	s_mul_i32 s13, s1, s10
	s_cmp_eq_u32 s13, s0
	s_cselect_b32 s13, -1, 0
	s_cmp_lt_u32 s1, s11
	s_cselect_b32 s1, -1, 0
	s_delay_alu instid0(SALU_CYCLE_1)
	s_or_b32 s1, s1, s13
	s_mov_b32 s13, -1
	s_and_b32 vcc_lo, exec_lo, s1
	s_mov_b32 s1, s14
	s_cbranch_vccnz .LBB19_16
; %bb.15:                               ;   in Loop: Header=BB19_9 Depth=1
	s_add_i32 s1, s14, -1
	s_mov_b32 s13, 0
	s_mov_b32 s15, s0
.LBB19_16:                              ;   in Loop: Header=BB19_9 Depth=1
	v_lshl_add_u32 v9, s14, 13, v0
	s_load_b64 s[4:5], s[4:5], 0x0
	s_delay_alu instid0(VALU_DEP_1) | instskip(NEXT) | instid1(VALU_DEP_1)
	v_ashrrev_i32_e32 v10, 31, v9
	v_lshlrev_b64 v[9:10], 2, v[9:10]
	s_delay_alu instid0(VALU_DEP_1) | instskip(NEXT) | instid1(VALU_DEP_2)
	v_add_co_u32 v9, vcc_lo, s18, v9
	v_add_co_ci_u32_e32 v10, vcc_lo, s19, v10, vcc_lo
	s_waitcnt lgkmcnt(0)
	v_max_f32_e64 v11, s4, s4
	global_load_b32 v10, v[9:10], off
	v_max_f32_e32 v9, v8, v8
	s_delay_alu instid0(VALU_DEP_1) | instskip(NEXT) | instid1(VALU_DEP_1)
	v_max_f32_e32 v9, v9, v11
	v_sub_f32_e32 v12, v8, v9
	s_delay_alu instid0(VALU_DEP_1) | instskip(NEXT) | instid1(VALU_DEP_1)
	v_dual_mul_f32 v14, 0x3fb8aa3b, v12 :: v_dual_sub_f32 v11, s4, v9
	v_rndne_f32_e32 v18, v14
	s_delay_alu instid0(VALU_DEP_2) | instskip(SKIP_2) | instid1(VALU_DEP_4)
	v_mul_f32_e32 v13, 0x3fb8aa3b, v11
	v_fma_f32 v17, 0x3fb8aa3b, v12, -v14
	v_cmp_ngt_f32_e32 vcc_lo, 0xc2ce8ed0, v11
	v_sub_f32_e32 v14, v14, v18
	s_delay_alu instid0(VALU_DEP_4) | instskip(SKIP_2) | instid1(VALU_DEP_3)
	v_fma_f32 v15, 0x3fb8aa3b, v11, -v13
	v_rndne_f32_e32 v16, v13
	v_fmac_f32_e32 v17, 0x32a5705f, v12
	v_fmac_f32_e32 v15, 0x32a5705f, v11
	s_delay_alu instid0(VALU_DEP_2) | instskip(NEXT) | instid1(VALU_DEP_1)
	v_dual_sub_f32 v13, v13, v16 :: v_dual_add_f32 v14, v14, v17
	v_add_f32_e32 v13, v13, v15
	s_delay_alu instid0(VALU_DEP_2) | instskip(SKIP_2) | instid1(VALU_DEP_3)
	v_exp_f32_e32 v14, v14
	v_cvt_i32_f32_e32 v15, v16
	v_cvt_i32_f32_e32 v16, v18
	v_exp_f32_e32 v13, v13
	s_waitcnt_depctr 0xfff
	v_ldexp_f32 v14, v14, v16
	v_ldexp_f32 v13, v13, v15
	s_delay_alu instid0(VALU_DEP_1) | instskip(SKIP_1) | instid1(VALU_DEP_4)
	v_cndmask_b32_e32 v13, 0, v13, vcc_lo
	v_cmp_ngt_f32_e32 vcc_lo, 0xc2ce8ed0, v12
	v_cndmask_b32_e32 v14, 0, v14, vcc_lo
	v_cmp_nlt_f32_e32 vcc_lo, 0x42b17218, v11
	s_delay_alu instid0(VALU_DEP_4) | instskip(SKIP_1) | instid1(VALU_DEP_4)
	v_cndmask_b32_e32 v13, 0x7f800000, v13, vcc_lo
	v_cmp_nlt_f32_e32 vcc_lo, 0x42b17218, v12
	v_cndmask_b32_e32 v14, 0x7f800000, v14, vcc_lo
	v_cmp_le_f32_e32 vcc_lo, 0xc1a00000, v11
	s_delay_alu instid0(VALU_DEP_4) | instskip(SKIP_1) | instid1(VALU_DEP_4)
	v_cndmask_b32_e32 v11, 0, v13, vcc_lo
	v_cmp_le_f32_e32 vcc_lo, 0xc1a00000, v12
	v_cndmask_b32_e32 v12, 0, v14, vcc_lo
	s_waitcnt vmcnt(0)
	s_delay_alu instid0(VALU_DEP_3) | instskip(NEXT) | instid1(VALU_DEP_1)
	v_mul_f32_e32 v10, v10, v11
	v_dual_mul_f32 v11, s5, v11 :: v_dual_fmac_f32 v10, v3, v12
	s_delay_alu instid0(VALU_DEP_1)
	v_fmac_f32_e32 v11, v7, v12
	s_cbranch_execz .LBB19_18
	s_branch .LBB19_19
.LBB19_17:                              ;   in Loop: Header=BB19_9 Depth=1
                                        ; implicit-def: $sgpr13
                                        ; implicit-def: $vgpr10
                                        ; implicit-def: $vgpr9
                                        ; implicit-def: $vgpr11
                                        ; implicit-def: $sgpr1
                                        ; implicit-def: $sgpr15
.LBB19_18:                              ;   in Loop: Header=BB19_9 Depth=1
	v_mov_b32_e32 v11, v7
	s_waitcnt vmcnt(0)
	v_dual_mov_b32 v9, v8 :: v_dual_mov_b32 v10, v3
	s_add_i32 s1, s14, -1
	s_mov_b32 s13, 0
	s_mov_b32 s15, s16
.LBB19_19:                              ;   in Loop: Header=BB19_9 Depth=1
	s_and_not1_b32 vcc_lo, exec_lo, s13
	s_cbranch_vccz .LBB19_23
; %bb.20:                               ;   in Loop: Header=BB19_9 Depth=1
	v_dual_mov_b32 v7, v11 :: v_dual_mov_b32 v8, v9
	s_waitcnt vmcnt(0)
	v_mov_b32_e32 v3, v10
	s_mov_b32 s16, s15
	s_mov_b32 s14, s1
	s_branch .LBB19_9
.LBB19_21:
                                        ; implicit-def: $sgpr16_sgpr17
	s_load_b128 s[8:11], s[0:1], 0x44
	s_branch .LBB19_2
.LBB19_22:
                                        ; implicit-def: $sgpr18_sgpr19
	s_branch .LBB19_5
.LBB19_23:
	v_div_scale_f32 v0, null, v11, v11, v10
	s_waitcnt vmcnt(0)
	s_delay_alu instid0(VALU_DEP_1) | instskip(SKIP_2) | instid1(VALU_DEP_1)
	v_rcp_f32_e32 v3, v0
	s_waitcnt_depctr 0xfff
	v_fma_f32 v4, -v0, v3, 1.0
	v_fmac_f32_e32 v3, v4, v3
	v_div_scale_f32 v4, vcc_lo, v10, v11, v10
	s_delay_alu instid0(VALU_DEP_1) | instskip(NEXT) | instid1(VALU_DEP_1)
	v_mul_f32_e32 v5, v4, v3
	v_fma_f32 v6, -v0, v5, v4
	s_delay_alu instid0(VALU_DEP_1) | instskip(NEXT) | instid1(VALU_DEP_1)
	v_fmac_f32_e32 v5, v6, v3
	v_fma_f32 v0, -v0, v5, v4
	s_delay_alu instid0(VALU_DEP_1) | instskip(NEXT) | instid1(VALU_DEP_1)
	v_div_fmas_f32 v0, v0, v3, v5
	v_div_fixup_f32 v0, v0, v11, v10
	global_store_b32 v[1:2], v0, off
.LBB19_24:
	s_nop 0
	s_sendmsg sendmsg(MSG_DEALLOC_VGPRS)
	s_endpgm
	.section	.rodata,"a",@progbits
	.p2align	6, 0x0
	.amdhsa_kernel _ZL33flash_attn_stream_k_fixup_generalILi512ELi4ELi4EEvPfPK15HIP_vector_typeIfLj2EEiiiiS1_IjLj3EES5_S5_S5_
		.amdhsa_group_segment_fixed_size 0
		.amdhsa_private_segment_fixed_size 0
		.amdhsa_kernarg_size 336
		.amdhsa_user_sgpr_count 13
		.amdhsa_user_sgpr_dispatch_ptr 0
		.amdhsa_user_sgpr_queue_ptr 0
		.amdhsa_user_sgpr_kernarg_segment_ptr 1
		.amdhsa_user_sgpr_dispatch_id 0
		.amdhsa_user_sgpr_private_segment_size 0
		.amdhsa_wavefront_size32 1
		.amdhsa_uses_dynamic_stack 0
		.amdhsa_enable_private_segment 0
		.amdhsa_system_sgpr_workgroup_id_x 1
		.amdhsa_system_sgpr_workgroup_id_y 1
		.amdhsa_system_sgpr_workgroup_id_z 1
		.amdhsa_system_sgpr_workgroup_info 0
		.amdhsa_system_vgpr_workitem_id 0
		.amdhsa_next_free_vgpr 19
		.amdhsa_next_free_sgpr 32
		.amdhsa_reserve_vcc 1
		.amdhsa_float_round_mode_32 0
		.amdhsa_float_round_mode_16_64 0
		.amdhsa_float_denorm_mode_32 3
		.amdhsa_float_denorm_mode_16_64 3
		.amdhsa_dx10_clamp 1
		.amdhsa_ieee_mode 1
		.amdhsa_fp16_overflow 0
		.amdhsa_workgroup_processor_mode 1
		.amdhsa_memory_ordered 1
		.amdhsa_forward_progress 0
		.amdhsa_shared_vgpr_count 0
		.amdhsa_exception_fp_ieee_invalid_op 0
		.amdhsa_exception_fp_denorm_src 0
		.amdhsa_exception_fp_ieee_div_zero 0
		.amdhsa_exception_fp_ieee_overflow 0
		.amdhsa_exception_fp_ieee_underflow 0
		.amdhsa_exception_fp_ieee_inexact 0
		.amdhsa_exception_int_div_zero 0
	.end_amdhsa_kernel
	.section	.text._ZL33flash_attn_stream_k_fixup_generalILi512ELi4ELi4EEvPfPK15HIP_vector_typeIfLj2EEiiiiS1_IjLj3EES5_S5_S5_,"axG",@progbits,_ZL33flash_attn_stream_k_fixup_generalILi512ELi4ELi4EEvPfPK15HIP_vector_typeIfLj2EEiiiiS1_IjLj3EES5_S5_S5_,comdat
.Lfunc_end19:
	.size	_ZL33flash_attn_stream_k_fixup_generalILi512ELi4ELi4EEvPfPK15HIP_vector_typeIfLj2EEiiiiS1_IjLj3EES5_S5_S5_, .Lfunc_end19-_ZL33flash_attn_stream_k_fixup_generalILi512ELi4ELi4EEvPfPK15HIP_vector_typeIfLj2EEiiiiS1_IjLj3EES5_S5_S5_
                                        ; -- End function
	.section	.AMDGPU.csdata,"",@progbits
; Kernel info:
; codeLenInByte = 3224
; NumSgprs: 34
; NumVgprs: 19
; ScratchSize: 0
; MemoryBound: 0
; FloatMode: 240
; IeeeMode: 1
; LDSByteSize: 0 bytes/workgroup (compile time only)
; SGPRBlocks: 4
; VGPRBlocks: 2
; NumSGPRsForWavesPerEU: 34
; NumVGPRsForWavesPerEU: 19
; Occupancy: 16
; WaveLimiterHint : 0
; COMPUTE_PGM_RSRC2:SCRATCH_EN: 0
; COMPUTE_PGM_RSRC2:USER_SGPR: 13
; COMPUTE_PGM_RSRC2:TRAP_HANDLER: 0
; COMPUTE_PGM_RSRC2:TGID_X_EN: 1
; COMPUTE_PGM_RSRC2:TGID_Y_EN: 1
; COMPUTE_PGM_RSRC2:TGID_Z_EN: 1
; COMPUTE_PGM_RSRC2:TIDIG_COMP_CNT: 0
	.section	.text._ZL15flash_attn_tileILi512ELi512ELi2ELi4ELb0EEvPKcS1_S1_S1_S1_PKiPfP15HIP_vector_typeIfLj2EEffffjfiS5_IjLj3EEiiiiiiiiiiiliiliiiiil,"axG",@progbits,_ZL15flash_attn_tileILi512ELi512ELi2ELi4ELb0EEvPKcS1_S1_S1_S1_PKiPfP15HIP_vector_typeIfLj2EEffffjfiS5_IjLj3EEiiiiiiiiiiiliiliiiiil,comdat
	.globl	_ZL15flash_attn_tileILi512ELi512ELi2ELi4ELb0EEvPKcS1_S1_S1_S1_PKiPfP15HIP_vector_typeIfLj2EEffffjfiS5_IjLj3EEiiiiiiiiiiiliiliiiiil ; -- Begin function _ZL15flash_attn_tileILi512ELi512ELi2ELi4ELb0EEvPKcS1_S1_S1_S1_PKiPfP15HIP_vector_typeIfLj2EEffffjfiS5_IjLj3EEiiiiiiiiiiiliiliiiiil
	.p2align	8
	.type	_ZL15flash_attn_tileILi512ELi512ELi2ELi4ELb0EEvPKcS1_S1_S1_S1_PKiPfP15HIP_vector_typeIfLj2EEffffjfiS5_IjLj3EEiiiiiiiiiiiliiliiiiil,@function
_ZL15flash_attn_tileILi512ELi512ELi2ELi4ELb0EEvPKcS1_S1_S1_S1_PKiPfP15HIP_vector_typeIfLj2EEffffjfiS5_IjLj3EEiiiiiiiiiiiliiliiiiil: ; @_ZL15flash_attn_tileILi512ELi512ELi2ELi4ELb0EEvPKcS1_S1_S1_S1_PKiPfP15HIP_vector_typeIfLj2EEffffjfiS5_IjLj3EEiiiiiiiiiiiliiliiiiil
; %bb.0:
	s_clause 0x1
	s_load_b128 s[4:7], s[0:1], 0x5c
	s_load_b64 s[34:35], s[0:1], 0x80
	s_mov_b64 s[36:37], 0
	s_waitcnt lgkmcnt(0)
	s_ashr_i32 s2, s7, 31
	s_delay_alu instid0(SALU_CYCLE_1) | instskip(NEXT) | instid1(SALU_CYCLE_1)
	s_lshr_b32 s2, s2, 30
	s_add_i32 s2, s7, s2
	s_delay_alu instid0(SALU_CYCLE_1) | instskip(NEXT) | instid1(SALU_CYCLE_1)
	s_ashr_i32 s2, s2, 2
	v_cvt_f32_u32_e32 v1, s2
	s_sub_i32 s8, 0, s2
	s_delay_alu instid0(VALU_DEP_1) | instskip(SKIP_2) | instid1(VALU_DEP_1)
	v_rcp_iflag_f32_e32 v1, v1
	s_waitcnt_depctr 0xfff
	v_mul_f32_e32 v1, 0x4f7ffffe, v1
	v_cvt_u32_f32_e32 v1, v1
	s_delay_alu instid0(VALU_DEP_1) | instskip(NEXT) | instid1(VALU_DEP_1)
	v_readfirstlane_b32 s3, v1
	s_mul_i32 s8, s8, s3
	s_delay_alu instid0(SALU_CYCLE_1) | instskip(NEXT) | instid1(SALU_CYCLE_1)
	s_mul_hi_u32 s8, s3, s8
	s_add_i32 s3, s3, s8
	s_delay_alu instid0(SALU_CYCLE_1) | instskip(NEXT) | instid1(SALU_CYCLE_1)
	s_mul_hi_u32 s3, s15, s3
	s_mul_i32 s8, s3, s2
	s_add_i32 s9, s3, 1
	s_sub_i32 s8, s15, s8
	s_delay_alu instid0(SALU_CYCLE_1)
	s_sub_i32 s10, s8, s2
	s_cmp_ge_u32 s8, s2
	s_cselect_b32 s3, s9, s3
	s_cselect_b32 s8, s10, s8
	s_add_i32 s9, s3, 1
	s_cmp_ge_u32 s8, s2
	s_cselect_b32 s33, s9, s3
	s_abs_i32 s2, s35
	s_abs_i32 s11, s7
	v_cvt_f32_u32_e32 v1, s2
	s_sub_i32 s8, 0, s2
	s_lshl_b32 s9, s15, 2
	s_mul_i32 s10, s33, s7
	s_delay_alu instid0(VALU_DEP_1) | instskip(SKIP_3) | instid1(VALU_DEP_1)
	v_rcp_iflag_f32_e32 v1, v1
	s_sub_i32 s12, s9, s10
	s_waitcnt_depctr 0xfff
	v_mul_f32_e32 v1, 0x4f7ffffe, v1
	v_cvt_u32_f32_e32 v1, v1
	s_delay_alu instid0(VALU_DEP_1) | instskip(NEXT) | instid1(VALU_DEP_1)
	v_readfirstlane_b32 s3, v1
	s_mul_i32 s8, s8, s3
	s_delay_alu instid0(SALU_CYCLE_1) | instskip(NEXT) | instid1(SALU_CYCLE_1)
	s_mul_hi_u32 s8, s3, s8
	s_add_i32 s3, s3, s8
	s_xor_b32 s8, s7, s35
	s_mul_hi_u32 s3, s11, s3
	s_ashr_i32 s8, s8, 31
	s_mul_i32 s9, s3, s2
	s_add_i32 s10, s3, 1
	s_sub_i32 s9, s11, s9
	s_delay_alu instid0(SALU_CYCLE_1)
	s_sub_i32 s11, s9, s2
	s_cmp_ge_u32 s9, s2
	s_cselect_b32 s3, s10, s3
	s_cselect_b32 s9, s11, s9
	s_add_i32 s10, s3, 1
	s_cmp_ge_u32 s9, s2
	s_cselect_b32 s2, s10, s3
	s_delay_alu instid0(SALU_CYCLE_1) | instskip(NEXT) | instid1(SALU_CYCLE_1)
	s_xor_b32 s2, s2, s8
	s_sub_i32 s15, s2, s8
	s_clause 0x1
	s_load_b512 s[16:31], s[0:1], 0x0
	s_load_b64 s[2:3], s[0:1], 0xb8
	s_abs_i32 s35, s15
	s_delay_alu instid0(SALU_CYCLE_1) | instskip(NEXT) | instid1(VALU_DEP_1)
	v_cvt_f32_u32_e32 v1, s35
	v_rcp_iflag_f32_e32 v1, v1
	s_waitcnt_depctr 0xfff
	v_mul_f32_e32 v1, 0x4f7ffffe, v1
	s_waitcnt lgkmcnt(0)
	s_cmp_eq_u64 s[22:23], 0
	s_delay_alu instid0(VALU_DEP_1) | instskip(NEXT) | instid1(VALU_DEP_1)
	v_cvt_u32_f32_e32 v1, v1
	v_readfirstlane_b32 s38, v1
	s_cbranch_scc1 .LBB20_2
; %bb.1:
	s_abs_i32 s2, s2
	s_abs_i32 s10, s33
	v_cvt_f32_u32_e32 v1, s2
	s_sub_i32 s9, 0, s2
	s_delay_alu instid0(VALU_DEP_1) | instskip(SKIP_2) | instid1(VALU_DEP_1)
	v_rcp_iflag_f32_e32 v1, v1
	s_waitcnt_depctr 0xfff
	v_mul_f32_e32 v1, 0x4f7ffffe, v1
	v_cvt_u32_f32_e32 v1, v1
	s_delay_alu instid0(VALU_DEP_1) | instskip(NEXT) | instid1(VALU_DEP_1)
	v_readfirstlane_b32 s8, v1
	s_mul_i32 s9, s9, s8
	s_delay_alu instid0(SALU_CYCLE_1) | instskip(NEXT) | instid1(SALU_CYCLE_1)
	s_mul_hi_u32 s9, s8, s9
	s_add_i32 s11, s8, s9
	s_load_b64 s[8:9], s[0:1], 0xc8
	s_mul_hi_u32 s11, s10, s11
	s_delay_alu instid0(SALU_CYCLE_1) | instskip(NEXT) | instid1(SALU_CYCLE_1)
	s_mul_i32 s11, s11, s2
	s_sub_i32 s10, s10, s11
	s_ashr_i32 s11, s33, 31
	s_sub_i32 s36, s10, s2
	s_cmp_ge_u32 s10, s2
	s_cselect_b32 s10, s36, s10
	s_delay_alu instid0(SALU_CYCLE_1) | instskip(SKIP_2) | instid1(SALU_CYCLE_1)
	s_sub_i32 s36, s10, s2
	s_cmp_ge_u32 s10, s2
	s_cselect_b32 s2, s36, s10
	s_xor_b32 s2, s2, s11
	s_delay_alu instid0(SALU_CYCLE_1)
	s_sub_i32 s2, s2, s11
	s_waitcnt lgkmcnt(0)
	s_mul_i32 s9, s2, s9
	s_mul_hi_u32 s10, s2, s8
	s_ashr_i32 s11, s2, 31
	s_add_i32 s9, s10, s9
	s_mul_i32 s11, s11, s8
	s_mul_i32 s2, s2, s8
	s_add_i32 s9, s9, s11
	s_add_u32 s36, s22, s2
	s_addc_u32 s37, s23, s9
.LBB20_2:
	v_bfe_u32 v2, v0, 10, 10
	s_load_b128 s[8:11], s[0:1], 0x70
	v_and_b32_e32 v0, 0x3ff, v0
	s_delay_alu instid0(VALU_DEP_2) | instskip(SKIP_1) | instid1(VALU_DEP_3)
	v_lshrrev_b32_e32 v1, 2, v2
	v_and_b32_e32 v24, 3, v2
	v_lshlrev_b32_e32 v21, 1, v0
	s_delay_alu instid0(VALU_DEP_3) | instskip(NEXT) | instid1(VALU_DEP_1)
	v_lshl_add_u32 v1, s13, 1, v1
	v_mul_hi_u32 v3, s4, v1
	s_waitcnt lgkmcnt(0)
	s_mul_i32 s2, s33, s10
	s_mul_i32 s4, s12, s9
	s_delay_alu instid0(VALU_DEP_1) | instskip(NEXT) | instid1(VALU_DEP_1)
	v_add_nc_u32_e32 v3, v1, v3
	v_lshrrev_b32_e32 v3, s5, v3
	s_ashr_i32 s5, s2, 31
	s_add_u32 s2, s16, s2
	s_addc_u32 s5, s17, s5
	s_ashr_i32 s10, s4, 31
	v_mul_lo_u32 v3, v3, s6
	s_add_u32 s2, s2, s4
	s_addc_u32 s4, s5, s10
	s_ashr_i32 s5, s9, 31
	s_ashr_i32 s10, s8, 31
	v_alignbit_b32 v7, s5, s9, 2
	v_alignbit_b32 v9, s10, s8, 2
	s_lshr_b32 s5, s5, 2
	v_sub_nc_u32_e32 v4, v1, v3
	s_delay_alu instid0(VALU_DEP_3) | instskip(NEXT) | instid1(VALU_DEP_2)
	v_mad_u64_u32 v[5:6], null, v7, v24, 0
	v_mad_u64_u32 v[7:8], null, v9, v4, 0
	s_delay_alu instid0(VALU_DEP_1) | instskip(NEXT) | instid1(VALU_DEP_1)
	v_dual_mov_b32 v3, v6 :: v_dual_mov_b32 v6, v8
	v_mad_u64_u32 v[8:9], null, s5, v24, v[3:4]
	s_lshr_b32 s5, s10, 2
	s_cmp_eq_u64 s[26:27], 0
	s_delay_alu instid0(VALU_DEP_2) | instskip(SKIP_1) | instid1(VALU_DEP_2)
	v_mad_u64_u32 v[9:10], null, s5, v4, v[6:7]
	s_mov_b32 s5, 0
	v_mov_b32_e32 v6, v8
	s_delay_alu instid0(VALU_DEP_2) | instskip(NEXT) | instid1(VALU_DEP_2)
	v_mov_b32_e32 v8, v9
	v_lshlrev_b64 v[5:6], 2, v[5:6]
	s_delay_alu instid0(VALU_DEP_2) | instskip(NEXT) | instid1(VALU_DEP_2)
	v_lshlrev_b64 v[7:8], 2, v[7:8]
	v_add_co_u32 v3, vcc_lo, s2, v5
	s_delay_alu instid0(VALU_DEP_3) | instskip(SKIP_1) | instid1(VALU_DEP_3)
	v_add_co_ci_u32_e32 v5, vcc_lo, s4, v6, vcc_lo
	v_lshlrev_b32_e32 v6, 4, v0
	v_add_co_u32 v3, vcc_lo, v3, v7
	s_delay_alu instid0(VALU_DEP_3) | instskip(SKIP_1) | instid1(VALU_DEP_2)
	v_add_co_ci_u32_e32 v5, vcc_lo, v5, v8, vcc_lo
	s_load_b32 s2, s[0:1], 0x40
	v_add_co_u32 v17, vcc_lo, v3, v6
	s_delay_alu instid0(VALU_DEP_2)
	v_add_co_ci_u32_e32 v18, vcc_lo, 0, v5, vcc_lo
	v_lshlrev_b32_e32 v3, 8, v2
	s_clause 0x3
	global_load_b128 v[5:8], v[17:18], off
	global_load_b128 v[9:12], v[17:18], off offset:512
	global_load_b128 v[13:16], v[17:18], off offset:1024
	;; [unrolled: 1-line block ×3, first 2 shown]
	v_add_lshl_u32 v3, v21, v3, 2
	s_delay_alu instid0(VALU_DEP_1)
	v_add_nc_u32_e32 v3, 0x2000, v3
	s_waitcnt vmcnt(3) lgkmcnt(0)
	v_fma_mixlo_f16 v21, v5, s2, 0
	v_fma_mixlo_f16 v22, v7, s2, 0
	s_waitcnt vmcnt(2)
	v_fma_mixlo_f16 v25, v9, s2, 0
	v_fma_mixlo_f16 v26, v11, s2, 0
	s_waitcnt vmcnt(1)
	;; [unrolled: 3-line block ×3, first 2 shown]
	v_fma_mixlo_f16 v29, v17, s2, 0
	v_fma_mixlo_f16 v30, v19, s2, 0
	v_fma_mixhi_f16 v22, v8, s2, 0
	v_fma_mixhi_f16 v21, v6, s2, 0
	;; [unrolled: 1-line block ×8, first 2 shown]
	ds_store_2addr_b64 v3, v[21:22], v[25:26] offset0:128 offset1:160
	ds_store_2addr_b64 v3, v[27:28], v[29:30] offset0:192 offset1:224
	s_waitcnt lgkmcnt(0)
	s_barrier
	buffer_gl0_inv
	s_cbranch_scc1 .LBB20_4
; %bb.3:
	s_load_b32 s2, s[0:1], 0xd0
	s_waitcnt lgkmcnt(0)
	s_mul_i32 s2, s2, s33
	s_delay_alu instid0(SALU_CYCLE_1) | instskip(NEXT) | instid1(SALU_CYCLE_1)
	s_add_i32 s4, s2, s13
	s_lshl_b64 s[4:5], s[4:5], 2
	s_delay_alu instid0(SALU_CYCLE_1)
	s_add_u32 s4, s26, s4
	s_addc_u32 s5, s27, s5
	s_load_b32 s34, s[4:5], 0x0
.LBB20_4:
	v_lshlrev_b32_e32 v25, 2, v0
	v_mbcnt_lo_u32_b32 v26, -1, 0
	s_lshl_b32 s13, s14, 6
	s_waitcnt lgkmcnt(0)
	s_cmp_lt_i32 s13, s34
	s_cbranch_scc1 .LBB20_6
; %bb.5:
	v_mbcnt_lo_u32_b32 v5, -1, 0
	v_mov_b32_e32 v3, 32
	s_mov_b32 s2, 0
	s_mov_b32 s4, 0xfeffffff
	s_delay_alu instid0(VALU_DEP_2)
	v_xor_b32_e32 v31, 16, v5
	v_xor_b32_e32 v30, 8, v5
	;; [unrolled: 1-line block ×5, first 2 shown]
	s_branch .LBB20_7
.LBB20_6:
	s_mov_b32 s2, -1
                                        ; implicit-def: $sgpr4
                                        ; implicit-def: $vgpr5
                                        ; implicit-def: $vgpr3
                                        ; implicit-def: $vgpr31
                                        ; implicit-def: $vgpr30
                                        ; implicit-def: $vgpr29
                                        ; implicit-def: $vgpr28
                                        ; implicit-def: $vgpr27
.LBB20_7:
	s_delay_alu instid0(SALU_CYCLE_1) | instskip(SKIP_2) | instid1(VALU_DEP_3)
	v_cndmask_b32_e64 v6, 0, 1, s2
	v_dual_mov_b32 v52, s2 :: v_dual_mov_b32 v7, s4
	v_dual_mov_b32 v32, s2 :: v_dual_mov_b32 v53, s2
	v_cmp_ne_u32_e32 vcc_lo, 1, v6
	v_dual_mov_b32 v54, s2 :: v_dual_mov_b32 v55, s2
	v_dual_mov_b32 v50, s2 :: v_dual_mov_b32 v51, s2
	;; [unrolled: 1-line block ×3, first 2 shown]
	s_cbranch_vccnz .LBB20_11
; %bb.8:
	s_clause 0x1
	s_load_b128 s[8:11], s[0:1], 0x98
	s_load_b64 s[4:5], s[0:1], 0x8c
	s_sub_i32 s2, 0, s35
	s_abs_i32 s16, s12
	s_mul_i32 s2, s2, s38
	s_ashr_i32 s26, s15, 31
	s_mul_hi_u32 s2, s38, s2
	s_ashr_i32 s27, s33, 31
	s_add_i32 s38, s38, s2
	s_ashr_i32 s2, s3, 1
	s_mul_hi_u32 s3, s16, s38
	s_ashr_i32 s17, s12, 31
	s_load_b64 s[22:23], s[0:1], 0xa8
	s_mul_i32 s38, s3, s35
	v_lshrrev_b32_e32 v3, 3, v0
	v_dual_mov_b32 v48, 0 :: v_dual_and_b32 v11, 28, v25
	v_dual_mov_b32 v49, 0 :: v_dual_lshlrev_b32 v12, 10, v2
	s_delay_alu instid0(VALU_DEP_3)
	v_lshl_add_u32 v3, v2, 2, v3
	s_waitcnt lgkmcnt(0)
	s_mul_i32 s39, s27, s8
	s_ashr_i32 s15, s4, 2
	s_mul_i32 s4, s33, s9
	s_mul_hi_u32 s9, s33, s8
	s_mul_i32 s8, s33, s8
	s_add_i32 s4, s9, s4
	s_ashr_i32 s10, s10, 2
	s_add_i32 s4, s4, s39
	s_add_u32 s8, s18, s8
	s_addc_u32 s4, s19, s4
	s_sub_i32 s16, s16, s38
	s_xor_b32 s9, s17, s26
	s_add_i32 s17, s3, 1
	s_sub_i32 s18, s16, s35
	s_cmp_ge_u32 s16, s35
	v_mul_lo_u32 v7, s10, v2
	s_cselect_b32 s3, s17, s3
	s_cselect_b32 s16, s18, s16
	s_add_i32 s17, s3, 1
	s_cmp_ge_u32 s16, s35
	v_mul_lo_u32 v5, s15, v3
	s_cselect_b32 s3, s17, s3
	s_mul_i32 s18, s33, s23
	s_xor_b32 s3, s3, s9
	v_ashrrev_i32_e32 v8, 31, v7
	s_sub_i32 s3, s3, s9
	s_mul_hi_u32 s9, s33, s22
	s_mul_i32 s5, s3, s5
	s_mul_i32 s27, s27, s22
	s_ashr_i32 s17, s5, 31
	s_add_u32 s16, s8, s5
	s_addc_u32 s17, s4, s17
	s_add_i32 s4, s9, s18
	s_mul_i32 s5, s33, s22
	v_lshlrev_b32_e32 v6, 2, v11
	v_lshlrev_b64 v[7:8], 2, v[7:8]
	s_add_i32 s4, s4, s27
	s_mul_i32 s3, s3, s11
	s_add_u32 s5, s20, s5
	s_addc_u32 s4, s21, s4
	s_ashr_i32 s8, s3, 31
	v_lshl_add_u32 v9, s15, 5, v5
	s_add_u32 s3, s5, s3
	v_dual_mov_b32 v54, 0 :: v_dual_lshlrev_b32 v13, 2, v25
	v_mad_u32_u24 v33, 0x90, v3, v6
	v_lshl_add_u32 v37, v2, 7, 0x4400
	v_mad_u64_u32 v[2:3], null, v4, s2, v[0:1]
	s_addc_u32 s4, s4, s8
	v_add_co_u32 v3, vcc_lo, s3, v7
	v_ashrrev_i32_e32 v6, 31, v5
	v_ashrrev_i32_e32 v10, 31, v9
	v_add_co_ci_u32_e32 v4, vcc_lo, s4, v8, vcc_lo
	v_dual_mov_b32 v52, 0 :: v_dual_add_nc_u32 v39, v12, v13
	v_dual_mov_b32 v32, 0 :: v_dual_lshlrev_b32 v41, 3, v0
	v_add_co_u32 v42, vcc_lo, v3, v13
	s_delay_alu instid0(VALU_DEP_4)
	v_add_co_ci_u32_e32 v43, vcc_lo, 0, v4, vcc_lo
	v_lshlrev_b64 v[3:4], 2, v[5:6]
	v_lshlrev_b64 v[5:6], 2, v[9:10]
	v_dual_mov_b32 v51, 0 :: v_dual_add_nc_u32 v34, 0x1200, v33
	v_dual_mov_b32 v50, 0 :: v_dual_add_nc_u32 v35, 0x2400, v12
	v_mul_u32_u24_e32 v36, 0x90, v0
	v_lshl_add_u32 v38, v0, 1, v37
	v_dual_mov_b32 v55, 0 :: v_dual_add_nc_u32 v40, 0x200, v39
	v_dual_mov_b32 v7, 0xfeffffff :: v_dual_lshlrev_b32 v44, 2, v11
	v_mov_b32_e32 v53, 0
	v_xor_b32_e32 v31, 16, v26
	v_xor_b32_e32 v30, 8, v26
	;; [unrolled: 1-line block ×5, first 2 shown]
	v_add_nc_u32_e32 v45, 0x800, v41
	v_add_nc_u32_e32 v46, 0x1000, v41
	;; [unrolled: 1-line block ×3, first 2 shown]
	s_add_u32 s4, s0, 0xd0
	s_addc_u32 s5, s1, 0
.LBB20_9:                               ; =>This Inner Loop Header: Depth=1
	v_cmp_gt_i32_e32 vcc_lo, 32, v31
	s_mul_hi_i32 s3, s13, s15
	s_mul_i32 s2, s13, s15
	s_mul_hi_i32 s9, s13, s10
	s_lshl_b64 s[2:3], s[2:3], 2
	v_cndmask_b32_e32 v9, v26, v31, vcc_lo
	v_cmp_gt_i32_e32 vcc_lo, 32, v30
	s_add_u32 s2, s16, s2
	s_mul_i32 s8, s13, s10
	s_addc_u32 s3, s17, s3
	s_or_b32 s11, s13, 8
	v_cndmask_b32_e32 v10, v26, v30, vcc_lo
	v_cmp_gt_i32_e32 vcc_lo, 32, v29
	s_lshl_b64 s[8:9], s[8:9], 2
	s_or_b32 s18, s13, 16
	v_dual_mov_b32 v56, v7 :: v_dual_mov_b32 v57, 0
	v_cndmask_b32_e32 v11, v26, v29, vcc_lo
	v_cmp_gt_i32_e32 vcc_lo, 32, v28
	v_lshlrev_b32_e32 v62, 2, v10
	v_dual_mov_b32 v58, 0 :: v_dual_lshlrev_b32 v63, 2, v9
	v_dual_cndmask_b32 v12, v26, v28 :: v_dual_add_nc_u32 v7, s13, v2
	v_cmp_gt_i32_e32 vcc_lo, 32, v27
	s_or_b32 s20, s13, 24
	s_or_b32 s22, s13, 32
	s_mul_hi_i32 s19, s20, s10
	v_lshlrev_b32_e32 v60, 2, v12
	v_lshlrev_b32_e32 v61, 2, v11
	v_cndmask_b32_e32 v13, v26, v27, vcc_lo
	v_add_co_u32 v9, vcc_lo, s2, v5
	v_add_co_u32 v21, s2, s2, v3
	s_delay_alu instid0(VALU_DEP_1)
	v_add_co_ci_u32_e64 v23, s2, s3, v4, s2
	v_add_co_ci_u32_e32 v64, vcc_lo, s3, v6, vcc_lo
	s_mul_hi_i32 s3, s11, s10
	s_mul_i32 s2, s11, s10
	v_add_co_u32 v16, vcc_lo, v42, s8
	s_lshl_b64 s[2:3], s[2:3], 2
	v_add_co_ci_u32_e32 v17, vcc_lo, s9, v43, vcc_lo
	s_mul_hi_i32 s9, s18, s10
	s_mul_i32 s8, s18, s10
	v_add_co_u32 v14, s2, v42, s2
	s_lshl_b64 s[8:9], s[8:9], 2
	s_mul_i32 s18, s20, s10
	v_add_co_ci_u32_e64 v15, s2, s3, v43, s2
	v_add_co_u32 v12, s2, v42, s8
	v_ashrrev_i32_e32 v8, 31, v7
	s_lshl_b64 s[18:19], s[18:19], 2
	v_lshlrev_b32_e32 v59, 2, v13
	s_mul_hi_i32 s21, s22, s10
	s_mul_i32 s20, s22, s10
	v_add_co_ci_u32_e64 v13, s2, s9, v43, s2
	v_add_co_u32 v10, s2, v42, s18
	s_lshl_b64 s[20:21], s[20:21], 2
	v_add_co_ci_u32_e64 v11, s2, s19, v43, s2
	v_lshlrev_b64 v[18:19], 1, v[7:8]
	v_add_co_u32 v8, s2, v42, s20
	v_add_co_u32 v20, vcc_lo, v9, v44
	v_add_co_ci_u32_e64 v9, s2, s21, v43, s2
	v_add_co_u32 v22, s2, v21, v44
	s_delay_alu instid0(VALU_DEP_1)
	v_add_co_ci_u32_e64 v23, s2, 0, v23, s2
	v_add_co_ci_u32_e32 v21, vcc_lo, 0, v64, vcc_lo
	s_clause 0x1
	global_load_b128 v[64:67], v[22:23], off
	global_load_b128 v[68:71], v[20:21], off
	v_add_co_u32 v18, vcc_lo, s36, v18
	v_add_co_ci_u32_e32 v19, vcc_lo, s37, v19, vcc_lo
	s_waitcnt vmcnt(1)
	ds_store_b128 v33, v[64:67]
	s_waitcnt vmcnt(0)
	ds_store_b128 v34, v[68:71]
	s_waitcnt lgkmcnt(0)
	s_barrier
	buffer_gl0_inv
	ds_load_b128 v[64:67], v36
	ds_load_b128 v[68:71], v35
	ds_load_b128 v[72:75], v36 offset:4608
	s_waitcnt lgkmcnt(1)
	;;#ASMSTART
	v_dot2_f32_f16 v57, v64, v68, v57
	;;#ASMEND
	;;#ASMSTART
	v_dot2_f32_f16 v57, v65, v69, v57
	;;#ASMEND
	;;#ASMSTART
	v_dot2_f32_f16 v57, v66, v70, v57
	;;#ASMEND
	;;#ASMSTART
	v_dot2_f32_f16 v57, v67, v71, v57
	;;#ASMEND
	s_waitcnt lgkmcnt(0)
	;;#ASMSTART
	v_dot2_f32_f16 v58, v72, v68, v58
	;;#ASMEND
	;;#ASMSTART
	v_dot2_f32_f16 v58, v73, v69, v58
	;;#ASMEND
	;;#ASMSTART
	v_dot2_f32_f16 v58, v74, v70, v58
	;;#ASMEND
	;;#ASMSTART
	v_dot2_f32_f16 v58, v75, v71, v58
	;;#ASMEND
	ds_load_b128 v[64:67], v36 offset:16
	ds_load_b128 v[68:71], v35 offset:16
	ds_load_b128 v[72:75], v36 offset:4624
	s_waitcnt lgkmcnt(1)
	;;#ASMSTART
	v_dot2_f32_f16 v57, v64, v68, v57
	;;#ASMEND
	;;#ASMSTART
	v_dot2_f32_f16 v57, v65, v69, v57
	;;#ASMEND
	;;#ASMSTART
	v_dot2_f32_f16 v57, v66, v70, v57
	;;#ASMEND
	;;#ASMSTART
	v_dot2_f32_f16 v57, v67, v71, v57
	;;#ASMEND
	s_waitcnt lgkmcnt(0)
	;;#ASMSTART
	v_dot2_f32_f16 v58, v72, v68, v58
	;;#ASMEND
	;;#ASMSTART
	v_dot2_f32_f16 v58, v73, v69, v58
	;;#ASMEND
	;;#ASMSTART
	v_dot2_f32_f16 v58, v74, v70, v58
	;;#ASMEND
	;;#ASMSTART
	v_dot2_f32_f16 v58, v75, v71, v58
	;;#ASMEND
	ds_load_b128 v[64:67], v36 offset:32
	ds_load_b128 v[68:71], v35 offset:32
	;; [unrolled: 29-line block ×7, first 2 shown]
	ds_load_b128 v[72:75], v36 offset:4720
	s_waitcnt lgkmcnt(1)
	;;#ASMSTART
	v_dot2_f32_f16 v57, v64, v68, v57
	;;#ASMEND
	;;#ASMSTART
	v_dot2_f32_f16 v57, v65, v69, v57
	;;#ASMEND
	;; [unrolled: 3-line block ×4, first 2 shown]
	s_waitcnt lgkmcnt(0)
	;;#ASMSTART
	v_dot2_f32_f16 v58, v72, v68, v58
	;;#ASMEND
	;;#ASMSTART
	v_dot2_f32_f16 v58, v73, v69, v58
	;;#ASMEND
	;; [unrolled: 3-line block ×4, first 2 shown]
	s_barrier
	buffer_gl0_inv
	s_clause 0x1
	global_load_b128 v[64:67], v[22:23], off offset:128
	global_load_b128 v[68:71], v[20:21], off offset:128
	s_waitcnt vmcnt(1)
	ds_store_b128 v33, v[64:67]
	s_waitcnt vmcnt(0)
	ds_store_b128 v34, v[68:71]
	s_waitcnt lgkmcnt(0)
	s_barrier
	buffer_gl0_inv
	ds_load_b128 v[64:67], v36
	ds_load_b128 v[68:71], v35 offset:128
	ds_load_b128 v[72:75], v36 offset:4608
	s_waitcnt lgkmcnt(1)
	;;#ASMSTART
	v_dot2_f32_f16 v57, v64, v68, v57
	;;#ASMEND
	;;#ASMSTART
	v_dot2_f32_f16 v57, v65, v69, v57
	;;#ASMEND
	;;#ASMSTART
	v_dot2_f32_f16 v57, v66, v70, v57
	;;#ASMEND
	;;#ASMSTART
	v_dot2_f32_f16 v57, v67, v71, v57
	;;#ASMEND
	s_waitcnt lgkmcnt(0)
	;;#ASMSTART
	v_dot2_f32_f16 v58, v72, v68, v58
	;;#ASMEND
	;;#ASMSTART
	v_dot2_f32_f16 v58, v73, v69, v58
	;;#ASMEND
	;;#ASMSTART
	v_dot2_f32_f16 v58, v74, v70, v58
	;;#ASMEND
	;;#ASMSTART
	v_dot2_f32_f16 v58, v75, v71, v58
	;;#ASMEND
	ds_load_b128 v[64:67], v36 offset:16
	ds_load_b128 v[68:71], v35 offset:144
	ds_load_b128 v[72:75], v36 offset:4624
	s_waitcnt lgkmcnt(1)
	;;#ASMSTART
	v_dot2_f32_f16 v57, v64, v68, v57
	;;#ASMEND
	;;#ASMSTART
	v_dot2_f32_f16 v57, v65, v69, v57
	;;#ASMEND
	;;#ASMSTART
	v_dot2_f32_f16 v57, v66, v70, v57
	;;#ASMEND
	;;#ASMSTART
	v_dot2_f32_f16 v57, v67, v71, v57
	;;#ASMEND
	s_waitcnt lgkmcnt(0)
	;;#ASMSTART
	v_dot2_f32_f16 v58, v72, v68, v58
	;;#ASMEND
	;;#ASMSTART
	v_dot2_f32_f16 v58, v73, v69, v58
	;;#ASMEND
	;;#ASMSTART
	v_dot2_f32_f16 v58, v74, v70, v58
	;;#ASMEND
	;;#ASMSTART
	v_dot2_f32_f16 v58, v75, v71, v58
	;;#ASMEND
	ds_load_b128 v[64:67], v36 offset:32
	;; [unrolled: 29-line block ×7, first 2 shown]
	ds_load_b128 v[68:71], v35 offset:240
	ds_load_b128 v[72:75], v36 offset:4720
	s_waitcnt lgkmcnt(1)
	;;#ASMSTART
	v_dot2_f32_f16 v57, v64, v68, v57
	;;#ASMEND
	;;#ASMSTART
	v_dot2_f32_f16 v57, v65, v69, v57
	;;#ASMEND
	;; [unrolled: 3-line block ×4, first 2 shown]
	s_waitcnt lgkmcnt(0)
	;;#ASMSTART
	v_dot2_f32_f16 v58, v72, v68, v58
	;;#ASMEND
	;;#ASMSTART
	v_dot2_f32_f16 v58, v73, v69, v58
	;;#ASMEND
	;; [unrolled: 3-line block ×4, first 2 shown]
	s_barrier
	buffer_gl0_inv
	s_clause 0x1
	global_load_b128 v[64:67], v[22:23], off offset:256
	global_load_b128 v[68:71], v[20:21], off offset:256
	s_waitcnt vmcnt(1)
	ds_store_b128 v33, v[64:67]
	s_waitcnt vmcnt(0)
	ds_store_b128 v34, v[68:71]
	s_waitcnt lgkmcnt(0)
	s_barrier
	buffer_gl0_inv
	ds_load_b128 v[64:67], v36
	ds_load_b128 v[68:71], v35 offset:256
	ds_load_b128 v[72:75], v36 offset:4608
	s_waitcnt lgkmcnt(1)
	;;#ASMSTART
	v_dot2_f32_f16 v57, v64, v68, v57
	;;#ASMEND
	;;#ASMSTART
	v_dot2_f32_f16 v57, v65, v69, v57
	;;#ASMEND
	;;#ASMSTART
	v_dot2_f32_f16 v57, v66, v70, v57
	;;#ASMEND
	;;#ASMSTART
	v_dot2_f32_f16 v57, v67, v71, v57
	;;#ASMEND
	s_waitcnt lgkmcnt(0)
	;;#ASMSTART
	v_dot2_f32_f16 v58, v72, v68, v58
	;;#ASMEND
	;;#ASMSTART
	v_dot2_f32_f16 v58, v73, v69, v58
	;;#ASMEND
	;;#ASMSTART
	v_dot2_f32_f16 v58, v74, v70, v58
	;;#ASMEND
	;;#ASMSTART
	v_dot2_f32_f16 v58, v75, v71, v58
	;;#ASMEND
	ds_load_b128 v[64:67], v36 offset:16
	ds_load_b128 v[68:71], v35 offset:272
	ds_load_b128 v[72:75], v36 offset:4624
	s_waitcnt lgkmcnt(1)
	;;#ASMSTART
	v_dot2_f32_f16 v57, v64, v68, v57
	;;#ASMEND
	;;#ASMSTART
	v_dot2_f32_f16 v57, v65, v69, v57
	;;#ASMEND
	;;#ASMSTART
	v_dot2_f32_f16 v57, v66, v70, v57
	;;#ASMEND
	;;#ASMSTART
	v_dot2_f32_f16 v57, v67, v71, v57
	;;#ASMEND
	s_waitcnt lgkmcnt(0)
	;;#ASMSTART
	v_dot2_f32_f16 v58, v72, v68, v58
	;;#ASMEND
	;;#ASMSTART
	v_dot2_f32_f16 v58, v73, v69, v58
	;;#ASMEND
	;;#ASMSTART
	v_dot2_f32_f16 v58, v74, v70, v58
	;;#ASMEND
	;;#ASMSTART
	v_dot2_f32_f16 v58, v75, v71, v58
	;;#ASMEND
	ds_load_b128 v[64:67], v36 offset:32
	ds_load_b128 v[68:71], v35 offset:288
	ds_load_b128 v[72:75], v36 offset:4640
	s_waitcnt lgkmcnt(1)
	;;#ASMSTART
	v_dot2_f32_f16 v57, v64, v68, v57
	;;#ASMEND
	;;#ASMSTART
	v_dot2_f32_f16 v57, v65, v69, v57
	;;#ASMEND
	;;#ASMSTART
	v_dot2_f32_f16 v57, v66, v70, v57
	;;#ASMEND
	;;#ASMSTART
	v_dot2_f32_f16 v57, v67, v71, v57
	;;#ASMEND
	s_waitcnt lgkmcnt(0)
	;;#ASMSTART
	v_dot2_f32_f16 v58, v72, v68, v58
	;;#ASMEND
	;;#ASMSTART
	v_dot2_f32_f16 v58, v73, v69, v58
	;;#ASMEND
	;;#ASMSTART
	v_dot2_f32_f16 v58, v74, v70, v58
	;;#ASMEND
	;;#ASMSTART
	v_dot2_f32_f16 v58, v75, v71, v58
	;;#ASMEND
	ds_load_b128 v[64:67], v36 offset:48
	ds_load_b128 v[68:71], v35 offset:304
	ds_load_b128 v[72:75], v36 offset:4656
	s_waitcnt lgkmcnt(1)
	;;#ASMSTART
	v_dot2_f32_f16 v57, v64, v68, v57
	;;#ASMEND
	;;#ASMSTART
	v_dot2_f32_f16 v57, v65, v69, v57
	;;#ASMEND
	;;#ASMSTART
	v_dot2_f32_f16 v57, v66, v70, v57
	;;#ASMEND
	;;#ASMSTART
	v_dot2_f32_f16 v57, v67, v71, v57
	;;#ASMEND
	s_waitcnt lgkmcnt(0)
	;;#ASMSTART
	v_dot2_f32_f16 v58, v72, v68, v58
	;;#ASMEND
	;;#ASMSTART
	v_dot2_f32_f16 v58, v73, v69, v58
	;;#ASMEND
	;;#ASMSTART
	v_dot2_f32_f16 v58, v74, v70, v58
	;;#ASMEND
	;;#ASMSTART
	v_dot2_f32_f16 v58, v75, v71, v58
	;;#ASMEND
	ds_load_b128 v[64:67], v36 offset:64
	ds_load_b128 v[68:71], v35 offset:320
	ds_load_b128 v[72:75], v36 offset:4672
	s_waitcnt lgkmcnt(1)
	;;#ASMSTART
	v_dot2_f32_f16 v57, v64, v68, v57
	;;#ASMEND
	;;#ASMSTART
	v_dot2_f32_f16 v57, v65, v69, v57
	;;#ASMEND
	;;#ASMSTART
	v_dot2_f32_f16 v57, v66, v70, v57
	;;#ASMEND
	;;#ASMSTART
	v_dot2_f32_f16 v57, v67, v71, v57
	;;#ASMEND
	s_waitcnt lgkmcnt(0)
	;;#ASMSTART
	v_dot2_f32_f16 v58, v72, v68, v58
	;;#ASMEND
	;;#ASMSTART
	v_dot2_f32_f16 v58, v73, v69, v58
	;;#ASMEND
	;;#ASMSTART
	v_dot2_f32_f16 v58, v74, v70, v58
	;;#ASMEND
	;;#ASMSTART
	v_dot2_f32_f16 v58, v75, v71, v58
	;;#ASMEND
	ds_load_b128 v[64:67], v36 offset:80
	ds_load_b128 v[68:71], v35 offset:336
	ds_load_b128 v[72:75], v36 offset:4688
	s_waitcnt lgkmcnt(1)
	;;#ASMSTART
	v_dot2_f32_f16 v57, v64, v68, v57
	;;#ASMEND
	;;#ASMSTART
	v_dot2_f32_f16 v57, v65, v69, v57
	;;#ASMEND
	;;#ASMSTART
	v_dot2_f32_f16 v57, v66, v70, v57
	;;#ASMEND
	;;#ASMSTART
	v_dot2_f32_f16 v57, v67, v71, v57
	;;#ASMEND
	s_waitcnt lgkmcnt(0)
	;;#ASMSTART
	v_dot2_f32_f16 v58, v72, v68, v58
	;;#ASMEND
	;;#ASMSTART
	v_dot2_f32_f16 v58, v73, v69, v58
	;;#ASMEND
	;;#ASMSTART
	v_dot2_f32_f16 v58, v74, v70, v58
	;;#ASMEND
	;;#ASMSTART
	v_dot2_f32_f16 v58, v75, v71, v58
	;;#ASMEND
	ds_load_b128 v[64:67], v36 offset:96
	ds_load_b128 v[68:71], v35 offset:352
	ds_load_b128 v[72:75], v36 offset:4704
	s_waitcnt lgkmcnt(1)
	;;#ASMSTART
	v_dot2_f32_f16 v57, v64, v68, v57
	;;#ASMEND
	;;#ASMSTART
	v_dot2_f32_f16 v57, v65, v69, v57
	;;#ASMEND
	;;#ASMSTART
	v_dot2_f32_f16 v57, v66, v70, v57
	;;#ASMEND
	;;#ASMSTART
	v_dot2_f32_f16 v57, v67, v71, v57
	;;#ASMEND
	s_waitcnt lgkmcnt(0)
	;;#ASMSTART
	v_dot2_f32_f16 v58, v72, v68, v58
	;;#ASMEND
	;;#ASMSTART
	v_dot2_f32_f16 v58, v73, v69, v58
	;;#ASMEND
	;;#ASMSTART
	v_dot2_f32_f16 v58, v74, v70, v58
	;;#ASMEND
	;;#ASMSTART
	v_dot2_f32_f16 v58, v75, v71, v58
	;;#ASMEND
	ds_load_b128 v[64:67], v36 offset:112
	ds_load_b128 v[68:71], v35 offset:368
	ds_load_b128 v[72:75], v36 offset:4720
	s_waitcnt lgkmcnt(1)
	;;#ASMSTART
	v_dot2_f32_f16 v57, v64, v68, v57
	;;#ASMEND
	;;#ASMSTART
	v_dot2_f32_f16 v57, v65, v69, v57
	;;#ASMEND
	;;#ASMSTART
	v_dot2_f32_f16 v57, v66, v70, v57
	;;#ASMEND
	;;#ASMSTART
	v_dot2_f32_f16 v57, v67, v71, v57
	;;#ASMEND
	s_waitcnt lgkmcnt(0)
	;;#ASMSTART
	v_dot2_f32_f16 v58, v72, v68, v58
	;;#ASMEND
	;;#ASMSTART
	v_dot2_f32_f16 v58, v73, v69, v58
	;;#ASMEND
	;; [unrolled: 3-line block ×4, first 2 shown]
	s_barrier
	buffer_gl0_inv
	s_clause 0x1
	global_load_b128 v[64:67], v[22:23], off offset:384
	global_load_b128 v[68:71], v[20:21], off offset:384
	s_waitcnt vmcnt(1)
	ds_store_b128 v33, v[64:67]
	s_waitcnt vmcnt(0)
	ds_store_b128 v34, v[68:71]
	s_waitcnt lgkmcnt(0)
	s_barrier
	buffer_gl0_inv
	ds_load_b128 v[64:67], v36
	ds_load_b128 v[68:71], v35 offset:384
	ds_load_b128 v[72:75], v36 offset:4608
	s_waitcnt lgkmcnt(1)
	;;#ASMSTART
	v_dot2_f32_f16 v57, v64, v68, v57
	;;#ASMEND
	;;#ASMSTART
	v_dot2_f32_f16 v57, v65, v69, v57
	;;#ASMEND
	;;#ASMSTART
	v_dot2_f32_f16 v57, v66, v70, v57
	;;#ASMEND
	;;#ASMSTART
	v_dot2_f32_f16 v57, v67, v71, v57
	;;#ASMEND
	s_waitcnt lgkmcnt(0)
	;;#ASMSTART
	v_dot2_f32_f16 v58, v72, v68, v58
	;;#ASMEND
	;;#ASMSTART
	v_dot2_f32_f16 v58, v73, v69, v58
	;;#ASMEND
	;;#ASMSTART
	v_dot2_f32_f16 v58, v74, v70, v58
	;;#ASMEND
	;;#ASMSTART
	v_dot2_f32_f16 v58, v75, v71, v58
	;;#ASMEND
	ds_load_b128 v[64:67], v36 offset:16
	ds_load_b128 v[68:71], v35 offset:400
	ds_load_b128 v[72:75], v36 offset:4624
	s_waitcnt lgkmcnt(1)
	;;#ASMSTART
	v_dot2_f32_f16 v57, v64, v68, v57
	;;#ASMEND
	;;#ASMSTART
	v_dot2_f32_f16 v57, v65, v69, v57
	;;#ASMEND
	;;#ASMSTART
	v_dot2_f32_f16 v57, v66, v70, v57
	;;#ASMEND
	;;#ASMSTART
	v_dot2_f32_f16 v57, v67, v71, v57
	;;#ASMEND
	s_waitcnt lgkmcnt(0)
	;;#ASMSTART
	v_dot2_f32_f16 v58, v72, v68, v58
	;;#ASMEND
	;;#ASMSTART
	v_dot2_f32_f16 v58, v73, v69, v58
	;;#ASMEND
	;;#ASMSTART
	v_dot2_f32_f16 v58, v74, v70, v58
	;;#ASMEND
	;;#ASMSTART
	v_dot2_f32_f16 v58, v75, v71, v58
	;;#ASMEND
	ds_load_b128 v[64:67], v36 offset:32
	;; [unrolled: 29-line block ×7, first 2 shown]
	ds_load_b128 v[68:71], v35 offset:496
	ds_load_b128 v[72:75], v36 offset:4720
	s_waitcnt lgkmcnt(1)
	;;#ASMSTART
	v_dot2_f32_f16 v57, v64, v68, v57
	;;#ASMEND
	;;#ASMSTART
	v_dot2_f32_f16 v57, v65, v69, v57
	;;#ASMEND
	;; [unrolled: 3-line block ×4, first 2 shown]
	s_waitcnt lgkmcnt(0)
	;;#ASMSTART
	v_dot2_f32_f16 v58, v72, v68, v58
	;;#ASMEND
	;;#ASMSTART
	v_dot2_f32_f16 v58, v73, v69, v58
	;;#ASMEND
	;; [unrolled: 3-line block ×4, first 2 shown]
	s_barrier
	buffer_gl0_inv
	s_clause 0x1
	global_load_b128 v[64:67], v[22:23], off offset:512
	global_load_b128 v[68:71], v[20:21], off offset:512
	s_waitcnt vmcnt(1)
	ds_store_b128 v33, v[64:67]
	s_waitcnt vmcnt(0)
	ds_store_b128 v34, v[68:71]
	s_waitcnt lgkmcnt(0)
	s_barrier
	buffer_gl0_inv
	ds_load_b128 v[64:67], v36
	ds_load_b128 v[68:71], v35 offset:512
	ds_load_b128 v[72:75], v36 offset:4608
	s_waitcnt lgkmcnt(1)
	;;#ASMSTART
	v_dot2_f32_f16 v57, v64, v68, v57
	;;#ASMEND
	;;#ASMSTART
	v_dot2_f32_f16 v57, v65, v69, v57
	;;#ASMEND
	;;#ASMSTART
	v_dot2_f32_f16 v57, v66, v70, v57
	;;#ASMEND
	;;#ASMSTART
	v_dot2_f32_f16 v57, v67, v71, v57
	;;#ASMEND
	s_waitcnt lgkmcnt(0)
	;;#ASMSTART
	v_dot2_f32_f16 v58, v72, v68, v58
	;;#ASMEND
	;;#ASMSTART
	v_dot2_f32_f16 v58, v73, v69, v58
	;;#ASMEND
	;;#ASMSTART
	v_dot2_f32_f16 v58, v74, v70, v58
	;;#ASMEND
	;;#ASMSTART
	v_dot2_f32_f16 v58, v75, v71, v58
	;;#ASMEND
	ds_load_b128 v[64:67], v36 offset:16
	ds_load_b128 v[68:71], v35 offset:528
	ds_load_b128 v[72:75], v36 offset:4624
	s_waitcnt lgkmcnt(1)
	;;#ASMSTART
	v_dot2_f32_f16 v57, v64, v68, v57
	;;#ASMEND
	;;#ASMSTART
	v_dot2_f32_f16 v57, v65, v69, v57
	;;#ASMEND
	;;#ASMSTART
	v_dot2_f32_f16 v57, v66, v70, v57
	;;#ASMEND
	;;#ASMSTART
	v_dot2_f32_f16 v57, v67, v71, v57
	;;#ASMEND
	s_waitcnt lgkmcnt(0)
	;;#ASMSTART
	v_dot2_f32_f16 v58, v72, v68, v58
	;;#ASMEND
	;;#ASMSTART
	v_dot2_f32_f16 v58, v73, v69, v58
	;;#ASMEND
	;;#ASMSTART
	v_dot2_f32_f16 v58, v74, v70, v58
	;;#ASMEND
	;;#ASMSTART
	v_dot2_f32_f16 v58, v75, v71, v58
	;;#ASMEND
	ds_load_b128 v[64:67], v36 offset:32
	;; [unrolled: 29-line block ×7, first 2 shown]
	ds_load_b128 v[68:71], v35 offset:624
	ds_load_b128 v[72:75], v36 offset:4720
	s_waitcnt lgkmcnt(1)
	;;#ASMSTART
	v_dot2_f32_f16 v57, v64, v68, v57
	;;#ASMEND
	;;#ASMSTART
	v_dot2_f32_f16 v57, v65, v69, v57
	;;#ASMEND
	;; [unrolled: 3-line block ×4, first 2 shown]
	s_waitcnt lgkmcnt(0)
	;;#ASMSTART
	v_dot2_f32_f16 v58, v72, v68, v58
	;;#ASMEND
	;;#ASMSTART
	v_dot2_f32_f16 v58, v73, v69, v58
	;;#ASMEND
	;; [unrolled: 3-line block ×4, first 2 shown]
	s_barrier
	buffer_gl0_inv
	s_clause 0x1
	global_load_b128 v[64:67], v[22:23], off offset:640
	global_load_b128 v[68:71], v[20:21], off offset:640
	s_waitcnt vmcnt(1)
	ds_store_b128 v33, v[64:67]
	s_waitcnt vmcnt(0)
	ds_store_b128 v34, v[68:71]
	s_waitcnt lgkmcnt(0)
	s_barrier
	buffer_gl0_inv
	ds_load_b128 v[64:67], v36
	ds_load_b128 v[68:71], v35 offset:640
	ds_load_b128 v[72:75], v36 offset:4608
	s_waitcnt lgkmcnt(1)
	;;#ASMSTART
	v_dot2_f32_f16 v57, v64, v68, v57
	;;#ASMEND
	;;#ASMSTART
	v_dot2_f32_f16 v57, v65, v69, v57
	;;#ASMEND
	;;#ASMSTART
	v_dot2_f32_f16 v57, v66, v70, v57
	;;#ASMEND
	;;#ASMSTART
	v_dot2_f32_f16 v57, v67, v71, v57
	;;#ASMEND
	s_waitcnt lgkmcnt(0)
	;;#ASMSTART
	v_dot2_f32_f16 v58, v72, v68, v58
	;;#ASMEND
	;;#ASMSTART
	v_dot2_f32_f16 v58, v73, v69, v58
	;;#ASMEND
	;;#ASMSTART
	v_dot2_f32_f16 v58, v74, v70, v58
	;;#ASMEND
	;;#ASMSTART
	v_dot2_f32_f16 v58, v75, v71, v58
	;;#ASMEND
	ds_load_b128 v[64:67], v36 offset:16
	ds_load_b128 v[68:71], v35 offset:656
	ds_load_b128 v[72:75], v36 offset:4624
	s_waitcnt lgkmcnt(1)
	;;#ASMSTART
	v_dot2_f32_f16 v57, v64, v68, v57
	;;#ASMEND
	;;#ASMSTART
	v_dot2_f32_f16 v57, v65, v69, v57
	;;#ASMEND
	;;#ASMSTART
	v_dot2_f32_f16 v57, v66, v70, v57
	;;#ASMEND
	;;#ASMSTART
	v_dot2_f32_f16 v57, v67, v71, v57
	;;#ASMEND
	s_waitcnt lgkmcnt(0)
	;;#ASMSTART
	v_dot2_f32_f16 v58, v72, v68, v58
	;;#ASMEND
	;;#ASMSTART
	v_dot2_f32_f16 v58, v73, v69, v58
	;;#ASMEND
	;;#ASMSTART
	v_dot2_f32_f16 v58, v74, v70, v58
	;;#ASMEND
	;;#ASMSTART
	v_dot2_f32_f16 v58, v75, v71, v58
	;;#ASMEND
	ds_load_b128 v[64:67], v36 offset:32
	ds_load_b128 v[68:71], v35 offset:672
	ds_load_b128 v[72:75], v36 offset:4640
	s_waitcnt lgkmcnt(1)
	;;#ASMSTART
	v_dot2_f32_f16 v57, v64, v68, v57
	;;#ASMEND
	;;#ASMSTART
	v_dot2_f32_f16 v57, v65, v69, v57
	;;#ASMEND
	;;#ASMSTART
	v_dot2_f32_f16 v57, v66, v70, v57
	;;#ASMEND
	;;#ASMSTART
	v_dot2_f32_f16 v57, v67, v71, v57
	;;#ASMEND
	s_waitcnt lgkmcnt(0)
	;;#ASMSTART
	v_dot2_f32_f16 v58, v72, v68, v58
	;;#ASMEND
	;;#ASMSTART
	v_dot2_f32_f16 v58, v73, v69, v58
	;;#ASMEND
	;;#ASMSTART
	v_dot2_f32_f16 v58, v74, v70, v58
	;;#ASMEND
	;;#ASMSTART
	v_dot2_f32_f16 v58, v75, v71, v58
	;;#ASMEND
	ds_load_b128 v[64:67], v36 offset:48
	ds_load_b128 v[68:71], v35 offset:688
	ds_load_b128 v[72:75], v36 offset:4656
	s_waitcnt lgkmcnt(1)
	;;#ASMSTART
	v_dot2_f32_f16 v57, v64, v68, v57
	;;#ASMEND
	;;#ASMSTART
	v_dot2_f32_f16 v57, v65, v69, v57
	;;#ASMEND
	;;#ASMSTART
	v_dot2_f32_f16 v57, v66, v70, v57
	;;#ASMEND
	;;#ASMSTART
	v_dot2_f32_f16 v57, v67, v71, v57
	;;#ASMEND
	s_waitcnt lgkmcnt(0)
	;;#ASMSTART
	v_dot2_f32_f16 v58, v72, v68, v58
	;;#ASMEND
	;;#ASMSTART
	v_dot2_f32_f16 v58, v73, v69, v58
	;;#ASMEND
	;;#ASMSTART
	v_dot2_f32_f16 v58, v74, v70, v58
	;;#ASMEND
	;;#ASMSTART
	v_dot2_f32_f16 v58, v75, v71, v58
	;;#ASMEND
	ds_load_b128 v[64:67], v36 offset:64
	ds_load_b128 v[68:71], v35 offset:704
	ds_load_b128 v[72:75], v36 offset:4672
	s_waitcnt lgkmcnt(1)
	;;#ASMSTART
	v_dot2_f32_f16 v57, v64, v68, v57
	;;#ASMEND
	;;#ASMSTART
	v_dot2_f32_f16 v57, v65, v69, v57
	;;#ASMEND
	;;#ASMSTART
	v_dot2_f32_f16 v57, v66, v70, v57
	;;#ASMEND
	;;#ASMSTART
	v_dot2_f32_f16 v57, v67, v71, v57
	;;#ASMEND
	s_waitcnt lgkmcnt(0)
	;;#ASMSTART
	v_dot2_f32_f16 v58, v72, v68, v58
	;;#ASMEND
	;;#ASMSTART
	v_dot2_f32_f16 v58, v73, v69, v58
	;;#ASMEND
	;;#ASMSTART
	v_dot2_f32_f16 v58, v74, v70, v58
	;;#ASMEND
	;;#ASMSTART
	v_dot2_f32_f16 v58, v75, v71, v58
	;;#ASMEND
	ds_load_b128 v[64:67], v36 offset:80
	ds_load_b128 v[68:71], v35 offset:720
	ds_load_b128 v[72:75], v36 offset:4688
	s_waitcnt lgkmcnt(1)
	;;#ASMSTART
	v_dot2_f32_f16 v57, v64, v68, v57
	;;#ASMEND
	;;#ASMSTART
	v_dot2_f32_f16 v57, v65, v69, v57
	;;#ASMEND
	;;#ASMSTART
	v_dot2_f32_f16 v57, v66, v70, v57
	;;#ASMEND
	;;#ASMSTART
	v_dot2_f32_f16 v57, v67, v71, v57
	;;#ASMEND
	s_waitcnt lgkmcnt(0)
	;;#ASMSTART
	v_dot2_f32_f16 v58, v72, v68, v58
	;;#ASMEND
	;;#ASMSTART
	v_dot2_f32_f16 v58, v73, v69, v58
	;;#ASMEND
	;;#ASMSTART
	v_dot2_f32_f16 v58, v74, v70, v58
	;;#ASMEND
	;;#ASMSTART
	v_dot2_f32_f16 v58, v75, v71, v58
	;;#ASMEND
	ds_load_b128 v[64:67], v36 offset:96
	ds_load_b128 v[68:71], v35 offset:736
	ds_load_b128 v[72:75], v36 offset:4704
	s_waitcnt lgkmcnt(1)
	;;#ASMSTART
	v_dot2_f32_f16 v57, v64, v68, v57
	;;#ASMEND
	;;#ASMSTART
	v_dot2_f32_f16 v57, v65, v69, v57
	;;#ASMEND
	;;#ASMSTART
	v_dot2_f32_f16 v57, v66, v70, v57
	;;#ASMEND
	;;#ASMSTART
	v_dot2_f32_f16 v57, v67, v71, v57
	;;#ASMEND
	s_waitcnt lgkmcnt(0)
	;;#ASMSTART
	v_dot2_f32_f16 v58, v72, v68, v58
	;;#ASMEND
	;;#ASMSTART
	v_dot2_f32_f16 v58, v73, v69, v58
	;;#ASMEND
	;;#ASMSTART
	v_dot2_f32_f16 v58, v74, v70, v58
	;;#ASMEND
	;;#ASMSTART
	v_dot2_f32_f16 v58, v75, v71, v58
	;;#ASMEND
	ds_load_b128 v[64:67], v36 offset:112
	ds_load_b128 v[68:71], v35 offset:752
	ds_load_b128 v[72:75], v36 offset:4720
	s_waitcnt lgkmcnt(1)
	;;#ASMSTART
	v_dot2_f32_f16 v57, v64, v68, v57
	;;#ASMEND
	;;#ASMSTART
	v_dot2_f32_f16 v57, v65, v69, v57
	;;#ASMEND
	;; [unrolled: 3-line block ×4, first 2 shown]
	s_waitcnt lgkmcnt(0)
	;;#ASMSTART
	v_dot2_f32_f16 v58, v72, v68, v58
	;;#ASMEND
	;;#ASMSTART
	v_dot2_f32_f16 v58, v73, v69, v58
	;;#ASMEND
	;; [unrolled: 3-line block ×4, first 2 shown]
	s_barrier
	buffer_gl0_inv
	s_clause 0x1
	global_load_b128 v[64:67], v[22:23], off offset:768
	global_load_b128 v[68:71], v[20:21], off offset:768
	s_waitcnt vmcnt(1)
	ds_store_b128 v33, v[64:67]
	s_waitcnt vmcnt(0)
	ds_store_b128 v34, v[68:71]
	s_waitcnt lgkmcnt(0)
	s_barrier
	buffer_gl0_inv
	ds_load_b128 v[64:67], v36
	ds_load_b128 v[68:71], v35 offset:768
	ds_load_b128 v[72:75], v36 offset:4608
	s_waitcnt lgkmcnt(1)
	;;#ASMSTART
	v_dot2_f32_f16 v57, v64, v68, v57
	;;#ASMEND
	;;#ASMSTART
	v_dot2_f32_f16 v57, v65, v69, v57
	;;#ASMEND
	;;#ASMSTART
	v_dot2_f32_f16 v57, v66, v70, v57
	;;#ASMEND
	;;#ASMSTART
	v_dot2_f32_f16 v57, v67, v71, v57
	;;#ASMEND
	s_waitcnt lgkmcnt(0)
	;;#ASMSTART
	v_dot2_f32_f16 v58, v72, v68, v58
	;;#ASMEND
	;;#ASMSTART
	v_dot2_f32_f16 v58, v73, v69, v58
	;;#ASMEND
	;;#ASMSTART
	v_dot2_f32_f16 v58, v74, v70, v58
	;;#ASMEND
	;;#ASMSTART
	v_dot2_f32_f16 v58, v75, v71, v58
	;;#ASMEND
	ds_load_b128 v[64:67], v36 offset:16
	ds_load_b128 v[68:71], v35 offset:784
	ds_load_b128 v[72:75], v36 offset:4624
	s_waitcnt lgkmcnt(1)
	;;#ASMSTART
	v_dot2_f32_f16 v57, v64, v68, v57
	;;#ASMEND
	;;#ASMSTART
	v_dot2_f32_f16 v57, v65, v69, v57
	;;#ASMEND
	;;#ASMSTART
	v_dot2_f32_f16 v57, v66, v70, v57
	;;#ASMEND
	;;#ASMSTART
	v_dot2_f32_f16 v57, v67, v71, v57
	;;#ASMEND
	s_waitcnt lgkmcnt(0)
	;;#ASMSTART
	v_dot2_f32_f16 v58, v72, v68, v58
	;;#ASMEND
	;;#ASMSTART
	v_dot2_f32_f16 v58, v73, v69, v58
	;;#ASMEND
	;;#ASMSTART
	v_dot2_f32_f16 v58, v74, v70, v58
	;;#ASMEND
	;;#ASMSTART
	v_dot2_f32_f16 v58, v75, v71, v58
	;;#ASMEND
	ds_load_b128 v[64:67], v36 offset:32
	;; [unrolled: 29-line block ×7, first 2 shown]
	ds_load_b128 v[68:71], v35 offset:880
	ds_load_b128 v[72:75], v36 offset:4720
	s_waitcnt lgkmcnt(1)
	;;#ASMSTART
	v_dot2_f32_f16 v57, v64, v68, v57
	;;#ASMEND
	;;#ASMSTART
	v_dot2_f32_f16 v57, v65, v69, v57
	;;#ASMEND
	;;#ASMSTART
	v_dot2_f32_f16 v57, v66, v70, v57
	;;#ASMEND
	;;#ASMSTART
	v_dot2_f32_f16 v57, v67, v71, v57
	;;#ASMEND
	s_waitcnt lgkmcnt(0)
	;;#ASMSTART
	v_dot2_f32_f16 v58, v72, v68, v58
	;;#ASMEND
	;;#ASMSTART
	v_dot2_f32_f16 v58, v73, v69, v58
	;;#ASMEND
	;; [unrolled: 3-line block ×4, first 2 shown]
	s_barrier
	buffer_gl0_inv
	s_clause 0x1
	global_load_b128 v[64:67], v[22:23], off offset:896
	global_load_b128 v[20:23], v[20:21], off offset:896
	s_waitcnt vmcnt(1)
	ds_store_b128 v33, v[64:67]
	s_waitcnt vmcnt(0)
	ds_store_b128 v34, v[20:23]
	s_waitcnt lgkmcnt(0)
	s_barrier
	buffer_gl0_inv
	ds_load_b128 v[20:23], v36
	ds_load_b128 v[64:67], v35 offset:896
	ds_load_b128 v[68:71], v36 offset:4608
	s_waitcnt lgkmcnt(1)
	;;#ASMSTART
	v_dot2_f32_f16 v57, v20, v64, v57
	;;#ASMEND
	;;#ASMSTART
	v_dot2_f32_f16 v57, v21, v65, v57
	;;#ASMEND
	;;#ASMSTART
	v_dot2_f32_f16 v57, v22, v66, v57
	;;#ASMEND
	;;#ASMSTART
	v_dot2_f32_f16 v57, v23, v67, v57
	;;#ASMEND
	s_waitcnt lgkmcnt(0)
	;;#ASMSTART
	v_dot2_f32_f16 v58, v68, v64, v58
	;;#ASMEND
	;;#ASMSTART
	v_dot2_f32_f16 v58, v69, v65, v58
	;;#ASMEND
	;;#ASMSTART
	v_dot2_f32_f16 v58, v70, v66, v58
	;;#ASMEND
	;;#ASMSTART
	v_dot2_f32_f16 v58, v71, v67, v58
	;;#ASMEND
	ds_load_b128 v[20:23], v36 offset:16
	ds_load_b128 v[64:67], v35 offset:912
	ds_load_b128 v[68:71], v36 offset:4624
	s_waitcnt lgkmcnt(1)
	;;#ASMSTART
	v_dot2_f32_f16 v57, v20, v64, v57
	;;#ASMEND
	;;#ASMSTART
	v_dot2_f32_f16 v57, v21, v65, v57
	;;#ASMEND
	;;#ASMSTART
	v_dot2_f32_f16 v57, v22, v66, v57
	;;#ASMEND
	;;#ASMSTART
	v_dot2_f32_f16 v57, v23, v67, v57
	;;#ASMEND
	s_waitcnt lgkmcnt(0)
	;;#ASMSTART
	v_dot2_f32_f16 v58, v68, v64, v58
	;;#ASMEND
	;;#ASMSTART
	v_dot2_f32_f16 v58, v69, v65, v58
	;;#ASMEND
	;;#ASMSTART
	v_dot2_f32_f16 v58, v70, v66, v58
	;;#ASMEND
	;;#ASMSTART
	v_dot2_f32_f16 v58, v71, v67, v58
	;;#ASMEND
	ds_load_b128 v[20:23], v36 offset:32
	;; [unrolled: 29-line block ×7, first 2 shown]
	ds_load_b128 v[64:67], v35 offset:1008
	ds_load_b128 v[68:71], v36 offset:4720
	s_waitcnt lgkmcnt(1)
	;;#ASMSTART
	v_dot2_f32_f16 v57, v20, v64, v57
	;;#ASMEND
	;;#ASMSTART
	v_dot2_f32_f16 v57, v21, v65, v57
	;;#ASMEND
	;; [unrolled: 3-line block ×4, first 2 shown]
	s_waitcnt lgkmcnt(0)
	;;#ASMSTART
	v_dot2_f32_f16 v58, v68, v64, v58
	;;#ASMEND
	;;#ASMSTART
	v_dot2_f32_f16 v58, v69, v65, v58
	;;#ASMEND
	;; [unrolled: 3-line block ×4, first 2 shown]
	s_clause 0x1
	flat_load_u16 v7, v[18:19]
	flat_load_u16 v18, v[18:19] offset:64
	s_waitcnt vmcnt(0) lgkmcnt(0)
	s_barrier
	buffer_gl0_inv
	s_clause 0x1
	global_load_b128 v[19:22], v[16:17], off
	global_load_b128 v[64:67], v[16:17], off offset:512
	v_cvt_f32_f16_e32 v7, v7
	v_cvt_f32_f16_e32 v16, v18
	s_delay_alu instid0(VALU_DEP_1) | instskip(NEXT) | instid1(VALU_DEP_1)
	v_dual_add_f32 v17, v57, v7 :: v_dual_add_f32 v16, v58, v16
	v_dual_add_f32 v7, 0x40051340, v17 :: v_dual_add_f32 v18, 0x40051340, v16
	s_delay_alu instid0(VALU_DEP_1) | instskip(SKIP_3) | instid1(VALU_DEP_1)
	v_max3_f32 v7, v56, v7, v18
	ds_bpermute_b32 v18, v63, v7
	s_waitcnt lgkmcnt(0)
	v_max_f32_e32 v18, v18, v18
	v_max_f32_e32 v7, v7, v18
	ds_bpermute_b32 v18, v62, v7
	s_waitcnt lgkmcnt(0)
	v_max_f32_e32 v18, v18, v18
	s_delay_alu instid0(VALU_DEP_1) | instskip(SKIP_3) | instid1(VALU_DEP_1)
	v_max_f32_e32 v7, v7, v18
	ds_bpermute_b32 v18, v61, v7
	s_waitcnt lgkmcnt(0)
	v_max_f32_e32 v18, v18, v18
	v_max_f32_e32 v7, v7, v18
	ds_bpermute_b32 v18, v60, v7
	s_waitcnt lgkmcnt(0)
	v_max_f32_e32 v18, v18, v18
	s_delay_alu instid0(VALU_DEP_1) | instskip(SKIP_3) | instid1(VALU_DEP_1)
	v_max_f32_e32 v7, v7, v18
	ds_bpermute_b32 v18, v59, v7
	s_waitcnt lgkmcnt(0)
	v_max_f32_e32 v18, v18, v18
	v_max_f32_e32 v7, v7, v18
	s_delay_alu instid0(VALU_DEP_1) | instskip(NEXT) | instid1(VALU_DEP_1)
	v_sub_f32_e32 v18, v56, v7
	v_dual_sub_f32 v16, v16, v7 :: v_dual_mul_f32 v57, 0x3fb8aa3b, v18
	s_delay_alu instid0(VALU_DEP_1) | instskip(SKIP_1) | instid1(VALU_DEP_3)
	v_mul_f32_e32 v56, 0x3fb8aa3b, v16
	v_cmp_ngt_f32_e32 vcc_lo, 0xc2ce8ed0, v16
	v_rndne_f32_e32 v63, v57
	s_delay_alu instid0(VALU_DEP_3) | instskip(SKIP_1) | instid1(VALU_DEP_2)
	v_fma_f32 v60, 0x3fb8aa3b, v16, -v56
	v_rndne_f32_e32 v61, v56
	v_fmac_f32_e32 v60, 0x32a5705f, v16
	s_delay_alu instid0(VALU_DEP_2) | instskip(SKIP_1) | instid1(VALU_DEP_2)
	v_sub_f32_e32 v56, v56, v61
	v_cvt_i32_f32_e32 v61, v61
	v_dual_add_f32 v56, v56, v60 :: v_dual_sub_f32 v17, v17, v7
	s_delay_alu instid0(VALU_DEP_1) | instskip(NEXT) | instid1(VALU_DEP_1)
	v_exp_f32_e32 v56, v56
	v_mul_f32_e32 v23, 0x3fb8aa3b, v17
	v_cmp_ngt_f32_e64 s3, 0xc2ce8ed0, v17
	s_delay_alu instid0(VALU_DEP_2)
	v_fma_f32 v58, 0x3fb8aa3b, v17, -v23
	v_rndne_f32_e32 v59, v23
	s_waitcnt_depctr 0xfff
	v_ldexp_f32 v56, v56, v61
	v_dual_fmac_f32 v58, 0x32a5705f, v17 :: v_dual_sub_f32 v23, v23, v59
	v_cvt_i32_f32_e32 v59, v59
	s_delay_alu instid0(VALU_DEP_3) | instskip(SKIP_1) | instid1(VALU_DEP_4)
	v_cndmask_b32_e32 v56, 0, v56, vcc_lo
	v_cmp_nlt_f32_e32 vcc_lo, 0x42b17218, v16
	v_add_f32_e32 v23, v23, v58
	v_fma_f32 v62, 0x3fb8aa3b, v18, -v57
	v_sub_f32_e32 v57, v57, v63
	v_cvt_i32_f32_e32 v63, v63
	v_cmp_ngt_f32_e64 s2, 0xc2ce8ed0, v18
	v_exp_f32_e32 v23, v23
	v_fmac_f32_e32 v62, 0x32a5705f, v18
	s_delay_alu instid0(VALU_DEP_1) | instskip(SKIP_3) | instid1(VALU_DEP_1)
	v_add_f32_e32 v57, v57, v62
	s_waitcnt_depctr 0xfff
	v_ldexp_f32 v23, v23, v59
	v_exp_f32_e32 v57, v57
	v_cndmask_b32_e64 v23, 0, v23, s3
	v_cmp_nlt_f32_e64 s3, 0x42b17218, v17
	s_waitcnt_depctr 0xfff
	v_ldexp_f32 v57, v57, v63
	v_cndmask_b32_e64 v17, 0x7f800000, v23, s3
	s_delay_alu instid0(VALU_DEP_2) | instskip(SKIP_2) | instid1(VALU_DEP_4)
	v_cndmask_b32_e64 v16, 0, v57, s2
	v_cmp_nlt_f32_e64 s2, 0x42b17218, v18
	v_cndmask_b32_e32 v18, 0x7f800000, v56, vcc_lo
	v_cvt_f16_f32_e32 v23, v17
	s_delay_alu instid0(VALU_DEP_3) | instskip(NEXT) | instid1(VALU_DEP_3)
	v_cndmask_b32_e64 v16, 0x7f800000, v16, s2
	v_cvt_f16_f32_e32 v56, v18
	ds_store_b16 v38, v23
	ds_store_b16 v38, v56 offset:64
	s_waitcnt vmcnt(1)
	ds_store_b128 v39, v[19:22]
	s_waitcnt vmcnt(0)
	ds_store_b128 v40, v[64:67]
	s_waitcnt lgkmcnt(0)
	s_barrier
	buffer_gl0_inv
	ds_load_2addr_b64 v[19:22], v41 offset1:32
	ds_load_b128 v[56:59], v37
	ds_load_2addr_b64 v[60:63], v41 offset0:64 offset1:96
	v_cvt_f16_f32_e32 v88, v16
	ds_load_2addr_b64 v[64:67], v41 offset0:192 offset1:224
	s_or_b32 s2, s13, 40
	s_delay_alu instid0(SALU_CYCLE_1)
	s_mul_hi_i32 s3, s2, s10
	v_pk_mul_f16 v23, v88, v53 op_sel_hi:[0,1]
	v_pk_mul_f16 v53, v88, v55 op_sel_hi:[0,1]
	;; [unrolled: 1-line block ×6, first 2 shown]
	ds_load_2addr_b64 v[48:51], v41 offset0:128 offset1:160
	ds_load_2addr_b64 v[68:71], v45 offset1:32
	ds_load_2addr_b64 v[72:75], v45 offset0:64 offset1:96
	ds_load_2addr_b64 v[76:79], v45 offset0:128 offset1:160
	;; [unrolled: 1-line block ×3, first 2 shown]
	ds_load_2addr_b64 v[84:87], v46 offset1:32
	s_mul_i32 s2, s2, s10
	s_delay_alu instid0(SALU_CYCLE_1)
	s_lshl_b64 s[2:3], s[2:3], 2
	s_waitcnt lgkmcnt(8)
	v_pk_mul_f16 v92, v19, v56 op_sel_hi:[1,0]
	v_pk_mul_f16 v93, v20, v56 op_sel_hi:[1,0]
	v_pk_fma_f16 v23, v21, v56, v23 op_sel_hi:[1,0,1]
	v_pk_fma_f16 v53, v22, v56, v53 op_sel_hi:[1,0,1]
	s_waitcnt lgkmcnt(7)
	v_pk_fma_f16 v55, v60, v56, v55 op_sel_hi:[1,0,1]
	v_pk_fma_f16 v89, v61, v56, v89 op_sel_hi:[1,0,1]
	;; [unrolled: 1-line block ×6, first 2 shown]
	s_waitcnt lgkmcnt(6)
	v_pk_fma_f16 v55, v64, v56, v55 op_sel:[0,1,0]
	v_pk_fma_f16 v89, v65, v56, v89 op_sel:[0,1,0]
	;; [unrolled: 1-line block ×4, first 2 shown]
	s_waitcnt lgkmcnt(5)
	v_pk_fma_f16 v23, v50, v56, v23 op_sel:[0,1,0]
	v_pk_fma_f16 v88, v51, v56, v53 op_sel:[0,1,0]
	;; [unrolled: 1-line block ×4, first 2 shown]
	s_waitcnt lgkmcnt(3)
	v_pk_fma_f16 v72, v72, v57, v55 op_sel_hi:[1,0,1]
	v_pk_fma_f16 v73, v73, v57, v89 op_sel_hi:[1,0,1]
	;; [unrolled: 1-line block ×8, first 2 shown]
	ds_load_2addr_b64 v[19:22], v46 offset0:64 offset1:96
	ds_load_2addr_b64 v[60:63], v46 offset0:128 offset1:160
	;; [unrolled: 1-line block ×3, first 2 shown]
	ds_load_2addr_b64 v[48:51], v47 offset1:32
	ds_load_2addr_b64 v[52:55], v47 offset0:64 offset1:96
	ds_load_2addr_b64 v[68:71], v47 offset0:128 offset1:160
	s_waitcnt lgkmcnt(7)
	v_pk_fma_f16 v90, v80, v57, v72 op_sel:[0,1,0]
	v_pk_fma_f16 v91, v81, v57, v73 op_sel:[0,1,0]
	;; [unrolled: 1-line block ×4, first 2 shown]
	ds_load_2addr_b64 v[72:75], v47 offset0:192 offset1:224
	s_waitcnt lgkmcnt(0)
	s_barrier
	buffer_gl0_inv
	v_pk_fma_f16 v23, v78, v57, v23 op_sel:[0,1,0]
	v_pk_fma_f16 v88, v79, v57, v88 op_sel:[0,1,0]
	;; [unrolled: 1-line block ×4, first 2 shown]
	s_clause 0x1
	global_load_b128 v[76:79], v[14:15], off
	global_load_b128 v[80:83], v[14:15], off offset:512
	v_pk_fma_f16 v14, v86, v58, v23 op_sel_hi:[1,0,1]
	v_pk_fma_f16 v15, v87, v58, v88 op_sel_hi:[1,0,1]
	;; [unrolled: 1-line block ×8, first 2 shown]
	v_pk_fma_f16 v14, v62, v58, v14 op_sel:[0,1,0]
	v_pk_fma_f16 v15, v63, v58, v15 op_sel:[0,1,0]
	;; [unrolled: 1-line block ×8, first 2 shown]
	v_pk_fma_f16 v14, v50, v59, v14 op_sel_hi:[1,0,1]
	v_pk_fma_f16 v15, v51, v59, v15 op_sel_hi:[1,0,1]
	;; [unrolled: 1-line block ×8, first 2 shown]
	v_pk_fma_f16 v14, v70, v59, v14 op_sel:[0,1,0]
	v_pk_fma_f16 v15, v71, v59, v15 op_sel:[0,1,0]
	;; [unrolled: 1-line block ×8, first 2 shown]
	s_waitcnt vmcnt(1)
	ds_store_b128 v39, v[76:79]
	s_waitcnt vmcnt(0)
	ds_store_b128 v40, v[80:83]
	s_waitcnt lgkmcnt(0)
	s_barrier
	buffer_gl0_inv
	ds_load_2addr_b64 v[19:22], v41 offset1:32
	ds_load_b128 v[48:51], v37 offset:16
	ds_load_2addr_b64 v[52:55], v41 offset0:64 offset1:96
	ds_load_2addr_b64 v[56:59], v41 offset0:128 offset1:160
	;; [unrolled: 1-line block ×3, first 2 shown]
	ds_load_2addr_b64 v[64:67], v45 offset1:32
	ds_load_2addr_b64 v[68:71], v45 offset0:64 offset1:96
	ds_load_2addr_b64 v[72:75], v45 offset0:128 offset1:160
	;; [unrolled: 1-line block ×3, first 2 shown]
	ds_load_2addr_b64 v[80:83], v46 offset1:32
	ds_load_2addr_b64 v[84:87], v46 offset0:64 offset1:96
	s_waitcnt lgkmcnt(9)
	v_pk_fma_f16 v23, v19, v48, v23 op_sel_hi:[1,0,1]
	v_pk_fma_f16 v92, v20, v48, v92 op_sel_hi:[1,0,1]
	;; [unrolled: 1-line block ×4, first 2 shown]
	s_waitcnt lgkmcnt(8)
	v_pk_fma_f16 v88, v52, v48, v88 op_sel_hi:[1,0,1]
	v_pk_fma_f16 v89, v53, v48, v89 op_sel_hi:[1,0,1]
	;; [unrolled: 1-line block ×4, first 2 shown]
	s_waitcnt lgkmcnt(7)
	v_pk_fma_f16 v23, v56, v48, v23 op_sel:[0,1,0]
	v_pk_fma_f16 v92, v57, v48, v92 op_sel:[0,1,0]
	;; [unrolled: 1-line block ×4, first 2 shown]
	s_waitcnt lgkmcnt(6)
	v_pk_fma_f16 v88, v60, v48, v88 op_sel:[0,1,0]
	v_pk_fma_f16 v89, v61, v48, v89 op_sel:[0,1,0]
	;; [unrolled: 1-line block ×4, first 2 shown]
	s_waitcnt lgkmcnt(5)
	v_pk_fma_f16 v23, v64, v49, v23 op_sel_hi:[1,0,1]
	v_pk_fma_f16 v91, v65, v49, v92 op_sel_hi:[1,0,1]
	;; [unrolled: 1-line block ×4, first 2 shown]
	ds_load_2addr_b64 v[19:22], v46 offset0:128 offset1:160
	ds_load_2addr_b64 v[52:55], v46 offset0:192 offset1:224
	ds_load_2addr_b64 v[56:59], v47 offset1:32
	ds_load_2addr_b64 v[60:63], v47 offset0:64 offset1:96
	ds_load_2addr_b64 v[64:67], v47 offset0:128 offset1:160
	s_waitcnt lgkmcnt(9)
	v_pk_fma_f16 v88, v68, v49, v88 op_sel_hi:[1,0,1]
	v_pk_fma_f16 v89, v69, v49, v89 op_sel_hi:[1,0,1]
	;; [unrolled: 1-line block ×4, first 2 shown]
	ds_load_2addr_b64 v[68:71], v47 offset0:192 offset1:224
	s_waitcnt lgkmcnt(0)
	s_barrier
	buffer_gl0_inv
	v_pk_fma_f16 v23, v72, v49, v23 op_sel:[0,1,0]
	v_pk_fma_f16 v91, v73, v49, v91 op_sel:[0,1,0]
	;; [unrolled: 1-line block ×4, first 2 shown]
	s_clause 0x1
	global_load_b128 v[72:75], v[12:13], off
	global_load_b128 v[12:15], v[12:13], off offset:512
	v_pk_fma_f16 v76, v76, v49, v88 op_sel:[0,1,0]
	v_pk_fma_f16 v77, v77, v49, v89 op_sel:[0,1,0]
	;; [unrolled: 1-line block ×4, first 2 shown]
	v_pk_fma_f16 v23, v80, v50, v23 op_sel_hi:[1,0,1]
	v_pk_fma_f16 v49, v81, v50, v91 op_sel_hi:[1,0,1]
	;; [unrolled: 1-line block ×8, first 2 shown]
	v_pk_fma_f16 v19, v19, v50, v23 op_sel:[0,1,0]
	v_pk_fma_f16 v20, v20, v50, v49 op_sel:[0,1,0]
	;; [unrolled: 1-line block ×8, first 2 shown]
	v_pk_fma_f16 v19, v56, v51, v19 op_sel_hi:[1,0,1]
	v_pk_fma_f16 v20, v57, v51, v20 op_sel_hi:[1,0,1]
	;; [unrolled: 1-line block ×8, first 2 shown]
	v_pk_fma_f16 v84, v64, v51, v19 op_sel:[0,1,0]
	v_pk_fma_f16 v85, v65, v51, v20 op_sel:[0,1,0]
	;; [unrolled: 1-line block ×8, first 2 shown]
	s_waitcnt vmcnt(1)
	ds_store_b128 v39, v[72:75]
	s_waitcnt vmcnt(0)
	ds_store_b128 v40, v[12:15]
	s_waitcnt lgkmcnt(0)
	s_barrier
	buffer_gl0_inv
	ds_load_2addr_b64 v[12:15], v41 offset1:32
	ds_load_b128 v[19:22], v37 offset:32
	ds_load_2addr_b64 v[48:51], v41 offset0:64 offset1:96
	ds_load_2addr_b64 v[52:55], v41 offset0:128 offset1:160
	;; [unrolled: 1-line block ×3, first 2 shown]
	ds_load_2addr_b64 v[60:63], v45 offset1:32
	ds_load_2addr_b64 v[64:67], v45 offset0:64 offset1:96
	ds_load_2addr_b64 v[68:71], v45 offset0:128 offset1:160
	;; [unrolled: 1-line block ×3, first 2 shown]
	ds_load_2addr_b64 v[76:79], v46 offset1:32
	ds_load_2addr_b64 v[80:83], v46 offset0:64 offset1:96
	s_waitcnt lgkmcnt(9)
	v_pk_fma_f16 v84, v12, v19, v84 op_sel_hi:[1,0,1]
	v_pk_fma_f16 v85, v13, v19, v85 op_sel_hi:[1,0,1]
	;; [unrolled: 1-line block ×4, first 2 shown]
	s_waitcnt lgkmcnt(8)
	v_pk_fma_f16 v23, v48, v19, v23 op_sel_hi:[1,0,1]
	v_pk_fma_f16 v88, v49, v19, v88 op_sel_hi:[1,0,1]
	;; [unrolled: 1-line block ×4, first 2 shown]
	s_waitcnt lgkmcnt(7)
	v_pk_fma_f16 v84, v52, v19, v84 op_sel:[0,1,0]
	v_pk_fma_f16 v85, v53, v19, v85 op_sel:[0,1,0]
	;; [unrolled: 1-line block ×4, first 2 shown]
	s_waitcnt lgkmcnt(6)
	v_pk_fma_f16 v23, v56, v19, v23 op_sel:[0,1,0]
	v_pk_fma_f16 v88, v57, v19, v88 op_sel:[0,1,0]
	;; [unrolled: 1-line block ×4, first 2 shown]
	s_waitcnt lgkmcnt(5)
	v_pk_fma_f16 v84, v60, v20, v84 op_sel_hi:[1,0,1]
	v_pk_fma_f16 v85, v61, v20, v85 op_sel_hi:[1,0,1]
	;; [unrolled: 1-line block ×4, first 2 shown]
	ds_load_2addr_b64 v[12:15], v46 offset0:128 offset1:160
	ds_load_2addr_b64 v[48:51], v46 offset0:192 offset1:224
	ds_load_2addr_b64 v[52:55], v47 offset1:32
	ds_load_2addr_b64 v[56:59], v47 offset0:64 offset1:96
	ds_load_2addr_b64 v[60:63], v47 offset0:128 offset1:160
	s_waitcnt lgkmcnt(9)
	v_pk_fma_f16 v23, v64, v20, v23 op_sel_hi:[1,0,1]
	v_pk_fma_f16 v88, v65, v20, v88 op_sel_hi:[1,0,1]
	;; [unrolled: 1-line block ×4, first 2 shown]
	ds_load_2addr_b64 v[64:67], v47 offset0:192 offset1:224
	s_waitcnt lgkmcnt(0)
	s_barrier
	buffer_gl0_inv
	v_pk_fma_f16 v90, v68, v20, v84 op_sel:[0,1,0]
	v_pk_fma_f16 v91, v69, v20, v85 op_sel:[0,1,0]
	;; [unrolled: 1-line block ×4, first 2 shown]
	s_clause 0x1
	global_load_b128 v[68:71], v[10:11], off
	global_load_b128 v[84:87], v[10:11], off offset:512
	v_pk_fma_f16 v10, v72, v20, v23 op_sel:[0,1,0]
	v_pk_fma_f16 v11, v73, v20, v88 op_sel:[0,1,0]
	;; [unrolled: 1-line block ×4, first 2 shown]
	v_pk_fma_f16 v20, v76, v21, v90 op_sel_hi:[1,0,1]
	v_pk_fma_f16 v72, v77, v21, v91 op_sel_hi:[1,0,1]
	;; [unrolled: 1-line block ×8, first 2 shown]
	v_pk_fma_f16 v12, v12, v21, v20 op_sel:[0,1,0]
	v_pk_fma_f16 v13, v13, v21, v72 op_sel:[0,1,0]
	;; [unrolled: 1-line block ×8, first 2 shown]
	v_pk_fma_f16 v12, v52, v22, v12 op_sel_hi:[1,0,1]
	v_pk_fma_f16 v13, v53, v22, v13 op_sel_hi:[1,0,1]
	v_pk_fma_f16 v14, v54, v22, v14 op_sel_hi:[1,0,1]
	v_pk_fma_f16 v15, v55, v22, v15 op_sel_hi:[1,0,1]
	v_pk_fma_f16 v10, v56, v22, v10 op_sel_hi:[1,0,1]
	v_pk_fma_f16 v11, v57, v22, v11 op_sel_hi:[1,0,1]
	v_pk_fma_f16 v20, v58, v22, v20 op_sel_hi:[1,0,1]
	v_pk_fma_f16 v19, v59, v22, v19 op_sel_hi:[1,0,1]
	v_pk_fma_f16 v23, v60, v22, v12 op_sel:[0,1,0]
	v_pk_fma_f16 v88, v61, v22, v13 op_sel:[0,1,0]
	;; [unrolled: 1-line block ×8, first 2 shown]
	s_waitcnt vmcnt(1)
	ds_store_b128 v39, v[68:71]
	s_waitcnt vmcnt(0)
	ds_store_b128 v40, v[84:87]
	s_waitcnt lgkmcnt(0)
	s_barrier
	buffer_gl0_inv
	ds_load_2addr_b64 v[10:13], v41 offset1:32
	ds_load_b128 v[19:22], v37 offset:48
	ds_load_2addr_b64 v[48:51], v41 offset0:64 offset1:96
	ds_load_2addr_b64 v[52:55], v41 offset0:128 offset1:160
	;; [unrolled: 1-line block ×3, first 2 shown]
	ds_load_2addr_b64 v[60:63], v45 offset1:32
	ds_load_2addr_b64 v[64:67], v45 offset0:64 offset1:96
	ds_load_2addr_b64 v[68:71], v45 offset0:128 offset1:160
	;; [unrolled: 1-line block ×3, first 2 shown]
	ds_load_2addr_b64 v[76:79], v46 offset1:32
	ds_load_2addr_b64 v[80:83], v46 offset0:64 offset1:96
	ds_load_2addr_b64 v[84:87], v46 offset0:128 offset1:160
	s_waitcnt lgkmcnt(10)
	v_pk_fma_f16 v23, v10, v19, v23 op_sel_hi:[1,0,1]
	v_pk_fma_f16 v88, v11, v19, v88 op_sel_hi:[1,0,1]
	;; [unrolled: 1-line block ×4, first 2 shown]
	s_waitcnt lgkmcnt(9)
	v_pk_fma_f16 v89, v48, v19, v89 op_sel_hi:[1,0,1]
	v_pk_fma_f16 v90, v49, v19, v90 op_sel_hi:[1,0,1]
	;; [unrolled: 1-line block ×4, first 2 shown]
	s_waitcnt lgkmcnt(8)
	v_pk_fma_f16 v23, v52, v19, v23 op_sel:[0,1,0]
	v_pk_fma_f16 v88, v53, v19, v88 op_sel:[0,1,0]
	v_pk_fma_f16 v14, v54, v19, v14 op_sel:[0,1,0]
	v_pk_fma_f16 v15, v55, v19, v15 op_sel:[0,1,0]
	s_waitcnt lgkmcnt(7)
	v_pk_fma_f16 v89, v56, v19, v89 op_sel:[0,1,0]
	v_pk_fma_f16 v90, v57, v19, v90 op_sel:[0,1,0]
	;; [unrolled: 1-line block ×4, first 2 shown]
	s_waitcnt lgkmcnt(6)
	v_pk_fma_f16 v23, v60, v20, v23 op_sel_hi:[1,0,1]
	v_pk_fma_f16 v88, v61, v20, v88 op_sel_hi:[1,0,1]
	;; [unrolled: 1-line block ×4, first 2 shown]
	ds_load_2addr_b64 v[10:13], v46 offset0:192 offset1:224
	ds_load_2addr_b64 v[48:51], v47 offset1:32
	ds_load_2addr_b64 v[52:55], v47 offset0:64 offset1:96
	ds_load_2addr_b64 v[56:59], v47 offset0:128 offset1:160
	;; [unrolled: 1-line block ×3, first 2 shown]
	s_waitcnt lgkmcnt(0)
	s_barrier
	buffer_gl0_inv
	v_pk_fma_f16 v92, v64, v20, v89 op_sel_hi:[1,0,1]
	v_pk_fma_f16 v90, v65, v20, v90 op_sel_hi:[1,0,1]
	;; [unrolled: 1-line block ×4, first 2 shown]
	global_load_b128 v[64:67], v[8:9], off
	v_pk_fma_f16 v23, v68, v20, v23 op_sel:[0,1,0]
	v_pk_fma_f16 v93, v69, v20, v88 op_sel:[0,1,0]
	;; [unrolled: 1-line block ×4, first 2 shown]
	global_load_b128 v[68:71], v[8:9], off offset:512
	v_pk_fma_f16 v8, v72, v20, v92 op_sel:[0,1,0]
	v_pk_fma_f16 v9, v73, v20, v90 op_sel:[0,1,0]
	;; [unrolled: 1-line block ×4, first 2 shown]
	v_pk_fma_f16 v20, v76, v21, v23 op_sel_hi:[1,0,1]
	v_pk_fma_f16 v23, v77, v21, v93 op_sel_hi:[1,0,1]
	;; [unrolled: 1-line block ×8, first 2 shown]
	v_pk_fma_f16 v20, v84, v21, v20 op_sel:[0,1,0]
	v_pk_fma_f16 v23, v85, v21, v23 op_sel:[0,1,0]
	;; [unrolled: 1-line block ×8, first 2 shown]
	v_pk_fma_f16 v12, v48, v22, v20 op_sel_hi:[1,0,1]
	v_pk_fma_f16 v13, v49, v22, v23 op_sel_hi:[1,0,1]
	v_pk_fma_f16 v14, v50, v22, v14 op_sel_hi:[1,0,1]
	v_pk_fma_f16 v15, v51, v22, v15 op_sel_hi:[1,0,1]
	v_pk_fma_f16 v8, v52, v22, v8 op_sel_hi:[1,0,1]
	v_pk_fma_f16 v9, v53, v22, v9 op_sel_hi:[1,0,1]
	v_pk_fma_f16 v10, v54, v22, v10 op_sel_hi:[1,0,1]
	v_pk_fma_f16 v11, v55, v22, v11 op_sel_hi:[1,0,1]
	v_pk_fma_f16 v23, v56, v22, v12 op_sel:[0,1,0]
	v_pk_fma_f16 v84, v57, v22, v13 op_sel:[0,1,0]
	;; [unrolled: 1-line block ×8, first 2 shown]
	s_waitcnt vmcnt(1)
	ds_store_b128 v39, v[64:67]
	s_waitcnt vmcnt(0)
	ds_store_b128 v40, v[68:71]
	s_waitcnt lgkmcnt(0)
	s_barrier
	buffer_gl0_inv
	ds_load_2addr_b64 v[8:11], v41 offset1:32
	ds_load_b128 v[12:15], v37 offset:64
	ds_load_2addr_b64 v[19:22], v41 offset0:64 offset1:96
	ds_load_2addr_b64 v[48:51], v41 offset0:128 offset1:160
	;; [unrolled: 1-line block ×3, first 2 shown]
	ds_load_2addr_b64 v[56:59], v45 offset1:32
	ds_load_2addr_b64 v[60:63], v45 offset0:64 offset1:96
	ds_load_2addr_b64 v[64:67], v45 offset0:128 offset1:160
	;; [unrolled: 1-line block ×3, first 2 shown]
	ds_load_2addr_b64 v[72:75], v46 offset1:32
	ds_load_2addr_b64 v[76:79], v46 offset0:64 offset1:96
	ds_load_2addr_b64 v[80:83], v46 offset0:128 offset1:160
	v_add_co_u32 v88, vcc_lo, v42, s2
	v_add_co_ci_u32_e32 v89, vcc_lo, s3, v43, vcc_lo
	s_or_b32 s2, s13, 48
	s_delay_alu instid0(SALU_CYCLE_1)
	s_mul_hi_i32 s3, s2, s10
	s_mul_i32 s2, s2, s10
	s_waitcnt lgkmcnt(10)
	v_pk_fma_f16 v23, v8, v12, v23 op_sel_hi:[1,0,1]
	v_pk_fma_f16 v84, v9, v12, v84 op_sel_hi:[1,0,1]
	;; [unrolled: 1-line block ×4, first 2 shown]
	s_waitcnt lgkmcnt(9)
	v_pk_fma_f16 v87, v19, v12, v87 op_sel_hi:[1,0,1]
	v_pk_fma_f16 v90, v20, v12, v90 op_sel_hi:[1,0,1]
	;; [unrolled: 1-line block ×4, first 2 shown]
	s_waitcnt lgkmcnt(8)
	v_pk_fma_f16 v23, v48, v12, v23 op_sel:[0,1,0]
	v_pk_fma_f16 v84, v49, v12, v84 op_sel:[0,1,0]
	;; [unrolled: 1-line block ×4, first 2 shown]
	s_waitcnt lgkmcnt(7)
	v_pk_fma_f16 v87, v52, v12, v87 op_sel:[0,1,0]
	v_pk_fma_f16 v90, v53, v12, v90 op_sel:[0,1,0]
	;; [unrolled: 1-line block ×4, first 2 shown]
	s_waitcnt lgkmcnt(6)
	v_pk_fma_f16 v23, v56, v13, v23 op_sel_hi:[1,0,1]
	v_pk_fma_f16 v84, v57, v13, v84 op_sel_hi:[1,0,1]
	v_pk_fma_f16 v85, v58, v13, v85 op_sel_hi:[1,0,1]
	v_pk_fma_f16 v86, v59, v13, v86 op_sel_hi:[1,0,1]
	ds_load_2addr_b64 v[8:11], v46 offset0:192 offset1:224
	ds_load_2addr_b64 v[19:22], v47 offset1:32
	ds_load_2addr_b64 v[48:51], v47 offset0:64 offset1:96
	ds_load_2addr_b64 v[52:55], v47 offset0:128 offset1:160
	;; [unrolled: 1-line block ×3, first 2 shown]
	s_waitcnt lgkmcnt(0)
	s_barrier
	buffer_gl0_inv
	v_pk_fma_f16 v87, v60, v13, v87 op_sel_hi:[1,0,1]
	v_pk_fma_f16 v90, v61, v13, v90 op_sel_hi:[1,0,1]
	v_pk_fma_f16 v91, v62, v13, v91 op_sel_hi:[1,0,1]
	v_pk_fma_f16 v12, v63, v13, v12 op_sel_hi:[1,0,1]
	global_load_b128 v[60:63], v[88:89], off
	v_pk_fma_f16 v23, v64, v13, v23 op_sel:[0,1,0]
	v_pk_fma_f16 v92, v65, v13, v84 op_sel:[0,1,0]
	;; [unrolled: 1-line block ×4, first 2 shown]
	global_load_b128 v[64:67], v[88:89], off offset:512
	v_pk_fma_f16 v68, v68, v13, v87 op_sel:[0,1,0]
	v_pk_fma_f16 v69, v69, v13, v90 op_sel:[0,1,0]
	;; [unrolled: 1-line block ×4, first 2 shown]
	v_pk_fma_f16 v13, v72, v14, v23 op_sel_hi:[1,0,1]
	v_pk_fma_f16 v23, v73, v14, v92 op_sel_hi:[1,0,1]
	v_pk_fma_f16 v71, v74, v14, v93 op_sel_hi:[1,0,1]
	v_pk_fma_f16 v72, v75, v14, v86 op_sel_hi:[1,0,1]
	v_pk_fma_f16 v68, v76, v14, v68 op_sel_hi:[1,0,1]
	v_pk_fma_f16 v69, v77, v14, v69 op_sel_hi:[1,0,1]
	v_pk_fma_f16 v70, v78, v14, v70 op_sel_hi:[1,0,1]
	v_pk_fma_f16 v12, v79, v14, v12 op_sel_hi:[1,0,1]
	v_pk_fma_f16 v13, v80, v14, v13 op_sel:[0,1,0]
	v_pk_fma_f16 v23, v81, v14, v23 op_sel:[0,1,0]
	;; [unrolled: 1-line block ×8, first 2 shown]
	v_pk_fma_f16 v12, v19, v15, v13 op_sel_hi:[1,0,1]
	v_pk_fma_f16 v13, v20, v15, v23 op_sel_hi:[1,0,1]
	;; [unrolled: 1-line block ×8, first 2 shown]
	v_pk_fma_f16 v23, v52, v15, v12 op_sel:[0,1,0]
	v_pk_fma_f16 v86, v53, v15, v13 op_sel:[0,1,0]
	;; [unrolled: 1-line block ×8, first 2 shown]
	s_waitcnt vmcnt(1)
	ds_store_b128 v39, v[60:63]
	s_waitcnt vmcnt(0)
	ds_store_b128 v40, v[64:67]
	s_waitcnt lgkmcnt(0)
	s_barrier
	buffer_gl0_inv
	ds_load_2addr_b64 v[8:11], v41 offset1:32
	ds_load_b128 v[12:15], v37 offset:80
	ds_load_2addr_b64 v[19:22], v41 offset0:64 offset1:96
	ds_load_2addr_b64 v[48:51], v41 offset0:128 offset1:160
	;; [unrolled: 1-line block ×3, first 2 shown]
	ds_load_2addr_b64 v[56:59], v45 offset1:32
	ds_load_2addr_b64 v[60:63], v45 offset0:64 offset1:96
	ds_load_2addr_b64 v[64:67], v45 offset0:128 offset1:160
	;; [unrolled: 1-line block ×3, first 2 shown]
	ds_load_2addr_b64 v[72:75], v46 offset1:32
	ds_load_2addr_b64 v[76:79], v46 offset0:64 offset1:96
	ds_load_2addr_b64 v[80:83], v46 offset0:128 offset1:160
	s_lshl_b64 s[2:3], s[2:3], 2
	v_mov_b32_e32 v93, v32
	v_add_co_u32 v84, vcc_lo, v42, s2
	v_add_co_ci_u32_e32 v85, vcc_lo, s3, v43, vcc_lo
	s_or_b32 s2, s13, 56
	s_delay_alu instid0(SALU_CYCLE_1)
	s_mul_hi_i32 s3, s2, s10
	s_waitcnt lgkmcnt(10)
	v_pk_fma_f16 v23, v8, v12, v23 op_sel_hi:[1,0,1]
	v_pk_fma_f16 v86, v9, v12, v86 op_sel_hi:[1,0,1]
	v_pk_fma_f16 v87, v10, v12, v87 op_sel_hi:[1,0,1]
	v_pk_fma_f16 v88, v11, v12, v88 op_sel_hi:[1,0,1]
	s_waitcnt lgkmcnt(9)
	v_pk_fma_f16 v89, v19, v12, v89 op_sel_hi:[1,0,1]
	v_pk_fma_f16 v90, v20, v12, v90 op_sel_hi:[1,0,1]
	;; [unrolled: 1-line block ×4, first 2 shown]
	s_waitcnt lgkmcnt(8)
	v_pk_fma_f16 v23, v48, v12, v23 op_sel:[0,1,0]
	v_pk_fma_f16 v86, v49, v12, v86 op_sel:[0,1,0]
	;; [unrolled: 1-line block ×4, first 2 shown]
	s_waitcnt lgkmcnt(7)
	v_pk_fma_f16 v89, v52, v12, v89 op_sel:[0,1,0]
	v_pk_fma_f16 v90, v53, v12, v90 op_sel:[0,1,0]
	;; [unrolled: 1-line block ×4, first 2 shown]
	s_waitcnt lgkmcnt(6)
	v_pk_fma_f16 v23, v56, v13, v23 op_sel_hi:[1,0,1]
	v_pk_fma_f16 v86, v57, v13, v86 op_sel_hi:[1,0,1]
	;; [unrolled: 1-line block ×4, first 2 shown]
	ds_load_2addr_b64 v[8:11], v46 offset0:192 offset1:224
	ds_load_2addr_b64 v[19:22], v47 offset1:32
	ds_load_2addr_b64 v[48:51], v47 offset0:64 offset1:96
	ds_load_2addr_b64 v[52:55], v47 offset0:128 offset1:160
	ds_load_2addr_b64 v[56:59], v47 offset0:192 offset1:224
	s_waitcnt lgkmcnt(0)
	s_barrier
	buffer_gl0_inv
	v_pk_fma_f16 v89, v60, v13, v89 op_sel_hi:[1,0,1]
	v_pk_fma_f16 v90, v61, v13, v90 op_sel_hi:[1,0,1]
	;; [unrolled: 1-line block ×4, first 2 shown]
	global_load_b128 v[60:63], v[84:85], off
	v_pk_fma_f16 v23, v64, v13, v23 op_sel:[0,1,0]
	v_pk_fma_f16 v86, v65, v13, v86 op_sel:[0,1,0]
	;; [unrolled: 1-line block ×4, first 2 shown]
	global_load_b128 v[64:67], v[84:85], off offset:512
	v_add_f32_e32 v92, v17, v18
	v_pk_fma_f16 v17, v68, v13, v89 op_sel:[0,1,0]
	v_pk_fma_f16 v18, v69, v13, v90 op_sel:[0,1,0]
	;; [unrolled: 1-line block ×4, first 2 shown]
	v_pk_fma_f16 v13, v72, v14, v23 op_sel_hi:[1,0,1]
	v_pk_fma_f16 v23, v73, v14, v86 op_sel_hi:[1,0,1]
	;; [unrolled: 1-line block ×8, first 2 shown]
	v_pk_fma_f16 v13, v80, v14, v13 op_sel:[0,1,0]
	v_pk_fma_f16 v23, v81, v14, v23 op_sel:[0,1,0]
	;; [unrolled: 1-line block ×8, first 2 shown]
	v_pk_fma_f16 v12, v19, v15, v13 op_sel_hi:[1,0,1]
	v_pk_fma_f16 v13, v20, v15, v23 op_sel_hi:[1,0,1]
	v_pk_fma_f16 v14, v21, v15, v69 op_sel_hi:[1,0,1]
	v_pk_fma_f16 v17, v22, v15, v70 op_sel_hi:[1,0,1]
	v_pk_fma_f16 v8, v48, v15, v8 op_sel_hi:[1,0,1]
	v_pk_fma_f16 v9, v49, v15, v9 op_sel_hi:[1,0,1]
	v_pk_fma_f16 v10, v50, v15, v10 op_sel_hi:[1,0,1]
	v_pk_fma_f16 v11, v51, v15, v11 op_sel_hi:[1,0,1]
	v_pk_fma_f16 v21, v52, v15, v12 op_sel:[0,1,0]
	v_pk_fma_f16 v22, v53, v15, v13 op_sel:[0,1,0]
	;; [unrolled: 1-line block ×8, first 2 shown]
	s_waitcnt vmcnt(1)
	ds_store_b128 v39, v[60:63]
	s_waitcnt vmcnt(0)
	ds_store_b128 v40, v[64:67]
	s_waitcnt lgkmcnt(0)
	s_barrier
	buffer_gl0_inv
	ds_load_2addr_b64 v[8:11], v41 offset1:32
	ds_load_b128 v[12:15], v37 offset:96
	ds_load_2addr_b64 v[17:20], v41 offset0:64 offset1:96
	ds_load_2addr_b64 v[48:51], v41 offset0:128 offset1:160
	;; [unrolled: 1-line block ×3, first 2 shown]
	ds_load_2addr_b64 v[56:59], v45 offset1:32
	ds_load_2addr_b64 v[60:63], v45 offset0:64 offset1:96
	ds_load_2addr_b64 v[64:67], v45 offset0:128 offset1:160
	;; [unrolled: 1-line block ×3, first 2 shown]
	ds_load_2addr_b64 v[72:75], v46 offset1:32
	ds_load_2addr_b64 v[76:79], v46 offset0:64 offset1:96
	ds_load_2addr_b64 v[80:83], v46 offset0:128 offset1:160
	s_mul_i32 s2, s2, s10
	v_mov_b32_e32 v32, v92
	s_lshl_b64 s[2:3], s[2:3], 2
	s_delay_alu instid0(SALU_CYCLE_1) | instskip(SKIP_1) | instid1(VALU_DEP_3)
	v_add_co_u32 v84, vcc_lo, v42, s2
	v_add_co_ci_u32_e32 v85, vcc_lo, s3, v43, vcc_lo
	v_fmac_f32_e32 v32, v93, v16
	s_waitcnt lgkmcnt(10)
	v_pk_fma_f16 v21, v8, v12, v21 op_sel_hi:[1,0,1]
	v_pk_fma_f16 v22, v9, v12, v22 op_sel_hi:[1,0,1]
	;; [unrolled: 1-line block ×4, first 2 shown]
	s_waitcnt lgkmcnt(9)
	v_pk_fma_f16 v87, v17, v12, v87 op_sel_hi:[1,0,1]
	v_pk_fma_f16 v88, v18, v12, v88 op_sel_hi:[1,0,1]
	;; [unrolled: 1-line block ×4, first 2 shown]
	s_waitcnt lgkmcnt(8)
	v_pk_fma_f16 v21, v48, v12, v21 op_sel:[0,1,0]
	v_pk_fma_f16 v22, v49, v12, v22 op_sel:[0,1,0]
	;; [unrolled: 1-line block ×4, first 2 shown]
	s_waitcnt lgkmcnt(7)
	v_pk_fma_f16 v87, v52, v12, v87 op_sel:[0,1,0]
	v_pk_fma_f16 v88, v53, v12, v88 op_sel:[0,1,0]
	;; [unrolled: 1-line block ×4, first 2 shown]
	ds_load_2addr_b64 v[8:11], v46 offset0:192 offset1:224
	ds_load_2addr_b64 v[17:20], v47 offset1:32
	ds_load_2addr_b64 v[48:51], v47 offset0:64 offset1:96
	ds_load_2addr_b64 v[52:55], v47 offset0:128 offset1:160
	s_waitcnt lgkmcnt(10)
	v_pk_fma_f16 v21, v56, v13, v21 op_sel_hi:[1,0,1]
	v_pk_fma_f16 v22, v57, v13, v22 op_sel_hi:[1,0,1]
	;; [unrolled: 1-line block ×4, first 2 shown]
	ds_load_2addr_b64 v[56:59], v47 offset0:192 offset1:224
	s_waitcnt lgkmcnt(0)
	s_barrier
	buffer_gl0_inv
	v_pk_fma_f16 v91, v60, v13, v87 op_sel_hi:[1,0,1]
	v_pk_fma_f16 v88, v61, v13, v88 op_sel_hi:[1,0,1]
	;; [unrolled: 1-line block ×4, first 2 shown]
	s_clause 0x1
	global_load_b128 v[60:63], v[84:85], off
	global_load_b128 v[84:87], v[84:85], off offset:512
	v_pk_fma_f16 v16, v64, v13, v21 op_sel:[0,1,0]
	v_pk_fma_f16 v21, v65, v13, v22 op_sel:[0,1,0]
	;; [unrolled: 1-line block ×8, first 2 shown]
	v_pk_fma_f16 v13, v72, v14, v16 op_sel_hi:[1,0,1]
	v_pk_fma_f16 v16, v73, v14, v21 op_sel_hi:[1,0,1]
	;; [unrolled: 1-line block ×8, first 2 shown]
	v_pk_fma_f16 v13, v80, v14, v13 op_sel:[0,1,0]
	v_pk_fma_f16 v16, v81, v14, v16 op_sel:[0,1,0]
	;; [unrolled: 1-line block ×8, first 2 shown]
	v_pk_fma_f16 v12, v17, v15, v13 op_sel_hi:[1,0,1]
	v_pk_fma_f16 v13, v18, v15, v16 op_sel_hi:[1,0,1]
	;; [unrolled: 1-line block ×8, first 2 shown]
	v_pk_fma_f16 v88, v52, v15, v12 op_sel:[0,1,0]
	v_pk_fma_f16 v89, v53, v15, v13 op_sel:[0,1,0]
	;; [unrolled: 1-line block ×8, first 2 shown]
	s_waitcnt vmcnt(1)
	ds_store_b128 v39, v[60:63]
	s_waitcnt vmcnt(0)
	ds_store_b128 v40, v[84:87]
	s_waitcnt lgkmcnt(0)
	s_barrier
	buffer_gl0_inv
	ds_load_2addr_b64 v[8:11], v41 offset1:32
	ds_load_b128 v[12:15], v37 offset:112
	ds_load_2addr_b64 v[16:19], v41 offset0:64 offset1:96
	ds_load_2addr_b64 v[20:23], v41 offset0:128 offset1:160
	;; [unrolled: 1-line block ×3, first 2 shown]
	ds_load_2addr_b64 v[52:55], v45 offset1:32
	ds_load_2addr_b64 v[56:59], v45 offset0:64 offset1:96
	ds_load_2addr_b64 v[60:63], v45 offset0:128 offset1:160
	;; [unrolled: 1-line block ×3, first 2 shown]
	ds_load_2addr_b64 v[68:71], v46 offset1:32
	ds_load_2addr_b64 v[72:75], v46 offset0:64 offset1:96
	ds_load_2addr_b64 v[76:79], v46 offset0:128 offset1:160
	;; [unrolled: 1-line block ×3, first 2 shown]
	s_waitcnt lgkmcnt(11)
	v_pk_fma_f16 v84, v8, v12, v88 op_sel_hi:[1,0,1]
	v_pk_fma_f16 v85, v9, v12, v89 op_sel_hi:[1,0,1]
	;; [unrolled: 1-line block ×4, first 2 shown]
	s_waitcnt lgkmcnt(10)
	v_pk_fma_f16 v88, v16, v12, v92 op_sel_hi:[1,0,1]
	v_pk_fma_f16 v89, v17, v12, v93 op_sel_hi:[1,0,1]
	;; [unrolled: 1-line block ×4, first 2 shown]
	s_waitcnt lgkmcnt(9)
	v_pk_fma_f16 v92, v20, v12, v84 op_sel:[0,1,0]
	v_pk_fma_f16 v93, v21, v12, v85 op_sel:[0,1,0]
	v_pk_fma_f16 v94, v22, v12, v86 op_sel:[0,1,0]
	v_pk_fma_f16 v95, v23, v12, v87 op_sel:[0,1,0]
	s_waitcnt lgkmcnt(8)
	v_pk_fma_f16 v48, v48, v12, v88 op_sel:[0,1,0]
	v_pk_fma_f16 v49, v49, v12, v89 op_sel:[0,1,0]
	v_pk_fma_f16 v50, v50, v12, v90 op_sel:[0,1,0]
	v_pk_fma_f16 v12, v51, v12, v91 op_sel:[0,1,0]
	ds_load_2addr_b64 v[8:11], v47 offset1:32
	ds_load_2addr_b64 v[16:19], v47 offset0:64 offset1:96
	s_waitcnt lgkmcnt(9)
	v_pk_fma_f16 v51, v52, v13, v92 op_sel_hi:[1,0,1]
	v_pk_fma_f16 v52, v53, v13, v93 op_sel_hi:[1,0,1]
	;; [unrolled: 1-line block ×4, first 2 shown]
	s_waitcnt lgkmcnt(8)
	v_pk_fma_f16 v48, v56, v13, v48 op_sel_hi:[1,0,1]
	v_pk_fma_f16 v49, v57, v13, v49 op_sel_hi:[1,0,1]
	v_pk_fma_f16 v50, v58, v13, v50 op_sel_hi:[1,0,1]
	v_pk_fma_f16 v12, v59, v13, v12 op_sel_hi:[1,0,1]
	ds_load_2addr_b64 v[20:23], v47 offset0:128 offset1:160
	ds_load_2addr_b64 v[84:87], v47 offset0:192 offset1:224
	s_waitcnt lgkmcnt(0)
	s_barrier
	buffer_gl0_inv
	s_load_b32 s2, s[4:5], 0x4
	v_pk_fma_f16 v51, v60, v13, v51 op_sel:[0,1,0]
	v_pk_fma_f16 v52, v61, v13, v52 op_sel:[0,1,0]
	;; [unrolled: 1-line block ×8, first 2 shown]
	v_pk_fma_f16 v13, v68, v14, v51 op_sel_hi:[1,0,1]
	v_pk_fma_f16 v51, v69, v14, v52 op_sel_hi:[1,0,1]
	;; [unrolled: 1-line block ×8, first 2 shown]
	v_pk_fma_f16 v13, v76, v14, v13 op_sel:[0,1,0]
	v_pk_fma_f16 v51, v77, v14, v51 op_sel:[0,1,0]
	;; [unrolled: 1-line block ×8, first 2 shown]
	v_pk_fma_f16 v8, v8, v15, v13 op_sel_hi:[1,0,1]
	v_pk_fma_f16 v9, v9, v15, v51 op_sel_hi:[1,0,1]
	;; [unrolled: 1-line block ×8, first 2 shown]
	s_waitcnt lgkmcnt(0)
	s_lshl_b32 s2, s2, 6
	v_pk_fma_f16 v52, v20, v15, v8 op_sel:[0,1,0]
	v_pk_fma_f16 v54, v21, v15, v9 op_sel:[0,1,0]
	;; [unrolled: 1-line block ×8, first 2 shown]
	s_add_i32 s13, s2, s13
	s_delay_alu instid0(SALU_CYCLE_1)
	s_cmp_lt_i32 s13, s34
	s_cbranch_scc1 .LBB20_9
; %bb.10:
	v_mov_b32_e32 v3, 32
	v_mov_b32_e32 v5, v26
.LBB20_11:
	s_delay_alu instid0(VALU_DEP_2)
	v_cmp_lt_i32_e32 vcc_lo, v31, v3
	s_cmp_eq_u64 s[24:25], 0
	s_cselect_b32 s2, -1, 0
	s_cmp_lg_u32 s14, 0
	v_cndmask_b32_e32 v2, v5, v31, vcc_lo
	v_cmp_lt_i32_e32 vcc_lo, v30, v3
	s_cselect_b32 s3, -1, 0
	s_delay_alu instid0(SALU_CYCLE_1) | instskip(NEXT) | instid1(VALU_DEP_2)
	s_or_b32 s2, s3, s2
	v_lshlrev_b32_e32 v2, 2, v2
	v_cndmask_b32_e32 v4, v5, v30, vcc_lo
	v_cmp_lt_i32_e32 vcc_lo, v29, v3
	ds_bpermute_b32 v2, v2, v32
	v_lshlrev_b32_e32 v4, 2, v4
	v_cndmask_b32_e32 v6, v5, v29, vcc_lo
	v_cmp_lt_i32_e32 vcc_lo, v28, v3
	s_delay_alu instid0(VALU_DEP_2)
	v_lshlrev_b32_e32 v6, 2, v6
	s_waitcnt lgkmcnt(0)
	v_add_f32_e32 v2, v32, v2
	ds_bpermute_b32 v4, v4, v2
	s_waitcnt lgkmcnt(0)
	v_add_f32_e32 v2, v2, v4
	ds_bpermute_b32 v4, v6, v2
	v_cndmask_b32_e32 v6, v5, v28, vcc_lo
	v_cmp_lt_i32_e32 vcc_lo, v27, v3
	s_delay_alu instid0(VALU_DEP_2) | instskip(SKIP_2) | instid1(VALU_DEP_1)
	v_dual_cndmask_b32 v3, v5, v27 :: v_dual_lshlrev_b32 v6, 2, v6
	s_and_b32 vcc_lo, exec_lo, s2
	s_waitcnt lgkmcnt(0)
	v_dual_add_f32 v2, v2, v4 :: v_dual_lshlrev_b32 v3, 2, v3
	ds_bpermute_b32 v4, v6, v2
	s_waitcnt lgkmcnt(0)
	v_add_f32_e32 v2, v2, v4
	ds_bpermute_b32 v3, v3, v2
	s_waitcnt lgkmcnt(0)
	v_add_f32_e32 v8, v2, v3
	s_cbranch_vccnz .LBB20_13
; %bb.12:
	v_add_nc_u32_e32 v2, s12, v24
	s_delay_alu instid0(VALU_DEP_1) | instskip(NEXT) | instid1(VALU_DEP_1)
	v_ashrrev_i32_e32 v3, 31, v2
	v_lshlrev_b64 v[2:3], 2, v[2:3]
	s_delay_alu instid0(VALU_DEP_1) | instskip(NEXT) | instid1(VALU_DEP_2)
	v_add_co_u32 v2, vcc_lo, s24, v2
	v_add_co_ci_u32_e32 v3, vcc_lo, s25, v3, vcc_lo
	global_load_b32 v2, v[2:3], off
	s_waitcnt vmcnt(0)
	v_dual_max_f32 v3, v7, v7 :: v_dual_max_f32 v4, v2, v2
	s_delay_alu instid0(VALU_DEP_1) | instskip(NEXT) | instid1(VALU_DEP_1)
	v_max_f32_e32 v3, v3, v4
	v_sub_f32_e32 v2, v2, v3
	s_delay_alu instid0(VALU_DEP_1) | instskip(SKIP_1) | instid1(VALU_DEP_2)
	v_mul_f32_e32 v6, 0x3fb8aa3b, v2
	v_sub_f32_e32 v4, v7, v3
	v_rndne_f32_e32 v11, v6
	s_delay_alu instid0(VALU_DEP_2) | instskip(SKIP_2) | instid1(VALU_DEP_4)
	v_mul_f32_e32 v5, 0x3fb8aa3b, v4
	v_fma_f32 v10, 0x3fb8aa3b, v2, -v6
	v_cmp_ngt_f32_e32 vcc_lo, 0xc2ce8ed0, v4
	v_sub_f32_e32 v6, v6, v11
	s_delay_alu instid0(VALU_DEP_4) | instskip(SKIP_1) | instid1(VALU_DEP_2)
	v_fma_f32 v7, 0x3fb8aa3b, v4, -v5
	v_rndne_f32_e32 v9, v5
	v_dual_fmac_f32 v10, 0x32a5705f, v2 :: v_dual_fmac_f32 v7, 0x32a5705f, v4
	s_delay_alu instid0(VALU_DEP_2) | instskip(NEXT) | instid1(VALU_DEP_1)
	v_sub_f32_e32 v5, v5, v9
	v_add_f32_e32 v5, v5, v7
	v_cvt_i32_f32_e32 v7, v9
	v_cvt_i32_f32_e32 v9, v11
	s_delay_alu instid0(VALU_DEP_3) | instskip(SKIP_3) | instid1(VALU_DEP_2)
	v_exp_f32_e32 v5, v5
	s_waitcnt_depctr 0xfff
	v_ldexp_f32 v5, v5, v7
	v_dual_mov_b32 v7, v3 :: v_dual_add_f32 v6, v6, v10
	v_cndmask_b32_e32 v5, 0, v5, vcc_lo
	v_cmp_ngt_f32_e32 vcc_lo, 0xc2ce8ed0, v2
	s_delay_alu instid0(VALU_DEP_3) | instskip(SKIP_2) | instid1(VALU_DEP_1)
	v_exp_f32_e32 v6, v6
	s_waitcnt_depctr 0xfff
	v_ldexp_f32 v6, v6, v9
	v_cndmask_b32_e32 v6, 0, v6, vcc_lo
	v_cmp_nlt_f32_e32 vcc_lo, 0x42b17218, v4
	v_cndmask_b32_e32 v4, 0x7f800000, v5, vcc_lo
	v_cmp_nlt_f32_e32 vcc_lo, 0x42b17218, v2
	s_delay_alu instid0(VALU_DEP_2) | instskip(SKIP_1) | instid1(VALU_DEP_2)
	v_cvt_f16_f32_e32 v5, v4
	v_cndmask_b32_e32 v2, 0x7f800000, v6, vcc_lo
	v_pk_mul_f16 v52, v5, v52 op_sel_hi:[0,1]
	s_delay_alu instid0(VALU_DEP_2)
	v_fmac_f32_e32 v2, v8, v4
	v_pk_mul_f16 v54, v5, v54 op_sel_hi:[0,1]
	v_pk_mul_f16 v53, v5, v53 op_sel_hi:[0,1]
	;; [unrolled: 1-line block ×7, first 2 shown]
	v_mov_b32_e32 v8, v2
.LBB20_13:
	s_mov_b32 s2, exec_lo
	v_cmpx_gt_i32_e64 s6, v1
	s_cbranch_execz .LBB20_16
; %bb.14:
	s_delay_alu instid0(VALU_DEP_2) | instskip(SKIP_2) | instid1(VALU_DEP_2)
	v_div_scale_f32 v4, null, v8, v8, 1.0
	v_mad_u64_u32 v[2:3], null, s33, s6, v[1:2]
	s_load_b32 s0, s[0:1], 0xd4
	v_rcp_f32_e32 v5, v4
	v_div_scale_f32 v3, vcc_lo, 1.0, v8, 1.0
	v_lshrrev_b32_e32 v6, 16, v54
	v_lshrrev_b32_e32 v10, 16, v52
	s_delay_alu instid0(VALU_DEP_4) | instskip(SKIP_4) | instid1(TRANS32_DEP_1)
	v_mul_lo_u32 v2, v2, s7
	v_lshrrev_b32_e32 v12, 16, v55
	v_cvt_f32_f16_e32 v9, v54
	v_cvt_f32_f16_e32 v6, v6
	;; [unrolled: 1-line block ×3, first 2 shown]
	v_fma_f32 v1, -v4, v5, 1.0
	v_cvt_f32_f16_e32 v11, v52
	v_cvt_f32_f16_e32 v15, v55
	v_add3_u32 v13, s12, v24, v2
	v_lshrrev_b32_e32 v16, 16, v53
	v_dual_fmac_f32 v5, v1, v5 :: v_dual_mov_b32 v18, 0
	v_lshrrev_b32_e32 v19, 16, v51
	v_cvt_f32_f16_e32 v12, v12
	s_waitcnt lgkmcnt(0)
	v_mad_u64_u32 v[1:2], null, s0, v13, s[14:15]
	v_mul_f32_e32 v14, v3, v5
	s_cmp_lg_u32 s0, 1
	v_cvt_f32_f16_e32 v13, v53
	s_cselect_b32 s1, -1, 0
	v_lshrrev_b32_e32 v20, 16, v50
	v_fma_f32 v2, -v4, v14, v3
	v_lshl_add_u32 v17, v1, 9, v25
	v_cvt_f32_f16_e32 v16, v16
	v_cvt_f32_f16_e32 v19, v19
	v_lshrrev_b32_e32 v27, 16, v49
	v_fmac_f32_e32 v14, v2, v5
	v_cvt_f32_f16_e32 v25, v20
	v_cvt_f32_f16_e32 v26, v50
	v_cvt_f32_f16_e32 v31, v49
	v_cvt_f32_f16_e32 v30, v27
	v_fma_f32 v4, -v4, v14, v3
	v_mov_b32_e32 v3, v18
	s_delay_alu instid0(VALU_DEP_2) | instskip(SKIP_1) | instid1(VALU_DEP_2)
	v_div_fmas_f32 v14, v4, v5, v14
	v_lshlrev_b64 v[4:5], 2, v[17:18]
	v_div_fixup_f32 v14, v14, v8, 1.0
	s_delay_alu instid0(VALU_DEP_2) | instskip(NEXT) | instid1(VALU_DEP_3)
	v_add_co_u32 v21, vcc_lo, s28, v4
	v_add_co_ci_u32_e32 v22, vcc_lo, s29, v5, vcc_lo
	s_delay_alu instid0(VALU_DEP_3) | instskip(SKIP_2) | instid1(VALU_DEP_3)
	v_cndmask_b32_e64 v29, v14, 1.0, s1
	v_add_nc_u32_e32 v2, 0x80, v17
	v_mov_b32_e32 v14, v18
	v_mul_f32_e32 v4, v29, v9
	s_delay_alu instid0(VALU_DEP_3)
	v_lshlrev_b64 v[2:3], 2, v[2:3]
	v_mul_f32_e32 v9, v29, v13
	v_add_nc_u32_e32 v13, 0x100, v17
	v_mul_f32_e32 v5, v29, v6
	v_cvt_f32_f16_e32 v6, v51
	v_dual_mul_f32 v12, v29, v12 :: v_dual_add_nc_u32 v17, 0x180, v17
	v_add_co_u32 v23, vcc_lo, s28, v2
	v_mul_f32_e32 v2, v29, v11
	v_mul_f32_e32 v11, v29, v15
	v_add_co_ci_u32_e32 v24, vcc_lo, s29, v3, vcc_lo
	v_mul_f32_e32 v3, v29, v10
	v_mul_f32_e32 v10, v29, v16
	;; [unrolled: 1-line block ×3, first 2 shown]
	v_lshlrev_b64 v[19:20], 2, v[13:14]
	v_mul_f32_e32 v15, v29, v6
	v_lshrrev_b32_e32 v6, 16, v48
	v_lshlrev_b64 v[27:28], 2, v[17:18]
	v_mul_f32_e32 v14, v29, v25
	v_mul_f32_e32 v13, v29, v26
	v_add_co_u32 v25, vcc_lo, s28, v19
	v_cvt_f32_f16_e32 v6, v6
	v_cvt_f32_f16_e32 v19, v48
	v_add_co_ci_u32_e32 v26, vcc_lo, s29, v20, vcc_lo
	v_cmp_eq_u32_e32 vcc_lo, 0, v0
	v_add_co_u32 v27, s0, s28, v27
	v_mul_f32_e32 v20, v29, v6
	v_mul_f32_e32 v19, v29, v19
	;; [unrolled: 1-line block ×4, first 2 shown]
	v_add_co_ci_u32_e64 v28, s0, s29, v28, s0
	s_and_b32 s0, vcc_lo, s1
	s_clause 0x3
	global_store_b128 v[21:22], v[2:5], off
	global_store_b128 v[23:24], v[9:12], off
	;; [unrolled: 1-line block ×4, first 2 shown]
	s_and_b32 exec_lo, exec_lo, s0
	s_cbranch_execz .LBB20_16
; %bb.15:
	v_ashrrev_i32_e32 v2, 31, v1
	s_delay_alu instid0(VALU_DEP_1) | instskip(NEXT) | instid1(VALU_DEP_1)
	v_lshlrev_b64 v[0:1], 3, v[1:2]
	v_add_co_u32 v0, vcc_lo, s30, v0
	s_delay_alu instid0(VALU_DEP_2)
	v_add_co_ci_u32_e32 v1, vcc_lo, s31, v1, vcc_lo
	global_store_b64 v[0:1], v[7:8], off
.LBB20_16:
	s_nop 0
	s_sendmsg sendmsg(MSG_DEALLOC_VGPRS)
	s_endpgm
	.section	.rodata,"a",@progbits
	.p2align	6, 0x0
	.amdhsa_kernel _ZL15flash_attn_tileILi512ELi512ELi2ELi4ELb0EEvPKcS1_S1_S1_S1_PKiPfP15HIP_vector_typeIfLj2EEffffjfiS5_IjLj3EEiiiiiiiiiiiliiliiiiil
		.amdhsa_group_segment_fixed_size 18432
		.amdhsa_private_segment_fixed_size 0
		.amdhsa_kernarg_size 464
		.amdhsa_user_sgpr_count 13
		.amdhsa_user_sgpr_dispatch_ptr 0
		.amdhsa_user_sgpr_queue_ptr 0
		.amdhsa_user_sgpr_kernarg_segment_ptr 1
		.amdhsa_user_sgpr_dispatch_id 0
		.amdhsa_user_sgpr_private_segment_size 0
		.amdhsa_wavefront_size32 1
		.amdhsa_uses_dynamic_stack 0
		.amdhsa_enable_private_segment 0
		.amdhsa_system_sgpr_workgroup_id_x 1
		.amdhsa_system_sgpr_workgroup_id_y 1
		.amdhsa_system_sgpr_workgroup_id_z 1
		.amdhsa_system_sgpr_workgroup_info 0
		.amdhsa_system_vgpr_workitem_id 1
		.amdhsa_next_free_vgpr 96
		.amdhsa_next_free_sgpr 40
		.amdhsa_reserve_vcc 1
		.amdhsa_float_round_mode_32 0
		.amdhsa_float_round_mode_16_64 0
		.amdhsa_float_denorm_mode_32 3
		.amdhsa_float_denorm_mode_16_64 3
		.amdhsa_dx10_clamp 1
		.amdhsa_ieee_mode 1
		.amdhsa_fp16_overflow 0
		.amdhsa_workgroup_processor_mode 1
		.amdhsa_memory_ordered 1
		.amdhsa_forward_progress 0
		.amdhsa_shared_vgpr_count 0
		.amdhsa_exception_fp_ieee_invalid_op 0
		.amdhsa_exception_fp_denorm_src 0
		.amdhsa_exception_fp_ieee_div_zero 0
		.amdhsa_exception_fp_ieee_overflow 0
		.amdhsa_exception_fp_ieee_underflow 0
		.amdhsa_exception_fp_ieee_inexact 0
		.amdhsa_exception_int_div_zero 0
	.end_amdhsa_kernel
	.section	.text._ZL15flash_attn_tileILi512ELi512ELi2ELi4ELb0EEvPKcS1_S1_S1_S1_PKiPfP15HIP_vector_typeIfLj2EEffffjfiS5_IjLj3EEiiiiiiiiiiiliiliiiiil,"axG",@progbits,_ZL15flash_attn_tileILi512ELi512ELi2ELi4ELb0EEvPKcS1_S1_S1_S1_PKiPfP15HIP_vector_typeIfLj2EEffffjfiS5_IjLj3EEiiiiiiiiiiiliiliiiiil,comdat
.Lfunc_end20:
	.size	_ZL15flash_attn_tileILi512ELi512ELi2ELi4ELb0EEvPKcS1_S1_S1_S1_PKiPfP15HIP_vector_typeIfLj2EEffffjfiS5_IjLj3EEiiiiiiiiiiiliiliiiiil, .Lfunc_end20-_ZL15flash_attn_tileILi512ELi512ELi2ELi4ELb0EEvPKcS1_S1_S1_S1_PKiPfP15HIP_vector_typeIfLj2EEffffjfiS5_IjLj3EEiiiiiiiiiiiliiliiiiil
                                        ; -- End function
	.section	.AMDGPU.csdata,"",@progbits
; Kernel info:
; codeLenInByte = 22852
; NumSgprs: 42
; NumVgprs: 96
; ScratchSize: 0
; MemoryBound: 0
; FloatMode: 240
; IeeeMode: 1
; LDSByteSize: 18432 bytes/workgroup (compile time only)
; SGPRBlocks: 5
; VGPRBlocks: 11
; NumSGPRsForWavesPerEU: 42
; NumVGPRsForWavesPerEU: 96
; Occupancy: 14
; WaveLimiterHint : 1
; COMPUTE_PGM_RSRC2:SCRATCH_EN: 0
; COMPUTE_PGM_RSRC2:USER_SGPR: 13
; COMPUTE_PGM_RSRC2:TRAP_HANDLER: 0
; COMPUTE_PGM_RSRC2:TGID_X_EN: 1
; COMPUTE_PGM_RSRC2:TGID_Y_EN: 1
; COMPUTE_PGM_RSRC2:TGID_Z_EN: 1
; COMPUTE_PGM_RSRC2:TIDIG_COMP_CNT: 1
	.section	.text._ZL33flash_attn_stream_k_fixup_uniformILi512ELi2ELi4EEvPfPK15HIP_vector_typeIfLj2EEiiiiiiS1_IjLj3EES5_S5_,"axG",@progbits,_ZL33flash_attn_stream_k_fixup_uniformILi512ELi2ELi4EEvPfPK15HIP_vector_typeIfLj2EEiiiiiiS1_IjLj3EES5_S5_,comdat
	.globl	_ZL33flash_attn_stream_k_fixup_uniformILi512ELi2ELi4EEvPfPK15HIP_vector_typeIfLj2EEiiiiiiS1_IjLj3EES5_S5_ ; -- Begin function _ZL33flash_attn_stream_k_fixup_uniformILi512ELi2ELi4EEvPfPK15HIP_vector_typeIfLj2EEiiiiiiS1_IjLj3EES5_S5_
	.p2align	8
	.type	_ZL33flash_attn_stream_k_fixup_uniformILi512ELi2ELi4EEvPfPK15HIP_vector_typeIfLj2EEiiiiiiS1_IjLj3EES5_S5_,@function
_ZL33flash_attn_stream_k_fixup_uniformILi512ELi2ELi4EEvPfPK15HIP_vector_typeIfLj2EEiiiiiiS1_IjLj3EES5_S5_: ; @_ZL33flash_attn_stream_k_fixup_uniformILi512ELi2ELi4EEvPfPK15HIP_vector_typeIfLj2EEiiiiiiS1_IjLj3EES5_S5_
; %bb.0:
	s_clause 0x1
	s_load_b256 s[4:11], s[0:1], 0x1c
	s_load_b128 s[16:19], s[0:1], 0x3c
	s_waitcnt lgkmcnt(0)
	s_mul_hi_u32 s2, s7, s13
	s_delay_alu instid0(SALU_CYCLE_1) | instskip(NEXT) | instid1(SALU_CYCLE_1)
	s_add_i32 s2, s13, s2
	s_lshr_b32 s2, s2, s8
	s_delay_alu instid0(SALU_CYCLE_1) | instskip(SKIP_2) | instid1(SALU_CYCLE_1)
	s_mul_i32 s3, s2, s9
	s_load_b64 s[8:9], s[0:1], 0x10
	s_sub_i32 s7, s13, s3
	s_mul_hi_u32 s3, s7, s10
	s_delay_alu instid0(SALU_CYCLE_1) | instskip(NEXT) | instid1(SALU_CYCLE_1)
	s_add_i32 s3, s7, s3
	s_lshr_b32 s3, s3, s11
	s_delay_alu instid0(SALU_CYCLE_1) | instskip(NEXT) | instid1(SALU_CYCLE_1)
	s_mul_i32 s10, s3, s16
	s_sub_i32 s7, s7, s10
	s_delay_alu instid0(SALU_CYCLE_1) | instskip(NEXT) | instid1(SALU_CYCLE_1)
	s_mul_hi_u32 s10, s7, s17
	s_add_i32 s10, s7, s10
	s_delay_alu instid0(SALU_CYCLE_1) | instskip(NEXT) | instid1(SALU_CYCLE_1)
	s_lshr_b32 s10, s10, s18
	s_mul_i32 s11, s10, s19
	s_lshl_b32 s10, s10, 2
	s_sub_i32 s7, s7, s11
	s_delay_alu instid0(SALU_CYCLE_1) | instskip(NEXT) | instid1(SALU_CYCLE_1)
	s_lshl_b32 s11, s7, 1
	s_add_i32 s11, s11, s14
	s_waitcnt lgkmcnt(0)
	s_cmp_lt_i32 s11, s8
	s_cselect_b32 s11, -1, 0
	s_add_i32 s12, s10, s15
	s_delay_alu instid0(SALU_CYCLE_1) | instskip(SKIP_1) | instid1(SALU_CYCLE_1)
	s_cmp_lt_i32 s12, s5
	s_cselect_b32 s12, -1, 0
	s_and_b32 s11, s11, s12
	s_delay_alu instid0(SALU_CYCLE_1)
	s_and_not1_b32 vcc_lo, exec_lo, s11
	s_cbranch_vccnz .LBB21_6
; %bb.1:
	s_mul_i32 s2, s2, s8
	s_mul_i32 s5, s3, s5
	s_add_i32 s2, s2, s14
	s_mul_i32 s7, s9, s7
	s_mul_i32 s2, s2, s9
	s_lshl_b32 s7, s7, 10
	s_add_i32 s8, s2, s15
	s_load_b128 s[0:3], s[0:1], 0x0
	s_add_i32 s5, s8, s5
	s_lshl_b32 s9, s14, 2
	s_add_i32 s5, s5, s10
	s_delay_alu instid0(SALU_CYCLE_1) | instskip(NEXT) | instid1(SALU_CYCLE_1)
	s_lshl_b32 s5, s5, 9
	s_add_i32 s7, s7, s5
	s_mul_i32 s5, s13, s6
	v_or_b32_e32 v1, s7, v0
	s_add_i32 s10, s5, s6
	s_delay_alu instid0(VALU_DEP_1) | instskip(NEXT) | instid1(VALU_DEP_1)
	v_ashrrev_i32_e32 v2, 31, v1
	v_lshlrev_b64 v[1:2], 2, v[1:2]
	s_waitcnt lgkmcnt(0)
	s_delay_alu instid0(VALU_DEP_1) | instskip(NEXT) | instid1(VALU_DEP_2)
	v_add_co_u32 v1, vcc_lo, s0, v1
	v_add_co_ci_u32_e32 v2, vcc_lo, s1, v2, vcc_lo
	s_add_i32 s0, s9, s15
	s_lshl_b32 s1, s10, 3
	s_delay_alu instid0(SALU_CYCLE_1) | instskip(SKIP_2) | instid1(SALU_CYCLE_1)
	s_add_i32 s0, s0, s1
	global_load_b32 v5, v[1:2], off
	s_add_i32 s0, s0, -8
	s_ashr_i32 s1, s0, 31
	s_delay_alu instid0(SALU_CYCLE_1) | instskip(NEXT) | instid1(SALU_CYCLE_1)
	s_lshl_b64 s[0:1], s[0:1], 3
	s_add_u32 s0, s2, s0
	s_addc_u32 s1, s3, s1
	s_add_i32 s7, s10, -2
	s_load_b32 s11, s[0:1], 0x4
	s_cmp_lt_i32 s7, s5
	s_cbranch_scc1 .LBB21_4
; %bb.2:
	s_lshl_b32 s16, s4, 5
	s_load_b32 s12, s[0:1], 0x0
	s_ashr_i32 s17, s16, 31
	s_delay_alu instid0(SALU_CYCLE_1) | instskip(NEXT) | instid1(SALU_CYCLE_1)
	s_lshl_b64 s[0:1], s[16:17], 2
	s_add_u32 s7, s2, s0
	s_addc_u32 s8, s3, s1
	s_add_i32 s13, s13, 1
	s_lshl_b32 s0, s14, 11
	s_lshl_b32 s1, s15, 9
	s_mul_i32 s6, s6, s13
	s_add_i32 s0, s1, s0
	s_lshl_b32 s1, s6, 12
	s_delay_alu instid0(SALU_CYCLE_1)
	s_add_i32 s0, s0, s1
	s_lshl_b32 s1, s6, 3
	v_or_b32_e32 v0, s0, v0
	s_lshl_b32 s0, s4, 3
	s_add_i32 s1, s15, s1
	s_waitcnt lgkmcnt(0)
	v_mov_b32_e32 v6, s11
	s_add_i32 s0, s1, s0
	v_dual_mov_b32 v0, s12 :: v_dual_add_nc_u32 v3, 0xffffe000, v0
	s_add_i32 s0, s0, s9
	s_add_i32 s4, s10, -1
	s_add_i32 s0, s0, -16
.LBB21_3:                               ; =>This Inner Loop Header: Depth=1
	s_delay_alu instid0(VALU_DEP_1) | instskip(SKIP_1) | instid1(SALU_CYCLE_1)
	v_ashrrev_i32_e32 v4, 31, v3
	s_ashr_i32 s1, s0, 31
	s_lshl_b64 s[10:11], s[0:1], 3
	s_delay_alu instid0(SALU_CYCLE_1) | instskip(NEXT) | instid1(VALU_DEP_1)
	s_add_u32 s10, s2, s10
	v_lshlrev_b64 v[7:8], 2, v[3:4]
	s_addc_u32 s11, s3, s11
	s_add_i32 s4, s4, -1
	s_add_i32 s0, s0, -8
	s_cmp_le_i32 s4, s5
	s_load_b64 s[10:11], s[10:11], 0x0
	v_add_co_u32 v7, vcc_lo, s7, v7
	v_add_co_ci_u32_e32 v8, vcc_lo, s8, v8, vcc_lo
	global_load_b32 v4, v[7:8], off
	v_max_f32_e32 v7, v0, v0
	s_waitcnt lgkmcnt(0)
	v_max_f32_e64 v8, s10, s10
	s_delay_alu instid0(VALU_DEP_1) | instskip(NEXT) | instid1(VALU_DEP_1)
	v_max_f32_e32 v7, v7, v8
	v_sub_f32_e32 v8, s10, v7
	s_delay_alu instid0(VALU_DEP_1) | instskip(NEXT) | instid1(VALU_DEP_1)
	v_dual_sub_f32 v0, v0, v7 :: v_dual_mul_f32 v9, 0x3fb8aa3b, v8
	v_fma_f32 v10, 0x3fb8aa3b, v8, -v9
	v_rndne_f32_e32 v11, v9
	s_delay_alu instid0(VALU_DEP_3) | instskip(NEXT) | instid1(VALU_DEP_2)
	v_mul_f32_e32 v12, 0x3fb8aa3b, v0
	v_dual_fmac_f32 v10, 0x32a5705f, v8 :: v_dual_sub_f32 v9, v9, v11
	v_cvt_i32_f32_e32 v11, v11
	s_delay_alu instid0(VALU_DEP_3) | instskip(SKIP_1) | instid1(VALU_DEP_4)
	v_fma_f32 v13, 0x3fb8aa3b, v0, -v12
	v_rndne_f32_e32 v14, v12
	v_add_f32_e32 v9, v9, v10
	v_cmp_ngt_f32_e32 vcc_lo, 0xc2ce8ed0, v8
	s_delay_alu instid0(VALU_DEP_3) | instskip(NEXT) | instid1(VALU_DEP_3)
	v_sub_f32_e32 v10, v12, v14
	v_exp_f32_e32 v9, v9
	s_waitcnt_depctr 0xfff
	v_ldexp_f32 v9, v9, v11
	v_cvt_i32_f32_e32 v11, v14
	s_delay_alu instid0(VALU_DEP_2) | instskip(SKIP_1) | instid1(VALU_DEP_2)
	v_cndmask_b32_e32 v9, 0, v9, vcc_lo
	v_cmp_nlt_f32_e32 vcc_lo, 0x42b17218, v8
	v_cndmask_b32_e32 v9, 0x7f800000, v9, vcc_lo
	v_cmp_ngt_f32_e32 vcc_lo, 0xc2ce8ed0, v0
	v_fmac_f32_e32 v13, 0x32a5705f, v0
	s_delay_alu instid0(VALU_DEP_1) | instskip(NEXT) | instid1(VALU_DEP_1)
	v_add_f32_e32 v10, v10, v13
	v_exp_f32_e32 v10, v10
	s_waitcnt_depctr 0xfff
	v_ldexp_f32 v10, v10, v11
	s_delay_alu instid0(VALU_DEP_1)
	v_dual_mov_b32 v11, v6 :: v_dual_cndmask_b32 v10, 0, v10
	v_cmp_le_f32_e32 vcc_lo, 0xc1a00000, v8
	s_waitcnt vmcnt(1)
	v_dual_cndmask_b32 v8, 0, v9 :: v_dual_mov_b32 v9, v5
	v_cmp_nlt_f32_e32 vcc_lo, 0x42b17218, v0
	v_cndmask_b32_e32 v5, 0x7f800000, v10, vcc_lo
	s_delay_alu instid0(VALU_DEP_3) | instskip(SKIP_2) | instid1(VALU_DEP_3)
	v_mul_f32_e32 v10, s11, v8
	v_cmp_le_f32_e32 vcc_lo, 0xc1a00000, v0
	v_mov_b32_e32 v0, v7
	v_mov_b32_e32 v6, v10
	s_waitcnt vmcnt(0)
	v_dual_cndmask_b32 v12, 0, v5 :: v_dual_mul_f32 v5, v4, v8
	s_delay_alu instid0(VALU_DEP_1) | instskip(NEXT) | instid1(VALU_DEP_2)
	v_dual_fmac_f32 v6, v11, v12 :: v_dual_add_nc_u32 v3, 0xfffff000, v3
	v_fmac_f32_e32 v5, v9, v12
	s_cbranch_scc0 .LBB21_3
	s_branch .LBB21_5
.LBB21_4:
	s_waitcnt lgkmcnt(0)
	v_mov_b32_e32 v6, s11
.LBB21_5:
	s_waitcnt vmcnt(0)
	s_delay_alu instid0(VALU_DEP_1) | instskip(NEXT) | instid1(VALU_DEP_1)
	v_div_scale_f32 v0, null, v6, v6, v5
	v_rcp_f32_e32 v3, v0
	s_waitcnt_depctr 0xfff
	v_fma_f32 v4, -v0, v3, 1.0
	s_delay_alu instid0(VALU_DEP_1) | instskip(SKIP_1) | instid1(VALU_DEP_1)
	v_fmac_f32_e32 v3, v4, v3
	v_div_scale_f32 v4, vcc_lo, v5, v6, v5
	v_mul_f32_e32 v7, v4, v3
	s_delay_alu instid0(VALU_DEP_1) | instskip(NEXT) | instid1(VALU_DEP_1)
	v_fma_f32 v8, -v0, v7, v4
	v_fmac_f32_e32 v7, v8, v3
	s_delay_alu instid0(VALU_DEP_1) | instskip(NEXT) | instid1(VALU_DEP_1)
	v_fma_f32 v0, -v0, v7, v4
	v_div_fmas_f32 v0, v0, v3, v7
	s_delay_alu instid0(VALU_DEP_1)
	v_div_fixup_f32 v0, v0, v6, v5
	global_store_b32 v[1:2], v0, off
.LBB21_6:
	s_nop 0
	s_sendmsg sendmsg(MSG_DEALLOC_VGPRS)
	s_endpgm
	.section	.rodata,"a",@progbits
	.p2align	6, 0x0
	.amdhsa_kernel _ZL33flash_attn_stream_k_fixup_uniformILi512ELi2ELi4EEvPfPK15HIP_vector_typeIfLj2EEiiiiiiS1_IjLj3EES5_S5_
		.amdhsa_group_segment_fixed_size 0
		.amdhsa_private_segment_fixed_size 0
		.amdhsa_kernarg_size 76
		.amdhsa_user_sgpr_count 13
		.amdhsa_user_sgpr_dispatch_ptr 0
		.amdhsa_user_sgpr_queue_ptr 0
		.amdhsa_user_sgpr_kernarg_segment_ptr 1
		.amdhsa_user_sgpr_dispatch_id 0
		.amdhsa_user_sgpr_private_segment_size 0
		.amdhsa_wavefront_size32 1
		.amdhsa_uses_dynamic_stack 0
		.amdhsa_enable_private_segment 0
		.amdhsa_system_sgpr_workgroup_id_x 1
		.amdhsa_system_sgpr_workgroup_id_y 1
		.amdhsa_system_sgpr_workgroup_id_z 1
		.amdhsa_system_sgpr_workgroup_info 0
		.amdhsa_system_vgpr_workitem_id 0
		.amdhsa_next_free_vgpr 15
		.amdhsa_next_free_sgpr 20
		.amdhsa_reserve_vcc 1
		.amdhsa_float_round_mode_32 0
		.amdhsa_float_round_mode_16_64 0
		.amdhsa_float_denorm_mode_32 3
		.amdhsa_float_denorm_mode_16_64 3
		.amdhsa_dx10_clamp 1
		.amdhsa_ieee_mode 1
		.amdhsa_fp16_overflow 0
		.amdhsa_workgroup_processor_mode 1
		.amdhsa_memory_ordered 1
		.amdhsa_forward_progress 0
		.amdhsa_shared_vgpr_count 0
		.amdhsa_exception_fp_ieee_invalid_op 0
		.amdhsa_exception_fp_denorm_src 0
		.amdhsa_exception_fp_ieee_div_zero 0
		.amdhsa_exception_fp_ieee_overflow 0
		.amdhsa_exception_fp_ieee_underflow 0
		.amdhsa_exception_fp_ieee_inexact 0
		.amdhsa_exception_int_div_zero 0
	.end_amdhsa_kernel
	.section	.text._ZL33flash_attn_stream_k_fixup_uniformILi512ELi2ELi4EEvPfPK15HIP_vector_typeIfLj2EEiiiiiiS1_IjLj3EES5_S5_,"axG",@progbits,_ZL33flash_attn_stream_k_fixup_uniformILi512ELi2ELi4EEvPfPK15HIP_vector_typeIfLj2EEiiiiiiS1_IjLj3EES5_S5_,comdat
.Lfunc_end21:
	.size	_ZL33flash_attn_stream_k_fixup_uniformILi512ELi2ELi4EEvPfPK15HIP_vector_typeIfLj2EEiiiiiiS1_IjLj3EES5_S5_, .Lfunc_end21-_ZL33flash_attn_stream_k_fixup_uniformILi512ELi2ELi4EEvPfPK15HIP_vector_typeIfLj2EEiiiiiiS1_IjLj3EES5_S5_
                                        ; -- End function
	.section	.AMDGPU.csdata,"",@progbits
; Kernel info:
; codeLenInByte = 996
; NumSgprs: 22
; NumVgprs: 15
; ScratchSize: 0
; MemoryBound: 0
; FloatMode: 240
; IeeeMode: 1
; LDSByteSize: 0 bytes/workgroup (compile time only)
; SGPRBlocks: 2
; VGPRBlocks: 1
; NumSGPRsForWavesPerEU: 22
; NumVGPRsForWavesPerEU: 15
; Occupancy: 16
; WaveLimiterHint : 0
; COMPUTE_PGM_RSRC2:SCRATCH_EN: 0
; COMPUTE_PGM_RSRC2:USER_SGPR: 13
; COMPUTE_PGM_RSRC2:TRAP_HANDLER: 0
; COMPUTE_PGM_RSRC2:TGID_X_EN: 1
; COMPUTE_PGM_RSRC2:TGID_Y_EN: 1
; COMPUTE_PGM_RSRC2:TGID_Z_EN: 1
; COMPUTE_PGM_RSRC2:TIDIG_COMP_CNT: 0
	.section	.text._ZL33flash_attn_stream_k_fixup_generalILi512ELi2ELi4EEvPfPK15HIP_vector_typeIfLj2EEiiiiS1_IjLj3EES5_S5_S5_,"axG",@progbits,_ZL33flash_attn_stream_k_fixup_generalILi512ELi2ELi4EEvPfPK15HIP_vector_typeIfLj2EEiiiiS1_IjLj3EES5_S5_S5_,comdat
	.globl	_ZL33flash_attn_stream_k_fixup_generalILi512ELi2ELi4EEvPfPK15HIP_vector_typeIfLj2EEiiiiS1_IjLj3EES5_S5_S5_ ; -- Begin function _ZL33flash_attn_stream_k_fixup_generalILi512ELi2ELi4EEvPfPK15HIP_vector_typeIfLj2EEiiiiS1_IjLj3EES5_S5_S5_
	.p2align	8
	.type	_ZL33flash_attn_stream_k_fixup_generalILi512ELi2ELi4EEvPfPK15HIP_vector_typeIfLj2EEiiiiS1_IjLj3EES5_S5_S5_,@function
_ZL33flash_attn_stream_k_fixup_generalILi512ELi2ELi4EEvPfPK15HIP_vector_typeIfLj2EEiiiiS1_IjLj3EES5_S5_S5_: ; @_ZL33flash_attn_stream_k_fixup_generalILi512ELi2ELi4EEvPfPK15HIP_vector_typeIfLj2EEiiiiS1_IjLj3EES5_S5_S5_
; %bb.0:
	s_clause 0x1
	s_load_b128 s[4:7], s[0:1], 0x10
	s_load_b32 s20, s[0:1], 0x50
	s_mov_b32 s2, 0
	s_waitcnt lgkmcnt(0)
	s_mul_hi_i32 s3, s7, s13
	s_mul_i32 s12, s7, s13
	s_cmp_lg_u64 s[2:3], 0
	s_cbranch_scc0 .LBB22_21
; %bb.1:
	v_cvt_f32_ubyte0_e32 v1, 0
	v_cvt_f32_u32_e32 v2, s20
	s_sub_u32 s10, 0, s20
	s_subb_u32 s11, 0, 0
	s_delay_alu instid0(VALU_DEP_1) | instskip(NEXT) | instid1(VALU_DEP_1)
	v_fmamk_f32 v1, v1, 0x4f800000, v2
	v_rcp_f32_e32 v1, v1
	s_waitcnt_depctr 0xfff
	v_mul_f32_e32 v1, 0x5f7ffffc, v1
	s_delay_alu instid0(VALU_DEP_1) | instskip(NEXT) | instid1(VALU_DEP_1)
	v_mul_f32_e32 v2, 0x2f800000, v1
	v_trunc_f32_e32 v2, v2
	s_delay_alu instid0(VALU_DEP_1) | instskip(SKIP_1) | instid1(VALU_DEP_2)
	v_fmamk_f32 v1, v2, 0xcf800000, v1
	v_cvt_u32_f32_e32 v2, v2
	v_cvt_u32_f32_e32 v1, v1
	s_delay_alu instid0(VALU_DEP_2) | instskip(NEXT) | instid1(VALU_DEP_2)
	v_readfirstlane_b32 s8, v2
	v_readfirstlane_b32 s9, v1
	s_delay_alu instid0(VALU_DEP_2) | instskip(NEXT) | instid1(VALU_DEP_1)
	s_mul_i32 s16, s10, s8
	s_mul_hi_u32 s18, s10, s9
	s_mul_i32 s17, s11, s9
	s_add_i32 s16, s18, s16
	s_mul_i32 s19, s10, s9
	s_add_i32 s16, s16, s17
	s_mul_hi_u32 s18, s9, s19
	s_mul_hi_u32 s21, s8, s19
	s_mul_i32 s17, s8, s19
	s_mul_hi_u32 s19, s9, s16
	s_mul_i32 s9, s9, s16
	s_mul_hi_u32 s22, s8, s16
	s_add_u32 s9, s18, s9
	s_addc_u32 s18, 0, s19
	s_add_u32 s9, s9, s17
	s_mul_i32 s16, s8, s16
	s_addc_u32 s9, s18, s21
	s_addc_u32 s17, s22, 0
	s_add_u32 s9, s9, s16
	s_addc_u32 s16, 0, s17
	v_add_co_u32 v1, s9, v1, s9
	s_delay_alu instid0(VALU_DEP_1) | instskip(SKIP_1) | instid1(VALU_DEP_1)
	s_cmp_lg_u32 s9, 0
	s_addc_u32 s8, s8, s16
	v_readfirstlane_b32 s9, v1
	s_mul_i32 s16, s10, s8
	s_delay_alu instid0(VALU_DEP_1)
	s_mul_hi_u32 s17, s10, s9
	s_mul_i32 s11, s11, s9
	s_add_i32 s16, s17, s16
	s_mul_i32 s10, s10, s9
	s_add_i32 s16, s16, s11
	s_mul_hi_u32 s17, s8, s10
	s_mul_i32 s18, s8, s10
	s_mul_hi_u32 s10, s9, s10
	s_mul_hi_u32 s19, s9, s16
	s_mul_i32 s9, s9, s16
	s_mul_hi_u32 s11, s8, s16
	s_add_u32 s9, s10, s9
	s_addc_u32 s10, 0, s19
	s_add_u32 s9, s9, s18
	s_mul_i32 s16, s8, s16
	s_addc_u32 s9, s10, s17
	s_addc_u32 s10, s11, 0
	s_add_u32 s9, s9, s16
	s_addc_u32 s10, 0, s10
	v_add_co_u32 v1, s9, v1, s9
	s_delay_alu instid0(VALU_DEP_1) | instskip(SKIP_2) | instid1(SALU_CYCLE_1)
	s_cmp_lg_u32 s9, 0
	s_addc_u32 s16, s8, s10
	s_ashr_i32 s8, s3, 31
	s_add_u32 s10, s12, s8
	s_addc_u32 s11, s3, s8
	v_readfirstlane_b32 s3, v1
	s_mov_b32 s9, s8
	s_delay_alu instid0(SALU_CYCLE_1) | instskip(NEXT) | instid1(SALU_CYCLE_1)
	s_xor_b64 s[10:11], s[10:11], s[8:9]
	s_mul_i32 s18, s10, s16
	s_delay_alu instid0(VALU_DEP_1)
	s_mul_hi_u32 s19, s10, s3
	s_mul_hi_u32 s17, s10, s16
	s_mul_hi_u32 s22, s11, s3
	s_mul_i32 s3, s11, s3
	s_add_u32 s18, s19, s18
	s_addc_u32 s17, 0, s17
	s_mul_hi_u32 s21, s11, s16
	s_add_u32 s3, s18, s3
	s_mul_i32 s16, s11, s16
	s_addc_u32 s3, s17, s22
	s_addc_u32 s17, s21, 0
	s_add_u32 s3, s3, s16
	s_addc_u32 s16, 0, s17
	s_mul_i32 s18, s20, s3
	s_add_u32 s17, s3, 1
	v_sub_co_u32 v1, s10, s10, s18
	s_mul_hi_u32 s18, s20, s3
	s_addc_u32 s19, s16, 0
	s_mul_i32 s21, s20, s16
	s_delay_alu instid0(VALU_DEP_1)
	v_sub_co_u32 v2, s22, v1, s20
	s_add_u32 s23, s3, 2
	s_addc_u32 s24, s16, 0
	s_add_i32 s18, s18, s21
	s_cmp_lg_u32 s10, 0
	v_readfirstlane_b32 s10, v2
	s_subb_u32 s11, s11, s18
	s_cmp_lg_u32 s22, 0
	s_subb_u32 s18, s11, 0
	s_delay_alu instid0(VALU_DEP_1) | instskip(SKIP_4) | instid1(SALU_CYCLE_1)
	s_cmp_ge_u32 s10, s20
	s_cselect_b32 s10, -1, 0
	s_cmp_eq_u32 s18, 0
	v_readfirstlane_b32 s18, v1
	s_cselect_b32 s10, s10, -1
	s_cmp_lg_u32 s10, 0
	s_cselect_b32 s10, s23, s17
	s_cselect_b32 s17, s24, s19
	s_cmp_ge_u32 s18, s20
	s_cselect_b32 s18, -1, 0
	s_cmp_eq_u32 s11, 0
	s_cselect_b32 s11, s18, -1
	s_delay_alu instid0(SALU_CYCLE_1) | instskip(SKIP_2) | instid1(SALU_CYCLE_1)
	s_cmp_lg_u32 s11, 0
	s_cselect_b32 s11, s17, s16
	s_cselect_b32 s10, s10, s3
	s_xor_b64 s[10:11], s[10:11], s[8:9]
	s_delay_alu instid0(SALU_CYCLE_1)
	s_sub_u32 s16, s10, s8
	s_load_b128 s[8:11], s[0:1], 0x44
	s_and_not1_b32 vcc_lo, exec_lo, s2
	s_cbranch_vccnz .LBB22_3
.LBB22_2:
	v_cvt_f32_u32_e32 v1, s20
	s_sub_i32 s3, 0, s20
	s_delay_alu instid0(VALU_DEP_1) | instskip(SKIP_2) | instid1(VALU_DEP_1)
	v_rcp_iflag_f32_e32 v1, v1
	s_waitcnt_depctr 0xfff
	v_mul_f32_e32 v1, 0x4f7ffffe, v1
	v_cvt_u32_f32_e32 v1, v1
	s_delay_alu instid0(VALU_DEP_1) | instskip(NEXT) | instid1(VALU_DEP_1)
	v_readfirstlane_b32 s2, v1
	s_mul_i32 s3, s3, s2
	s_delay_alu instid0(SALU_CYCLE_1) | instskip(NEXT) | instid1(SALU_CYCLE_1)
	s_mul_hi_u32 s3, s2, s3
	s_add_i32 s2, s2, s3
	s_delay_alu instid0(SALU_CYCLE_1) | instskip(NEXT) | instid1(SALU_CYCLE_1)
	s_mul_hi_u32 s2, s12, s2
	s_mul_i32 s3, s2, s20
	s_waitcnt lgkmcnt(0)
	s_add_i32 s11, s2, 1
	s_sub_i32 s3, s12, s3
	s_delay_alu instid0(SALU_CYCLE_1)
	s_sub_i32 s12, s3, s20
	s_cmp_ge_u32 s3, s20
	s_cselect_b32 s2, s11, s2
	s_cselect_b32 s3, s12, s3
	s_add_i32 s11, s2, 1
	s_cmp_ge_u32 s3, s20
	s_cselect_b32 s16, s11, s2
.LBB22_3:
	s_waitcnt lgkmcnt(0)
	s_add_i32 s11, s13, 1
	s_mov_b32 s2, 0
	s_mul_hi_i32 s3, s7, s11
	s_mul_i32 s11, s7, s11
	s_cmp_lg_u64 s[2:3], 0
	s_cbranch_scc0 .LBB22_22
; %bb.4:
	v_cvt_f32_ubyte0_e32 v1, 0
	v_cvt_f32_u32_e32 v2, s20
	s_sub_u32 s18, 0, s20
	s_subb_u32 s19, 0, 0
	s_delay_alu instid0(VALU_DEP_1) | instskip(NEXT) | instid1(VALU_DEP_1)
	v_fmamk_f32 v1, v1, 0x4f800000, v2
	v_rcp_f32_e32 v1, v1
	s_waitcnt_depctr 0xfff
	v_mul_f32_e32 v1, 0x5f7ffffc, v1
	s_delay_alu instid0(VALU_DEP_1) | instskip(NEXT) | instid1(VALU_DEP_1)
	v_mul_f32_e32 v2, 0x2f800000, v1
	v_trunc_f32_e32 v2, v2
	s_delay_alu instid0(VALU_DEP_1) | instskip(SKIP_1) | instid1(VALU_DEP_2)
	v_fmamk_f32 v1, v2, 0xcf800000, v1
	v_cvt_u32_f32_e32 v2, v2
	v_cvt_u32_f32_e32 v1, v1
	s_delay_alu instid0(VALU_DEP_2) | instskip(NEXT) | instid1(VALU_DEP_2)
	v_readfirstlane_b32 s12, v2
	v_readfirstlane_b32 s17, v1
	s_delay_alu instid0(VALU_DEP_2) | instskip(NEXT) | instid1(VALU_DEP_1)
	s_mul_i32 s21, s18, s12
	s_mul_hi_u32 s23, s18, s17
	s_mul_i32 s22, s19, s17
	s_add_i32 s21, s23, s21
	s_mul_i32 s24, s18, s17
	s_add_i32 s21, s21, s22
	s_mul_hi_u32 s23, s17, s24
	s_mul_hi_u32 s25, s12, s24
	s_mul_i32 s22, s12, s24
	s_mul_hi_u32 s24, s17, s21
	s_mul_i32 s17, s17, s21
	s_mul_hi_u32 s26, s12, s21
	s_add_u32 s17, s23, s17
	s_addc_u32 s23, 0, s24
	s_add_u32 s17, s17, s22
	s_mul_i32 s21, s12, s21
	s_addc_u32 s17, s23, s25
	s_addc_u32 s22, s26, 0
	s_add_u32 s17, s17, s21
	s_addc_u32 s21, 0, s22
	v_add_co_u32 v1, s17, v1, s17
	s_delay_alu instid0(VALU_DEP_1) | instskip(SKIP_1) | instid1(VALU_DEP_1)
	s_cmp_lg_u32 s17, 0
	s_addc_u32 s12, s12, s21
	v_readfirstlane_b32 s17, v1
	s_mul_i32 s21, s18, s12
	s_delay_alu instid0(VALU_DEP_1)
	s_mul_hi_u32 s22, s18, s17
	s_mul_i32 s19, s19, s17
	s_add_i32 s21, s22, s21
	s_mul_i32 s18, s18, s17
	s_add_i32 s21, s21, s19
	s_mul_hi_u32 s22, s12, s18
	s_mul_i32 s23, s12, s18
	s_mul_hi_u32 s18, s17, s18
	s_mul_hi_u32 s24, s17, s21
	s_mul_i32 s17, s17, s21
	s_mul_hi_u32 s19, s12, s21
	s_add_u32 s17, s18, s17
	s_addc_u32 s18, 0, s24
	s_add_u32 s17, s17, s23
	s_mul_i32 s21, s12, s21
	s_addc_u32 s17, s18, s22
	s_addc_u32 s18, s19, 0
	s_add_u32 s17, s17, s21
	s_addc_u32 s18, 0, s18
	v_add_co_u32 v1, s17, v1, s17
	s_delay_alu instid0(VALU_DEP_1) | instskip(SKIP_2) | instid1(SALU_CYCLE_1)
	s_cmp_lg_u32 s17, 0
	s_addc_u32 s12, s12, s18
	s_ashr_i32 s18, s3, 31
	s_add_u32 s22, s11, s18
	s_addc_u32 s23, s3, s18
	v_readfirstlane_b32 s3, v1
	s_mov_b32 s19, s18
	s_delay_alu instid0(SALU_CYCLE_1) | instskip(NEXT) | instid1(SALU_CYCLE_1)
	s_xor_b64 s[22:23], s[22:23], s[18:19]
	s_mul_i32 s21, s22, s12
	s_delay_alu instid0(VALU_DEP_1)
	s_mul_hi_u32 s24, s22, s3
	s_mul_hi_u32 s17, s22, s12
	;; [unrolled: 1-line block ×3, first 2 shown]
	s_mul_i32 s3, s23, s3
	s_add_u32 s21, s24, s21
	s_addc_u32 s17, 0, s17
	s_mul_hi_u32 s25, s23, s12
	s_add_u32 s3, s21, s3
	s_mul_i32 s12, s23, s12
	s_addc_u32 s3, s17, s26
	s_addc_u32 s17, s25, 0
	s_add_u32 s3, s3, s12
	s_addc_u32 s12, 0, s17
	s_mul_i32 s21, s20, s3
	s_add_u32 s17, s3, 1
	v_sub_co_u32 v1, s21, s22, s21
	s_mul_hi_u32 s22, s20, s3
	s_addc_u32 s24, s12, 0
	s_mul_i32 s25, s20, s12
	s_delay_alu instid0(VALU_DEP_1)
	v_sub_co_u32 v2, s26, v1, s20
	s_add_u32 s27, s3, 2
	s_addc_u32 s28, s12, 0
	s_add_i32 s22, s22, s25
	s_cmp_lg_u32 s21, 0
	v_readfirstlane_b32 s21, v2
	s_subb_u32 s22, s23, s22
	s_cmp_lg_u32 s26, 0
	s_subb_u32 s23, s22, 0
	s_delay_alu instid0(VALU_DEP_1) | instskip(SKIP_4) | instid1(SALU_CYCLE_1)
	s_cmp_ge_u32 s21, s20
	s_cselect_b32 s21, -1, 0
	s_cmp_eq_u32 s23, 0
	v_readfirstlane_b32 s23, v1
	s_cselect_b32 s21, s21, -1
	s_cmp_lg_u32 s21, 0
	s_cselect_b32 s17, s27, s17
	s_cselect_b32 s21, s28, s24
	s_cmp_ge_u32 s23, s20
	s_cselect_b32 s23, -1, 0
	s_cmp_eq_u32 s22, 0
	s_cselect_b32 s22, s23, -1
	s_delay_alu instid0(SALU_CYCLE_1) | instskip(SKIP_2) | instid1(SALU_CYCLE_1)
	s_cmp_lg_u32 s22, 0
	s_cselect_b32 s23, s21, s12
	s_cselect_b32 s22, s17, s3
	s_xor_b64 s[22:23], s[22:23], s[18:19]
	s_delay_alu instid0(SALU_CYCLE_1)
	s_sub_u32 s18, s22, s18
	s_and_not1_b32 vcc_lo, exec_lo, s2
	s_cbranch_vccnz .LBB22_6
.LBB22_5:
	v_cvt_f32_u32_e32 v1, s20
	s_sub_i32 s3, 0, s20
	s_delay_alu instid0(VALU_DEP_1) | instskip(SKIP_2) | instid1(VALU_DEP_1)
	v_rcp_iflag_f32_e32 v1, v1
	s_waitcnt_depctr 0xfff
	v_mul_f32_e32 v1, 0x4f7ffffe, v1
	v_cvt_u32_f32_e32 v1, v1
	s_delay_alu instid0(VALU_DEP_1) | instskip(NEXT) | instid1(VALU_DEP_1)
	v_readfirstlane_b32 s2, v1
	s_mul_i32 s3, s3, s2
	s_delay_alu instid0(SALU_CYCLE_1) | instskip(NEXT) | instid1(SALU_CYCLE_1)
	s_mul_hi_u32 s3, s2, s3
	s_add_i32 s2, s2, s3
	s_delay_alu instid0(SALU_CYCLE_1) | instskip(NEXT) | instid1(SALU_CYCLE_1)
	s_mul_hi_u32 s2, s11, s2
	s_mul_i32 s3, s2, s20
	s_delay_alu instid0(SALU_CYCLE_1)
	s_sub_i32 s3, s11, s3
	s_add_i32 s11, s2, 1
	s_sub_i32 s12, s3, s20
	s_cmp_ge_u32 s3, s20
	s_cselect_b32 s2, s11, s2
	s_cselect_b32 s3, s12, s3
	s_add_i32 s11, s2, 1
	s_cmp_ge_u32 s3, s20
	s_cselect_b32 s18, s11, s2
.LBB22_6:
	s_delay_alu instid0(SALU_CYCLE_1) | instskip(SKIP_3) | instid1(SALU_CYCLE_1)
	s_cmp_eq_u32 s16, s18
	s_mul_hi_u32 s2, s16, s8
	s_cselect_b32 s3, -1, 0
	s_add_i32 s2, s2, s16
	s_lshr_b32 s11, s2, s9
	s_delay_alu instid0(SALU_CYCLE_1) | instskip(NEXT) | instid1(SALU_CYCLE_1)
	s_mul_i32 s2, s11, s10
	s_cmp_eq_u32 s2, s16
	s_mul_hi_u32 s2, s18, s8
	s_cselect_b32 s12, -1, 0
	s_add_i32 s2, s2, s18
	s_delay_alu instid0(SALU_CYCLE_1) | instskip(NEXT) | instid1(SALU_CYCLE_1)
	s_lshr_b32 s2, s2, s9
	s_cmp_eq_u32 s11, s2
	s_mul_i32 s2, s2, s10
	s_cselect_b32 s17, -1, 0
	s_cmp_lg_u32 s2, s18
	s_cselect_b32 s2, -1, 0
	s_or_b32 s3, s3, s12
	s_and_b32 s2, s17, s2
	s_delay_alu instid0(SALU_CYCLE_1) | instskip(NEXT) | instid1(SALU_CYCLE_1)
	s_or_b32 s2, s3, s2
	s_and_b32 vcc_lo, exec_lo, s2
	s_cbranch_vccnz .LBB22_24
; %bb.7:
	s_load_b256 s[24:31], s[0:1], 0x20
	s_waitcnt lgkmcnt(0)
	s_mul_hi_u32 s2, s16, s24
	s_delay_alu instid0(SALU_CYCLE_1) | instskip(NEXT) | instid1(SALU_CYCLE_1)
	s_add_i32 s2, s2, s16
	s_lshr_b32 s17, s2, s25
	s_load_b32 s2, s[0:1], 0x40
	s_mul_i32 s3, s17, s26
	s_delay_alu instid0(SALU_CYCLE_1) | instskip(NEXT) | instid1(SALU_CYCLE_1)
	s_sub_i32 s3, s16, s3
	s_mul_hi_u32 s12, s3, s27
	s_delay_alu instid0(SALU_CYCLE_1) | instskip(NEXT) | instid1(SALU_CYCLE_1)
	s_add_i32 s12, s3, s12
	s_lshr_b32 s21, s12, s28
	s_delay_alu instid0(SALU_CYCLE_1) | instskip(NEXT) | instid1(SALU_CYCLE_1)
	s_mul_i32 s12, s21, s29
	s_sub_i32 s3, s3, s12
	s_delay_alu instid0(SALU_CYCLE_1) | instskip(NEXT) | instid1(SALU_CYCLE_1)
	s_mul_hi_u32 s12, s3, s30
	s_add_i32 s12, s3, s12
	s_delay_alu instid0(SALU_CYCLE_1)
	s_lshr_b32 s12, s12, s31
	s_waitcnt lgkmcnt(0)
	s_mul_i32 s2, s12, s2
	s_lshl_b32 s23, s12, 2
	s_sub_i32 s2, s3, s2
	s_mov_b32 s12, 0
	s_mul_hi_u32 s3, s2, s8
	s_delay_alu instid0(SALU_CYCLE_1) | instskip(NEXT) | instid1(SALU_CYCLE_1)
	s_add_i32 s2, s2, s3
	s_lshr_b32 s22, s2, s9
	s_delay_alu instid0(SALU_CYCLE_1) | instskip(NEXT) | instid1(SALU_CYCLE_1)
	s_lshl_b32 s2, s22, 1
	s_add_i32 s2, s2, s14
	s_delay_alu instid0(SALU_CYCLE_1) | instskip(SKIP_2) | instid1(SALU_CYCLE_1)
	s_cmp_lt_i32 s2, s4
	s_cselect_b32 s2, -1, 0
	s_add_i32 s3, s23, s15
	s_cmp_lt_i32 s3, s6
	s_cselect_b32 s3, -1, 0
	s_delay_alu instid0(SALU_CYCLE_1) | instskip(NEXT) | instid1(SALU_CYCLE_1)
	s_and_b32 s2, s2, s3
	s_and_not1_b32 vcc_lo, exec_lo, s2
	s_cbranch_vccnz .LBB22_24
; %bb.8:
	s_load_b128 s[0:3], s[0:1], 0x0
	s_lshl_b32 s18, s20, 5
	s_mov_b32 s19, s12
	s_lshl_b32 s24, s14, 2
	s_lshl_b64 s[18:19], s[18:19], 2
	s_mul_i32 s4, s17, s4
	s_add_i32 s17, s24, s15
	s_mul_i32 s21, s21, s6
	v_cvt_f32_ubyte0_e32 v4, 0
	v_cvt_f32_u32_e32 v5, s20
	s_waitcnt lgkmcnt(0)
	s_add_u32 s18, s2, s18
	s_addc_u32 s19, s3, s19
	s_add_i32 s4, s4, s14
	s_delay_alu instid0(SALU_CYCLE_1) | instskip(SKIP_4) | instid1(SALU_CYCLE_1)
	s_mul_i32 s4, s4, s5
	s_mul_i32 s5, s5, s22
	s_add_i32 s4, s4, s15
	s_lshl_b32 s5, s5, 10
	s_add_i32 s4, s4, s21
	s_add_i32 s4, s4, s23
	s_delay_alu instid0(SALU_CYCLE_1) | instskip(NEXT) | instid1(SALU_CYCLE_1)
	s_lshl_b32 s4, s4, 9
	s_add_i32 s5, s5, s4
	s_delay_alu instid0(SALU_CYCLE_1) | instskip(SKIP_1) | instid1(VALU_DEP_2)
	v_or_b32_e32 v1, s5, v0
	v_lshl_or_b32 v0, s17, 9, v0
	v_ashrrev_i32_e32 v2, 31, v1
	s_delay_alu instid0(VALU_DEP_1) | instskip(NEXT) | instid1(VALU_DEP_1)
	v_lshlrev_b64 v[1:2], 2, v[1:2]
	v_add_co_u32 v1, vcc_lo, s0, v1
	s_delay_alu instid0(VALU_DEP_2) | instskip(SKIP_1) | instid1(SALU_CYCLE_1)
	v_add_co_ci_u32_e32 v2, vcc_lo, s1, v2, vcc_lo
	s_lshl_b32 s0, s13, 3
	s_add_i32 s0, s17, s0
	global_load_b32 v3, v[1:2], off
	s_ashr_i32 s1, s0, 31
	s_delay_alu instid0(SALU_CYCLE_1) | instskip(NEXT) | instid1(SALU_CYCLE_1)
	s_lshl_b64 s[0:1], s[0:1], 3
	s_add_u32 s0, s2, s0
	s_addc_u32 s1, s3, s1
	s_add_i32 s14, s13, -1
	s_load_b64 s[0:1], s[0:1], 0x0
	v_fmac_f32_e32 v5, 0x4f800000, v4
	s_sub_i32 s6, 0, s20
	s_waitcnt lgkmcnt(0)
	v_mov_b32_e32 v8, s0
	s_delay_alu instid0(VALU_DEP_2) | instskip(SKIP_2) | instid1(VALU_DEP_2)
	v_rcp_f32_e32 v4, v5
	v_cvt_f32_u32_e32 v5, s20
	v_mov_b32_e32 v7, s1
	v_rcp_iflag_f32_e32 v5, v5
	s_waitcnt_depctr 0xfff
	v_mul_f32_e32 v4, 0x5f7ffffc, v4
	s_delay_alu instid0(VALU_DEP_1) | instskip(SKIP_1) | instid1(VALU_DEP_2)
	v_mul_f32_e32 v6, 0x2f800000, v4
	v_mul_f32_e32 v9, 0x4f7ffffe, v5
	v_trunc_f32_e32 v6, v6
	s_delay_alu instid0(VALU_DEP_1) | instskip(SKIP_1) | instid1(VALU_DEP_4)
	v_fmac_f32_e32 v4, 0xcf800000, v6
	v_cvt_u32_f32_e32 v5, v6
	v_cvt_u32_f32_e32 v6, v9
	s_delay_alu instid0(VALU_DEP_3)
	v_cvt_u32_f32_e32 v4, v4
.LBB22_9:                               ; =>This Inner Loop Header: Depth=1
	s_mul_hi_i32 s13, s14, s7
	s_mul_i32 s4, s14, s7
	s_cmp_lg_u64 s[12:13], 0
	s_mov_b32 s5, -1
                                        ; implicit-def: $sgpr0_sgpr1
	s_cbranch_scc0 .LBB22_11
; %bb.10:                               ;   in Loop: Header=BB22_9 Depth=1
	v_readfirstlane_b32 s0, v4
	v_readfirstlane_b32 s1, v5
	s_sub_u32 s5, 0, s20
	s_subb_u32 s15, 0, 0
	s_delay_alu instid0(VALU_DEP_2) | instskip(NEXT) | instid1(VALU_DEP_1)
	s_mul_hi_u32 s21, s5, s0
	s_mul_i32 s22, s5, s1
	s_mul_i32 s23, s15, s0
	s_add_i32 s21, s21, s22
	s_mul_i32 s22, s5, s0
	s_add_i32 s21, s21, s23
	s_mul_hi_u32 s23, s0, s22
	s_mul_i32 s24, s0, s21
	s_mul_hi_u32 s0, s0, s21
	s_add_u32 s23, s23, s24
	s_mul_i32 s25, s1, s22
	s_addc_u32 s0, 0, s0
	s_mul_hi_u32 s22, s1, s22
	s_mul_hi_u32 s24, s1, s21
	s_add_u32 s23, s23, s25
	s_addc_u32 s0, s0, s22
	s_mul_i32 s21, s1, s21
	s_addc_u32 s22, s24, 0
	s_add_u32 s0, s0, s21
	s_addc_u32 s21, 0, s22
	v_add_co_u32 v9, s0, v4, s0
	s_delay_alu instid0(VALU_DEP_1) | instskip(SKIP_1) | instid1(VALU_DEP_1)
	s_cmp_lg_u32 s0, 0
	s_addc_u32 s1, s1, s21
	v_readfirstlane_b32 s0, v9
	s_mul_i32 s21, s5, s1
	s_delay_alu instid0(VALU_DEP_1)
	s_mul_hi_u32 s22, s5, s0
	s_mul_i32 s15, s15, s0
	s_add_i32 s21, s22, s21
	s_mul_i32 s5, s5, s0
	s_add_i32 s21, s21, s15
	s_mul_hi_u32 s15, s1, s5
	s_mul_i32 s23, s1, s5
	s_mul_i32 s24, s0, s21
	s_mul_hi_u32 s5, s0, s5
	s_mul_hi_u32 s0, s0, s21
	s_add_u32 s5, s5, s24
	s_addc_u32 s0, 0, s0
	s_mul_hi_u32 s22, s1, s21
	s_add_u32 s5, s5, s23
	s_addc_u32 s0, s0, s15
	s_mul_i32 s5, s1, s21
	s_addc_u32 s15, s22, 0
	s_add_u32 s0, s0, s5
	s_addc_u32 s5, 0, s15
	v_add_co_u32 v9, s0, v9, s0
	s_delay_alu instid0(VALU_DEP_1) | instskip(SKIP_2) | instid1(SALU_CYCLE_1)
	s_cmp_lg_u32 s0, 0
	s_addc_u32 s5, s1, s5
	s_ashr_i32 s0, s13, 31
	s_add_u32 s22, s4, s0
	s_addc_u32 s23, s13, s0
	v_readfirstlane_b32 s13, v9
	s_mov_b32 s1, s0
	s_delay_alu instid0(SALU_CYCLE_1) | instskip(NEXT) | instid1(SALU_CYCLE_1)
	s_xor_b64 s[22:23], s[22:23], s[0:1]
	s_mul_i32 s15, s22, s5
	s_delay_alu instid0(VALU_DEP_1)
	s_mul_hi_u32 s21, s22, s13
	s_mul_hi_u32 s24, s22, s5
	s_add_u32 s15, s21, s15
	s_mul_i32 s25, s23, s13
	s_addc_u32 s21, 0, s24
	s_mul_hi_u32 s13, s23, s13
	s_mul_hi_u32 s24, s23, s5
	s_add_u32 s15, s15, s25
	s_addc_u32 s13, s21, s13
	s_mul_i32 s5, s23, s5
	s_addc_u32 s15, s24, 0
	s_add_u32 s5, s13, s5
	s_addc_u32 s13, 0, s15
	s_mul_i32 s21, s20, s5
	s_add_u32 s15, s5, 1
	v_sub_co_u32 v9, s21, s22, s21
	s_addc_u32 s22, s13, 0
	s_mul_i32 s25, s20, s13
	s_mul_hi_u32 s27, s20, s5
	s_delay_alu instid0(VALU_DEP_1)
	v_sub_co_u32 v10, s26, v9, s20
	s_add_u32 s24, s5, 2
	s_addc_u32 s28, s13, 0
	s_add_i32 s27, s27, s25
	s_cmp_lg_u32 s21, 0
	v_readfirstlane_b32 s21, v10
	s_subb_u32 s23, s23, s27
	s_cmp_lg_u32 s26, 0
	s_subb_u32 s25, s23, 0
	s_delay_alu instid0(VALU_DEP_1) | instskip(SKIP_4) | instid1(SALU_CYCLE_1)
	s_cmp_ge_u32 s21, s20
	s_cselect_b32 s21, -1, 0
	s_cmp_eq_u32 s25, 0
	v_readfirstlane_b32 s25, v9
	s_cselect_b32 s21, s21, -1
	s_cmp_lg_u32 s21, 0
	s_cselect_b32 s15, s24, s15
	s_cselect_b32 s21, s28, s22
	s_cmp_ge_u32 s25, s20
	s_cselect_b32 s22, -1, 0
	s_cmp_eq_u32 s23, 0
	s_cselect_b32 s22, s22, -1
	s_delay_alu instid0(SALU_CYCLE_1) | instskip(SKIP_4) | instid1(SALU_CYCLE_1)
	s_cmp_lg_u32 s22, 0
	s_cselect_b32 s23, s21, s13
	s_cselect_b32 s22, s15, s5
	s_mov_b32 s5, 0
	s_xor_b64 s[22:23], s[22:23], s[0:1]
	s_sub_u32 s0, s22, s0
.LBB22_11:                              ;   in Loop: Header=BB22_9 Depth=1
	s_and_not1_b32 vcc_lo, exec_lo, s5
	s_cbranch_vccnz .LBB22_13
; %bb.12:                               ;   in Loop: Header=BB22_9 Depth=1
	v_readfirstlane_b32 s0, v6
	s_delay_alu instid0(VALU_DEP_1) | instskip(NEXT) | instid1(SALU_CYCLE_1)
	s_mul_i32 s1, s6, s0
	s_mul_hi_u32 s1, s0, s1
	s_delay_alu instid0(SALU_CYCLE_1) | instskip(NEXT) | instid1(SALU_CYCLE_1)
	s_add_i32 s0, s0, s1
	s_mul_hi_u32 s0, s4, s0
	s_delay_alu instid0(SALU_CYCLE_1) | instskip(NEXT) | instid1(SALU_CYCLE_1)
	s_mul_i32 s1, s0, s20
	s_sub_i32 s1, s4, s1
	s_add_i32 s4, s0, 1
	s_sub_i32 s5, s1, s20
	s_cmp_ge_u32 s1, s20
	s_cselect_b32 s0, s4, s0
	s_cselect_b32 s1, s5, s1
	s_add_i32 s4, s0, 1
	s_cmp_ge_u32 s1, s20
	s_cselect_b32 s0, s4, s0
.LBB22_13:                              ;   in Loop: Header=BB22_9 Depth=1
	s_delay_alu instid0(SALU_CYCLE_1)
	s_cmp_lg_u32 s16, s0
	s_cbranch_scc0 .LBB22_17
; %bb.14:                               ;   in Loop: Header=BB22_9 Depth=1
	s_add_i32 s1, s14, s20
	s_mov_b32 s5, s12
	s_lshl_b32 s1, s1, 3
	s_mov_b32 s15, s16
	s_add_i32 s4, s1, s17
	s_mul_hi_u32 s1, s0, s8
	s_lshl_b64 s[4:5], s[4:5], 3
	s_delay_alu instid0(SALU_CYCLE_1) | instskip(SKIP_2) | instid1(SALU_CYCLE_1)
	s_add_u32 s4, s2, s4
	s_addc_u32 s5, s3, s5
	s_add_i32 s1, s1, s0
	s_lshr_b32 s1, s1, s9
	s_delay_alu instid0(SALU_CYCLE_1) | instskip(NEXT) | instid1(SALU_CYCLE_1)
	s_mul_i32 s13, s1, s10
	s_cmp_eq_u32 s13, s0
	s_cselect_b32 s13, -1, 0
	s_cmp_lt_u32 s1, s11
	s_cselect_b32 s1, -1, 0
	s_delay_alu instid0(SALU_CYCLE_1)
	s_or_b32 s1, s1, s13
	s_mov_b32 s13, -1
	s_and_b32 vcc_lo, exec_lo, s1
	s_mov_b32 s1, s14
	s_cbranch_vccnz .LBB22_16
; %bb.15:                               ;   in Loop: Header=BB22_9 Depth=1
	s_add_i32 s1, s14, -1
	s_mov_b32 s13, 0
	s_mov_b32 s15, s0
.LBB22_16:                              ;   in Loop: Header=BB22_9 Depth=1
	v_lshl_add_u32 v9, s14, 12, v0
	s_load_b64 s[4:5], s[4:5], 0x0
	s_delay_alu instid0(VALU_DEP_1) | instskip(NEXT) | instid1(VALU_DEP_1)
	v_ashrrev_i32_e32 v10, 31, v9
	v_lshlrev_b64 v[9:10], 2, v[9:10]
	s_delay_alu instid0(VALU_DEP_1) | instskip(NEXT) | instid1(VALU_DEP_2)
	v_add_co_u32 v9, vcc_lo, s18, v9
	v_add_co_ci_u32_e32 v10, vcc_lo, s19, v10, vcc_lo
	s_waitcnt lgkmcnt(0)
	v_max_f32_e64 v11, s4, s4
	global_load_b32 v10, v[9:10], off
	v_max_f32_e32 v9, v8, v8
	s_delay_alu instid0(VALU_DEP_1) | instskip(NEXT) | instid1(VALU_DEP_1)
	v_max_f32_e32 v9, v9, v11
	v_sub_f32_e32 v12, v8, v9
	s_delay_alu instid0(VALU_DEP_1) | instskip(NEXT) | instid1(VALU_DEP_1)
	v_dual_mul_f32 v14, 0x3fb8aa3b, v12 :: v_dual_sub_f32 v11, s4, v9
	v_rndne_f32_e32 v18, v14
	s_delay_alu instid0(VALU_DEP_2) | instskip(SKIP_2) | instid1(VALU_DEP_4)
	v_mul_f32_e32 v13, 0x3fb8aa3b, v11
	v_fma_f32 v17, 0x3fb8aa3b, v12, -v14
	v_cmp_ngt_f32_e32 vcc_lo, 0xc2ce8ed0, v11
	v_sub_f32_e32 v14, v14, v18
	s_delay_alu instid0(VALU_DEP_4) | instskip(SKIP_2) | instid1(VALU_DEP_3)
	v_fma_f32 v15, 0x3fb8aa3b, v11, -v13
	v_rndne_f32_e32 v16, v13
	v_fmac_f32_e32 v17, 0x32a5705f, v12
	v_fmac_f32_e32 v15, 0x32a5705f, v11
	s_delay_alu instid0(VALU_DEP_2) | instskip(NEXT) | instid1(VALU_DEP_1)
	v_dual_sub_f32 v13, v13, v16 :: v_dual_add_f32 v14, v14, v17
	v_add_f32_e32 v13, v13, v15
	s_delay_alu instid0(VALU_DEP_2) | instskip(SKIP_2) | instid1(VALU_DEP_3)
	v_exp_f32_e32 v14, v14
	v_cvt_i32_f32_e32 v15, v16
	v_cvt_i32_f32_e32 v16, v18
	v_exp_f32_e32 v13, v13
	s_waitcnt_depctr 0xfff
	v_ldexp_f32 v14, v14, v16
	v_ldexp_f32 v13, v13, v15
	s_delay_alu instid0(VALU_DEP_1) | instskip(SKIP_1) | instid1(VALU_DEP_4)
	v_cndmask_b32_e32 v13, 0, v13, vcc_lo
	v_cmp_ngt_f32_e32 vcc_lo, 0xc2ce8ed0, v12
	v_cndmask_b32_e32 v14, 0, v14, vcc_lo
	v_cmp_nlt_f32_e32 vcc_lo, 0x42b17218, v11
	s_delay_alu instid0(VALU_DEP_4) | instskip(SKIP_1) | instid1(VALU_DEP_4)
	v_cndmask_b32_e32 v13, 0x7f800000, v13, vcc_lo
	v_cmp_nlt_f32_e32 vcc_lo, 0x42b17218, v12
	v_cndmask_b32_e32 v14, 0x7f800000, v14, vcc_lo
	v_cmp_le_f32_e32 vcc_lo, 0xc1a00000, v11
	s_delay_alu instid0(VALU_DEP_4) | instskip(SKIP_1) | instid1(VALU_DEP_4)
	v_cndmask_b32_e32 v11, 0, v13, vcc_lo
	v_cmp_le_f32_e32 vcc_lo, 0xc1a00000, v12
	v_cndmask_b32_e32 v12, 0, v14, vcc_lo
	s_waitcnt vmcnt(0)
	s_delay_alu instid0(VALU_DEP_3) | instskip(NEXT) | instid1(VALU_DEP_1)
	v_mul_f32_e32 v10, v10, v11
	v_dual_mul_f32 v11, s5, v11 :: v_dual_fmac_f32 v10, v3, v12
	s_delay_alu instid0(VALU_DEP_1)
	v_fmac_f32_e32 v11, v7, v12
	s_cbranch_execz .LBB22_18
	s_branch .LBB22_19
.LBB22_17:                              ;   in Loop: Header=BB22_9 Depth=1
                                        ; implicit-def: $sgpr13
                                        ; implicit-def: $vgpr10
                                        ; implicit-def: $vgpr9
                                        ; implicit-def: $vgpr11
                                        ; implicit-def: $sgpr1
                                        ; implicit-def: $sgpr15
.LBB22_18:                              ;   in Loop: Header=BB22_9 Depth=1
	v_mov_b32_e32 v11, v7
	s_waitcnt vmcnt(0)
	v_dual_mov_b32 v9, v8 :: v_dual_mov_b32 v10, v3
	s_add_i32 s1, s14, -1
	s_mov_b32 s13, 0
	s_mov_b32 s15, s16
.LBB22_19:                              ;   in Loop: Header=BB22_9 Depth=1
	s_and_not1_b32 vcc_lo, exec_lo, s13
	s_cbranch_vccz .LBB22_23
; %bb.20:                               ;   in Loop: Header=BB22_9 Depth=1
	v_dual_mov_b32 v7, v11 :: v_dual_mov_b32 v8, v9
	s_waitcnt vmcnt(0)
	v_mov_b32_e32 v3, v10
	s_mov_b32 s16, s15
	s_mov_b32 s14, s1
	s_branch .LBB22_9
.LBB22_21:
                                        ; implicit-def: $sgpr16_sgpr17
	s_load_b128 s[8:11], s[0:1], 0x44
	s_branch .LBB22_2
.LBB22_22:
                                        ; implicit-def: $sgpr18_sgpr19
	s_branch .LBB22_5
.LBB22_23:
	v_div_scale_f32 v0, null, v11, v11, v10
	s_waitcnt vmcnt(0)
	s_delay_alu instid0(VALU_DEP_1) | instskip(SKIP_2) | instid1(VALU_DEP_1)
	v_rcp_f32_e32 v3, v0
	s_waitcnt_depctr 0xfff
	v_fma_f32 v4, -v0, v3, 1.0
	v_fmac_f32_e32 v3, v4, v3
	v_div_scale_f32 v4, vcc_lo, v10, v11, v10
	s_delay_alu instid0(VALU_DEP_1) | instskip(NEXT) | instid1(VALU_DEP_1)
	v_mul_f32_e32 v5, v4, v3
	v_fma_f32 v6, -v0, v5, v4
	s_delay_alu instid0(VALU_DEP_1) | instskip(NEXT) | instid1(VALU_DEP_1)
	v_fmac_f32_e32 v5, v6, v3
	v_fma_f32 v0, -v0, v5, v4
	s_delay_alu instid0(VALU_DEP_1) | instskip(NEXT) | instid1(VALU_DEP_1)
	v_div_fmas_f32 v0, v0, v3, v5
	v_div_fixup_f32 v0, v0, v11, v10
	global_store_b32 v[1:2], v0, off
.LBB22_24:
	s_nop 0
	s_sendmsg sendmsg(MSG_DEALLOC_VGPRS)
	s_endpgm
	.section	.rodata,"a",@progbits
	.p2align	6, 0x0
	.amdhsa_kernel _ZL33flash_attn_stream_k_fixup_generalILi512ELi2ELi4EEvPfPK15HIP_vector_typeIfLj2EEiiiiS1_IjLj3EES5_S5_S5_
		.amdhsa_group_segment_fixed_size 0
		.amdhsa_private_segment_fixed_size 0
		.amdhsa_kernarg_size 336
		.amdhsa_user_sgpr_count 13
		.amdhsa_user_sgpr_dispatch_ptr 0
		.amdhsa_user_sgpr_queue_ptr 0
		.amdhsa_user_sgpr_kernarg_segment_ptr 1
		.amdhsa_user_sgpr_dispatch_id 0
		.amdhsa_user_sgpr_private_segment_size 0
		.amdhsa_wavefront_size32 1
		.amdhsa_uses_dynamic_stack 0
		.amdhsa_enable_private_segment 0
		.amdhsa_system_sgpr_workgroup_id_x 1
		.amdhsa_system_sgpr_workgroup_id_y 1
		.amdhsa_system_sgpr_workgroup_id_z 1
		.amdhsa_system_sgpr_workgroup_info 0
		.amdhsa_system_vgpr_workitem_id 0
		.amdhsa_next_free_vgpr 19
		.amdhsa_next_free_sgpr 32
		.amdhsa_reserve_vcc 1
		.amdhsa_float_round_mode_32 0
		.amdhsa_float_round_mode_16_64 0
		.amdhsa_float_denorm_mode_32 3
		.amdhsa_float_denorm_mode_16_64 3
		.amdhsa_dx10_clamp 1
		.amdhsa_ieee_mode 1
		.amdhsa_fp16_overflow 0
		.amdhsa_workgroup_processor_mode 1
		.amdhsa_memory_ordered 1
		.amdhsa_forward_progress 0
		.amdhsa_shared_vgpr_count 0
		.amdhsa_exception_fp_ieee_invalid_op 0
		.amdhsa_exception_fp_denorm_src 0
		.amdhsa_exception_fp_ieee_div_zero 0
		.amdhsa_exception_fp_ieee_overflow 0
		.amdhsa_exception_fp_ieee_underflow 0
		.amdhsa_exception_fp_ieee_inexact 0
		.amdhsa_exception_int_div_zero 0
	.end_amdhsa_kernel
	.section	.text._ZL33flash_attn_stream_k_fixup_generalILi512ELi2ELi4EEvPfPK15HIP_vector_typeIfLj2EEiiiiS1_IjLj3EES5_S5_S5_,"axG",@progbits,_ZL33flash_attn_stream_k_fixup_generalILi512ELi2ELi4EEvPfPK15HIP_vector_typeIfLj2EEiiiiS1_IjLj3EES5_S5_S5_,comdat
.Lfunc_end22:
	.size	_ZL33flash_attn_stream_k_fixup_generalILi512ELi2ELi4EEvPfPK15HIP_vector_typeIfLj2EEiiiiS1_IjLj3EES5_S5_S5_, .Lfunc_end22-_ZL33flash_attn_stream_k_fixup_generalILi512ELi2ELi4EEvPfPK15HIP_vector_typeIfLj2EEiiiiS1_IjLj3EES5_S5_S5_
                                        ; -- End function
	.section	.AMDGPU.csdata,"",@progbits
; Kernel info:
; codeLenInByte = 3224
; NumSgprs: 34
; NumVgprs: 19
; ScratchSize: 0
; MemoryBound: 0
; FloatMode: 240
; IeeeMode: 1
; LDSByteSize: 0 bytes/workgroup (compile time only)
; SGPRBlocks: 4
; VGPRBlocks: 2
; NumSGPRsForWavesPerEU: 34
; NumVGPRsForWavesPerEU: 19
; Occupancy: 16
; WaveLimiterHint : 0
; COMPUTE_PGM_RSRC2:SCRATCH_EN: 0
; COMPUTE_PGM_RSRC2:USER_SGPR: 13
; COMPUTE_PGM_RSRC2:TRAP_HANDLER: 0
; COMPUTE_PGM_RSRC2:TGID_X_EN: 1
; COMPUTE_PGM_RSRC2:TGID_Y_EN: 1
; COMPUTE_PGM_RSRC2:TGID_Z_EN: 1
; COMPUTE_PGM_RSRC2:TIDIG_COMP_CNT: 0
	.section	.text._ZL15flash_attn_tileILi512ELi512ELi1ELi4ELb0EEvPKcS1_S1_S1_S1_PKiPfP15HIP_vector_typeIfLj2EEffffjfiS5_IjLj3EEiiiiiiiiiiiliiliiiiil,"axG",@progbits,_ZL15flash_attn_tileILi512ELi512ELi1ELi4ELb0EEvPKcS1_S1_S1_S1_PKiPfP15HIP_vector_typeIfLj2EEffffjfiS5_IjLj3EEiiiiiiiiiiiliiliiiiil,comdat
	.globl	_ZL15flash_attn_tileILi512ELi512ELi1ELi4ELb0EEvPKcS1_S1_S1_S1_PKiPfP15HIP_vector_typeIfLj2EEffffjfiS5_IjLj3EEiiiiiiiiiiiliiliiiiil ; -- Begin function _ZL15flash_attn_tileILi512ELi512ELi1ELi4ELb0EEvPKcS1_S1_S1_S1_PKiPfP15HIP_vector_typeIfLj2EEffffjfiS5_IjLj3EEiiiiiiiiiiiliiliiiiil
	.p2align	8
	.type	_ZL15flash_attn_tileILi512ELi512ELi1ELi4ELb0EEvPKcS1_S1_S1_S1_PKiPfP15HIP_vector_typeIfLj2EEffffjfiS5_IjLj3EEiiiiiiiiiiiliiliiiiil,@function
_ZL15flash_attn_tileILi512ELi512ELi1ELi4ELb0EEvPKcS1_S1_S1_S1_PKiPfP15HIP_vector_typeIfLj2EEffffjfiS5_IjLj3EEiiiiiiiiiiiliiliiiiil: ; @_ZL15flash_attn_tileILi512ELi512ELi1ELi4ELb0EEvPKcS1_S1_S1_S1_PKiPfP15HIP_vector_typeIfLj2EEffffjfiS5_IjLj3EEiiiiiiiiiiiliiliiiiil
; %bb.0:
	s_clause 0x1
	s_load_b128 s[8:11], s[0:1], 0x5c
	s_load_b64 s[34:35], s[0:1], 0x80
	s_mov_b64 s[36:37], 0
	s_waitcnt lgkmcnt(0)
	s_ashr_i32 s2, s11, 31
	s_delay_alu instid0(SALU_CYCLE_1) | instskip(NEXT) | instid1(SALU_CYCLE_1)
	s_lshr_b32 s2, s2, 30
	s_add_i32 s2, s11, s2
	s_delay_alu instid0(SALU_CYCLE_1) | instskip(NEXT) | instid1(SALU_CYCLE_1)
	s_ashr_i32 s2, s2, 2
	v_cvt_f32_u32_e32 v1, s2
	s_sub_i32 s4, 0, s2
	s_delay_alu instid0(VALU_DEP_1) | instskip(SKIP_2) | instid1(VALU_DEP_1)
	v_rcp_iflag_f32_e32 v1, v1
	s_waitcnt_depctr 0xfff
	v_mul_f32_e32 v1, 0x4f7ffffe, v1
	v_cvt_u32_f32_e32 v1, v1
	s_delay_alu instid0(VALU_DEP_1) | instskip(NEXT) | instid1(VALU_DEP_1)
	v_readfirstlane_b32 s3, v1
	s_mul_i32 s4, s4, s3
	s_delay_alu instid0(SALU_CYCLE_1) | instskip(NEXT) | instid1(SALU_CYCLE_1)
	s_mul_hi_u32 s4, s3, s4
	s_add_i32 s3, s3, s4
	s_delay_alu instid0(SALU_CYCLE_1) | instskip(NEXT) | instid1(SALU_CYCLE_1)
	s_mul_hi_u32 s3, s15, s3
	s_mul_i32 s4, s3, s2
	s_add_i32 s5, s3, 1
	s_sub_i32 s4, s15, s4
	s_delay_alu instid0(SALU_CYCLE_1)
	s_sub_i32 s6, s4, s2
	s_cmp_ge_u32 s4, s2
	s_cselect_b32 s3, s5, s3
	s_cselect_b32 s4, s6, s4
	s_add_i32 s5, s3, 1
	s_cmp_ge_u32 s4, s2
	s_cselect_b32 s33, s5, s3
	s_abs_i32 s2, s35
	s_abs_i32 s7, s11
	v_cvt_f32_u32_e32 v1, s2
	s_sub_i32 s4, 0, s2
	s_lshl_b32 s5, s15, 2
	s_mul_i32 s6, s33, s11
	s_delay_alu instid0(VALU_DEP_1) | instskip(SKIP_3) | instid1(VALU_DEP_1)
	v_rcp_iflag_f32_e32 v1, v1
	s_sub_i32 s15, s5, s6
	s_waitcnt_depctr 0xfff
	v_mul_f32_e32 v1, 0x4f7ffffe, v1
	v_cvt_u32_f32_e32 v1, v1
	s_delay_alu instid0(VALU_DEP_1) | instskip(NEXT) | instid1(VALU_DEP_1)
	v_readfirstlane_b32 s3, v1
	s_mul_i32 s4, s4, s3
	s_delay_alu instid0(SALU_CYCLE_1) | instskip(NEXT) | instid1(SALU_CYCLE_1)
	s_mul_hi_u32 s4, s3, s4
	s_add_i32 s3, s3, s4
	s_xor_b32 s4, s11, s35
	s_mul_hi_u32 s3, s7, s3
	s_ashr_i32 s4, s4, 31
	s_mul_i32 s5, s3, s2
	s_add_i32 s6, s3, 1
	s_sub_i32 s5, s7, s5
	s_delay_alu instid0(SALU_CYCLE_1)
	s_sub_i32 s7, s5, s2
	s_cmp_ge_u32 s5, s2
	s_cselect_b32 s3, s6, s3
	s_cselect_b32 s5, s7, s5
	s_add_i32 s6, s3, 1
	s_cmp_ge_u32 s5, s2
	s_cselect_b32 s2, s6, s3
	s_delay_alu instid0(SALU_CYCLE_1) | instskip(NEXT) | instid1(SALU_CYCLE_1)
	s_xor_b32 s2, s2, s4
	s_sub_i32 s35, s2, s4
	s_clause 0x1
	s_load_b512 s[16:31], s[0:1], 0x0
	s_load_b64 s[2:3], s[0:1], 0xb8
	s_abs_i32 s12, s35
	s_delay_alu instid0(SALU_CYCLE_1) | instskip(NEXT) | instid1(VALU_DEP_1)
	v_cvt_f32_u32_e32 v1, s12
	v_rcp_iflag_f32_e32 v1, v1
	s_waitcnt_depctr 0xfff
	v_mul_f32_e32 v1, 0x4f7ffffe, v1
	s_waitcnt lgkmcnt(0)
	s_cmp_eq_u64 s[22:23], 0
	s_delay_alu instid0(VALU_DEP_1) | instskip(NEXT) | instid1(VALU_DEP_1)
	v_cvt_u32_f32_e32 v1, v1
	v_readfirstlane_b32 s38, v1
	s_cbranch_scc1 .LBB23_2
; %bb.1:
	s_abs_i32 s2, s2
	s_abs_i32 s6, s33
	v_cvt_f32_u32_e32 v1, s2
	s_sub_i32 s5, 0, s2
	s_delay_alu instid0(VALU_DEP_1) | instskip(SKIP_2) | instid1(VALU_DEP_1)
	v_rcp_iflag_f32_e32 v1, v1
	s_waitcnt_depctr 0xfff
	v_mul_f32_e32 v1, 0x4f7ffffe, v1
	v_cvt_u32_f32_e32 v1, v1
	s_delay_alu instid0(VALU_DEP_1) | instskip(NEXT) | instid1(VALU_DEP_1)
	v_readfirstlane_b32 s4, v1
	s_mul_i32 s5, s5, s4
	s_delay_alu instid0(SALU_CYCLE_1) | instskip(NEXT) | instid1(SALU_CYCLE_1)
	s_mul_hi_u32 s5, s4, s5
	s_add_i32 s7, s4, s5
	s_load_b64 s[4:5], s[0:1], 0xc8
	s_mul_hi_u32 s7, s6, s7
	s_delay_alu instid0(SALU_CYCLE_1) | instskip(NEXT) | instid1(SALU_CYCLE_1)
	s_mul_i32 s7, s7, s2
	s_sub_i32 s6, s6, s7
	s_ashr_i32 s7, s33, 31
	s_sub_i32 s36, s6, s2
	s_cmp_ge_u32 s6, s2
	s_cselect_b32 s6, s36, s6
	s_delay_alu instid0(SALU_CYCLE_1) | instskip(SKIP_2) | instid1(SALU_CYCLE_1)
	s_sub_i32 s36, s6, s2
	s_cmp_ge_u32 s6, s2
	s_cselect_b32 s2, s36, s6
	s_xor_b32 s2, s2, s7
	s_delay_alu instid0(SALU_CYCLE_1)
	s_sub_i32 s2, s2, s7
	s_waitcnt lgkmcnt(0)
	s_mul_i32 s5, s2, s5
	s_mul_hi_u32 s6, s2, s4
	s_ashr_i32 s7, s2, 31
	s_add_i32 s5, s6, s5
	s_mul_i32 s7, s7, s4
	s_mul_i32 s2, s2, s4
	s_add_i32 s5, s5, s7
	s_add_u32 s36, s22, s2
	s_addc_u32 s37, s23, s5
.LBB23_2:
	v_bfe_u32 v2, v0, 10, 10
	s_load_b128 s[4:7], s[0:1], 0x70
	v_and_b32_e32 v0, 0x3ff, v0
	s_delay_alu instid0(VALU_DEP_2) | instskip(SKIP_1) | instid1(VALU_DEP_2)
	v_lshrrev_b32_e32 v1, 2, v2
	v_and_b32_e32 v39, 3, v2
	v_add_nc_u32_e32 v1, s13, v1
	s_delay_alu instid0(VALU_DEP_1) | instskip(SKIP_3) | instid1(VALU_DEP_1)
	v_mul_hi_u32 v3, s8, v1
	s_waitcnt lgkmcnt(0)
	s_mul_i32 s2, s33, s6
	s_mul_i32 s6, s15, s5
	v_add_nc_u32_e32 v3, v1, v3
	s_ashr_i32 s7, s2, 31
	s_add_u32 s2, s16, s2
	s_addc_u32 s7, s17, s7
	s_ashr_i32 s8, s6, 31
	v_lshrrev_b32_e32 v3, s9, v3
	s_add_u32 s2, s2, s6
	s_addc_u32 s6, s7, s8
	s_ashr_i32 s7, s5, 31
	s_ashr_i32 s8, s4, 31
	v_mul_lo_u32 v3, v3, s10
	v_alignbit_b32 v7, s7, s5, 2
	v_alignbit_b32 v9, s8, s4, 2
	s_lshr_b32 s4, s7, 2
	s_mov_b32 s5, 0
	s_delay_alu instid0(VALU_DEP_2) | instskip(NEXT) | instid1(VALU_DEP_4)
	v_mad_u64_u32 v[5:6], null, v7, v39, 0
	v_sub_nc_u32_e32 v4, v1, v3
	s_delay_alu instid0(VALU_DEP_1) | instskip(NEXT) | instid1(VALU_DEP_1)
	v_mad_u64_u32 v[7:8], null, v9, v4, 0
	v_dual_mov_b32 v3, v6 :: v_dual_mov_b32 v6, v8
	s_delay_alu instid0(VALU_DEP_1) | instskip(SKIP_2) | instid1(VALU_DEP_2)
	v_mad_u64_u32 v[8:9], null, s4, v39, v[3:4]
	s_lshr_b32 s4, s8, 2
	s_cmp_eq_u64 s[26:27], 0
	v_mad_u64_u32 v[9:10], null, s4, v4, v[6:7]
	s_delay_alu instid0(VALU_DEP_2) | instskip(NEXT) | instid1(VALU_DEP_2)
	v_mov_b32_e32 v6, v8
	v_mov_b32_e32 v8, v9
	s_delay_alu instid0(VALU_DEP_2) | instskip(NEXT) | instid1(VALU_DEP_2)
	v_lshlrev_b64 v[5:6], 2, v[5:6]
	v_lshlrev_b64 v[7:8], 2, v[7:8]
	s_delay_alu instid0(VALU_DEP_2) | instskip(NEXT) | instid1(VALU_DEP_3)
	v_add_co_u32 v3, vcc_lo, s2, v5
	v_add_co_ci_u32_e32 v5, vcc_lo, s6, v6, vcc_lo
	v_lshlrev_b32_e32 v6, 4, v0
	s_delay_alu instid0(VALU_DEP_3) | instskip(NEXT) | instid1(VALU_DEP_3)
	v_add_co_u32 v3, vcc_lo, v3, v7
	v_add_co_ci_u32_e32 v5, vcc_lo, v5, v8, vcc_lo
	s_load_b32 s2, s[0:1], 0x40
	s_delay_alu instid0(VALU_DEP_2) | instskip(NEXT) | instid1(VALU_DEP_2)
	v_add_co_u32 v17, vcc_lo, v3, v6
	v_add_co_ci_u32_e32 v18, vcc_lo, 0, v5, vcc_lo
	v_lshlrev_b32_e32 v3, 10, v2
	s_clause 0x3
	global_load_b128 v[5:8], v[17:18], off
	global_load_b128 v[9:12], v[17:18], off offset:512
	global_load_b128 v[13:16], v[17:18], off offset:1024
	;; [unrolled: 1-line block ×3, first 2 shown]
	v_lshl_or_b32 v21, v0, 3, v3
	s_delay_alu instid0(VALU_DEP_1)
	v_add_nc_u32_e32 v29, 0x2000, v21
	s_waitcnt vmcnt(3) lgkmcnt(0)
	v_fma_mixlo_f16 v21, v5, s2, 0
	v_fma_mixlo_f16 v22, v7, s2, 0
	s_waitcnt vmcnt(2)
	v_fma_mixlo_f16 v23, v9, s2, 0
	v_fma_mixlo_f16 v24, v11, s2, 0
	s_waitcnt vmcnt(1)
	;; [unrolled: 3-line block ×3, first 2 shown]
	v_fma_mixlo_f16 v27, v17, s2, 0
	v_fma_mixlo_f16 v28, v19, s2, 0
	v_fma_mixhi_f16 v22, v8, s2, 0
	v_fma_mixhi_f16 v21, v6, s2, 0
	;; [unrolled: 1-line block ×8, first 2 shown]
	ds_store_2addr_b64 v29, v[21:22], v[23:24] offset0:128 offset1:160
	ds_store_2addr_b64 v29, v[25:26], v[27:28] offset0:192 offset1:224
	s_waitcnt lgkmcnt(0)
	s_barrier
	buffer_gl0_inv
	s_cbranch_scc1 .LBB23_4
; %bb.3:
	s_load_b32 s2, s[0:1], 0xd0
	s_waitcnt lgkmcnt(0)
	s_mul_i32 s2, s2, s33
	s_delay_alu instid0(SALU_CYCLE_1) | instskip(NEXT) | instid1(SALU_CYCLE_1)
	s_add_i32 s4, s2, s13
	s_lshl_b64 s[4:5], s[4:5], 2
	s_delay_alu instid0(SALU_CYCLE_1)
	s_add_u32 s4, s26, s4
	s_addc_u32 s5, s27, s5
	s_load_b32 s34, s[4:5], 0x0
.LBB23_4:
	v_lshlrev_b32_e32 v38, 2, v0
	v_mbcnt_lo_u32_b32 v40, -1, 0
	s_lshl_b32 s16, s14, 6
	s_waitcnt lgkmcnt(0)
	s_cmp_lt_i32 s16, s34
	s_cbranch_scc1 .LBB23_6
; %bb.5:
	v_mbcnt_lo_u32_b32 v6, -1, 0
	v_mov_b32_e32 v5, 32
	s_mov_b32 s2, 0
	s_mov_b32 s4, 0xfeffffff
	s_delay_alu instid0(VALU_DEP_2)
	v_xor_b32_e32 v45, 16, v6
	v_xor_b32_e32 v44, 8, v6
	;; [unrolled: 1-line block ×5, first 2 shown]
	s_branch .LBB23_7
.LBB23_6:
	s_mov_b32 s2, -1
                                        ; implicit-def: $sgpr4
                                        ; implicit-def: $vgpr6
                                        ; implicit-def: $vgpr5
                                        ; implicit-def: $vgpr45
                                        ; implicit-def: $vgpr44
                                        ; implicit-def: $vgpr43
                                        ; implicit-def: $vgpr42
                                        ; implicit-def: $vgpr41
.LBB23_7:
	s_delay_alu instid0(SALU_CYCLE_1) | instskip(SKIP_2) | instid1(VALU_DEP_3)
	v_cndmask_b32_e64 v7, 0, 1, s2
	v_dual_mov_b32 v69, s2 :: v_dual_mov_b32 v16, s2
	v_dual_mov_b32 v15, s4 :: v_dual_mov_b32 v68, s2
	v_cmp_ne_u32_e32 vcc_lo, 1, v7
	v_dual_mov_b32 v71, s2 :: v_dual_mov_b32 v70, s2
	v_dual_mov_b32 v66, s2 :: v_dual_mov_b32 v67, s2
	;; [unrolled: 1-line block ×3, first 2 shown]
	s_cbranch_vccnz .LBB23_11
; %bb.8:
	s_clause 0x1
	s_load_b128 s[4:7], s[0:1], 0x98
	s_load_b64 s[8:9], s[0:1], 0x8c
	s_sub_i32 s2, 0, s12
	s_abs_i32 s13, s15
	s_mul_i32 s2, s2, s38
	s_ashr_i32 s23, s15, 31
	s_mul_hi_u32 s2, s38, s2
	s_ashr_i32 s35, s35, 31
	s_add_i32 s38, s38, s2
	s_ashr_i32 s2, s3, 1
	s_mul_hi_u32 s3, s13, s38
	s_ashr_i32 s38, s33, 31
	s_load_b64 s[26:27], s[0:1], 0xa8
	s_mul_i32 s39, s3, s12
	v_lshrrev_b32_e32 v5, 3, v0
	v_dual_mov_b32 v15, 0xfeffffff :: v_dual_and_b32 v18, 28, v38
	v_mov_b32_e32 v65, 0
	v_lshl_add_u32 v52, v2, 7, 0x3400
	s_delay_alu instid0(VALU_DEP_4)
	v_lshl_add_u32 v6, v2, 2, v5
	s_waitcnt lgkmcnt(0)
	s_mul_i32 s5, s33, s5
	s_ashr_i32 s22, s8, 2
	s_mul_hi_u32 s8, s33, s4
	s_mul_i32 s40, s38, s4
	s_add_i32 s5, s8, s5
	s_mul_i32 s4, s33, s4
	s_ashr_i32 s17, s6, 2
	s_add_i32 s5, s5, s40
	s_add_u32 s4, s18, s4
	s_addc_u32 s5, s19, s5
	s_sub_i32 s13, s13, s39
	s_xor_b32 s8, s23, s35
	s_add_i32 s18, s3, 1
	s_sub_i32 s19, s13, s12
	s_cmp_ge_u32 s13, s12
	s_mul_i32 s38, s38, s26
	s_cselect_b32 s3, s18, s3
	s_cselect_b32 s13, s19, s13
	s_add_i32 s18, s3, 1
	s_cmp_ge_u32 s13, s12
	s_mul_i32 s12, s33, s27
	s_cselect_b32 s3, s18, s3
	s_mul_hi_u32 s13, s33, s26
	s_xor_b32 s3, s3, s8
	v_mul_lo_u32 v5, s22, v6
	s_sub_i32 s3, s3, s8
	v_mul_lo_u32 v13, s17, v2
	s_mul_i32 s8, s3, s9
	s_mul_i32 s9, s33, s26
	s_ashr_i32 s19, s8, 31
	s_add_u32 s18, s4, s8
	s_addc_u32 s19, s5, s19
	s_add_i32 s4, s13, s12
	s_mul_i32 s3, s3, s7
	s_add_i32 s4, s4, s38
	s_add_u32 s5, s20, s9
	s_addc_u32 s4, s21, s4
	s_ashr_i32 s7, s3, 31
	s_add_u32 s20, s5, s3
	s_addc_u32 s21, s4, s7
	s_lshl_b32 s3, s22, 4
	s_delay_alu instid0(SALU_CYCLE_1) | instskip(SKIP_3) | instid1(VALU_DEP_4)
	v_dual_mov_b32 v64, 0 :: v_dual_add_nc_u32 v7, s3, v5
	v_mov_b32_e32 v66, 0
	v_lshlrev_b32_e32 v8, 2, v18
	v_ashrrev_i32_e32 v14, 31, v13
	v_dual_mov_b32 v68, 0 :: v_dual_add_nc_u32 v9, s3, v7
	v_mov_b32_e32 v69, 0
	s_delay_alu instid0(VALU_DEP_4)
	v_mad_u32_u24 v46, 0x90, v6, v8
	v_ashrrev_i32_e32 v6, 31, v5
	v_ashrrev_i32_e32 v8, 31, v7
	v_add_nc_u32_e32 v11, s3, v9
	s_and_b32 s3, s6, -4
	v_ashrrev_i32_e32 v10, 31, v9
	v_add_nc_u32_e32 v16, s3, v13
	v_lshl_add_u32 v53, v38, 2, v3
	v_ashrrev_i32_e32 v12, 31, v11
	v_lshlrev_b32_e32 v58, 3, v0
	v_dual_mov_b32 v71, 0 :: v_dual_add_nc_u32 v50, 0x2400, v3
	v_ashrrev_i32_e32 v17, 31, v16
	v_mad_u64_u32 v[2:3], null, v4, s2, v[0:1]
	v_lshlrev_b64 v[3:4], 2, v[5:6]
	v_lshlrev_b64 v[5:6], 2, v[7:8]
	;; [unrolled: 1-line block ×6, first 2 shown]
	v_dual_mov_b32 v70, 0 :: v_dual_add_nc_u32 v47, 0x900, v46
	v_dual_mov_b32 v67, 0 :: v_dual_add_nc_u32 v48, 0x1200, v46
	;; [unrolled: 1-line block ×3, first 2 shown]
	v_mul_u32_u24_e32 v51, 0x90, v0
	v_lshl_add_u32 v54, v0, 1, v52
	v_add_nc_u32_e32 v55, 0x200, v53
	v_add_nc_u32_e32 v56, 0x1000, v53
	;; [unrolled: 1-line block ×3, first 2 shown]
	v_lshlrev_b32_e32 v59, 2, v18
	v_xor_b32_e32 v45, 16, v40
	v_xor_b32_e32 v44, 8, v40
	;; [unrolled: 1-line block ×5, first 2 shown]
	v_lshlrev_b32_e32 v60, 2, v38
	v_add_nc_u32_e32 v61, 0x800, v58
	v_add_nc_u32_e32 v62, 0x1000, v58
	;; [unrolled: 1-line block ×3, first 2 shown]
	s_add_u32 s8, s0, 0xd0
	s_addc_u32 s9, s1, 0
.LBB23_9:                               ; =>This Inner Loop Header: Depth=1
	s_mul_hi_i32 s7, s16, s22
	s_mul_i32 s6, s16, s22
	v_cmp_gt_i32_e64 s5, 32, v41
	v_cmp_gt_i32_e32 vcc_lo, 32, v45
	v_cmp_gt_i32_e64 s2, 32, v44
	v_cmp_gt_i32_e64 s3, 32, v43
	;; [unrolled: 1-line block ×3, first 2 shown]
	s_lshl_b64 s[6:7], s[6:7], 2
	s_mul_hi_i32 s13, s16, s17
	s_mul_i32 s12, s16, s17
	s_add_u32 s23, s18, s6
	v_cndmask_b32_e64 v21, v40, v41, s5
	s_addc_u32 s5, s19, s7
	s_lshl_b64 s[6:7], s[12:13], 2
	v_cndmask_b32_e64 v18, v40, v44, s2
	v_cndmask_b32_e64 v19, v40, v43, s3
	v_cndmask_b32_e32 v17, v40, v45, vcc_lo
	v_cndmask_b32_e64 v20, v40, v42, s4
	v_add_co_u32 v22, vcc_lo, s23, v5
	s_delay_alu instid0(VALU_DEP_4)
	v_lshlrev_b32_e32 v78, 2, v19
	v_add_co_u32 v23, s2, s23, v7
	v_add_co_u32 v24, s3, s23, v9
	v_add_co_u32 v25, s4, s23, v3
	s_add_u32 s6, s20, s6
	v_add_co_ci_u32_e64 v26, s4, s5, v4, s4
	v_add_co_ci_u32_e32 v27, vcc_lo, s5, v6, vcc_lo
	v_add_co_ci_u32_e64 v28, vcc_lo, s5, v8, s2
	v_add_co_ci_u32_e64 v29, vcc_lo, s5, v10, s3
	s_addc_u32 s3, s21, s7
	s_or_b32 s4, s16, 8
	v_add_co_u32 v81, vcc_lo, s6, v13
	v_add_co_u32 v82, s2, s6, v11
	v_lshlrev_b32_e32 v79, 2, v18
	s_mul_hi_i32 s7, s4, s17
	s_mul_i32 s6, s4, s17
	v_add_co_ci_u32_e32 v18, vcc_lo, s3, v14, vcc_lo
	v_add_co_u32 v36, s4, v25, v59
	v_dual_mov_b32 v75, v16 :: v_dual_lshlrev_b32 v80, 2, v17
	v_add_co_ci_u32_e64 v17, s2, s3, v12, s2
	v_add_co_u32 v30, vcc_lo, v22, v59
	v_add_co_u32 v32, s2, v23, v59
	v_add_co_ci_u32_e64 v37, s4, 0, v26, s4
	v_add_co_u32 v34, s3, v24, v59
	v_add_co_ci_u32_e32 v31, vcc_lo, 0, v27, vcc_lo
	v_add_co_ci_u32_e64 v33, vcc_lo, 0, v28, s2
	v_add_co_ci_u32_e64 v35, vcc_lo, 0, v29, s3
	v_add_co_u32 v24, vcc_lo, v81, v60
	v_add_co_u32 v26, s2, v82, v60
	s_clause 0x3
	global_load_b128 v[81:84], v[36:37], off
	global_load_b128 v[85:88], v[30:31], off
	global_load_b128 v[89:92], v[32:33], off
	global_load_b128 v[93:96], v[34:35], off
	v_dual_mov_b32 v72, v15 :: v_dual_mov_b32 v73, 0
	v_dual_mov_b32 v74, 0 :: v_dual_add_nc_u32 v15, s16, v2
	s_lshl_b64 s[6:7], s[6:7], 2
	v_add_co_ci_u32_e64 v27, s2, 0, v17, s2
	s_add_u32 s3, s20, s6
	s_delay_alu instid0(VALU_DEP_2) | instskip(SKIP_3) | instid1(VALU_DEP_2)
	v_ashrrev_i32_e32 v16, 31, v15
	v_add_co_ci_u32_e32 v25, vcc_lo, 0, v18, vcc_lo
	s_addc_u32 s6, s21, s7
	s_or_b32 s4, s16, 16
	v_lshlrev_b64 v[15:16], 1, v[15:16]
	s_mul_hi_i32 s5, s4, s17
	s_mul_i32 s4, s4, s17
	v_lshlrev_b32_e32 v77, 2, v20
	s_waitcnt vmcnt(3)
	ds_store_b128 v46, v[81:84]
	s_waitcnt vmcnt(2)
	ds_store_b128 v47, v[85:88]
	;; [unrolled: 2-line block ×4, first 2 shown]
	s_waitcnt lgkmcnt(0)
	s_barrier
	buffer_gl0_inv
	ds_load_b128 v[81:84], v51
	ds_load_b128 v[85:88], v50
	ds_load_b128 v[89:92], v51 offset:4608
	s_waitcnt lgkmcnt(1)
	;;#ASMSTART
	v_dot2_f32_f16 v73, v81, v85, v73
	;;#ASMEND
	;;#ASMSTART
	v_dot2_f32_f16 v73, v82, v86, v73
	;;#ASMEND
	;;#ASMSTART
	v_dot2_f32_f16 v73, v83, v87, v73
	;;#ASMEND
	;;#ASMSTART
	v_dot2_f32_f16 v73, v84, v88, v73
	;;#ASMEND
	s_waitcnt lgkmcnt(0)
	;;#ASMSTART
	v_dot2_f32_f16 v74, v89, v85, v74
	;;#ASMEND
	;;#ASMSTART
	v_dot2_f32_f16 v74, v90, v86, v74
	;;#ASMEND
	;;#ASMSTART
	v_dot2_f32_f16 v74, v91, v87, v74
	;;#ASMEND
	;;#ASMSTART
	v_dot2_f32_f16 v74, v92, v88, v74
	;;#ASMEND
	ds_load_b128 v[81:84], v51 offset:16
	ds_load_b128 v[85:88], v50 offset:16
	ds_load_b128 v[89:92], v51 offset:4624
	s_waitcnt lgkmcnt(1)
	;;#ASMSTART
	v_dot2_f32_f16 v73, v81, v85, v73
	;;#ASMEND
	;;#ASMSTART
	v_dot2_f32_f16 v73, v82, v86, v73
	;;#ASMEND
	;;#ASMSTART
	v_dot2_f32_f16 v73, v83, v87, v73
	;;#ASMEND
	;;#ASMSTART
	v_dot2_f32_f16 v73, v84, v88, v73
	;;#ASMEND
	s_waitcnt lgkmcnt(0)
	;;#ASMSTART
	v_dot2_f32_f16 v74, v89, v85, v74
	;;#ASMEND
	;;#ASMSTART
	v_dot2_f32_f16 v74, v90, v86, v74
	;;#ASMEND
	;;#ASMSTART
	v_dot2_f32_f16 v74, v91, v87, v74
	;;#ASMEND
	;;#ASMSTART
	v_dot2_f32_f16 v74, v92, v88, v74
	;;#ASMEND
	ds_load_b128 v[81:84], v51 offset:32
	ds_load_b128 v[85:88], v50 offset:32
	;; [unrolled: 29-line block ×7, first 2 shown]
	ds_load_b128 v[89:92], v51 offset:4720
	s_waitcnt lgkmcnt(1)
	;;#ASMSTART
	v_dot2_f32_f16 v73, v81, v85, v73
	;;#ASMEND
	;;#ASMSTART
	v_dot2_f32_f16 v73, v82, v86, v73
	;;#ASMEND
	;;#ASMSTART
	v_dot2_f32_f16 v73, v83, v87, v73
	;;#ASMEND
	;;#ASMSTART
	v_dot2_f32_f16 v73, v84, v88, v73
	;;#ASMEND
	s_waitcnt lgkmcnt(0)
	;;#ASMSTART
	v_dot2_f32_f16 v74, v89, v85, v74
	;;#ASMEND
	;;#ASMSTART
	v_dot2_f32_f16 v74, v90, v86, v74
	;;#ASMEND
	;; [unrolled: 3-line block ×4, first 2 shown]
	s_barrier
	buffer_gl0_inv
	s_clause 0x3
	global_load_b128 v[81:84], v[36:37], off offset:128
	global_load_b128 v[85:88], v[30:31], off offset:128
	;; [unrolled: 1-line block ×4, first 2 shown]
	v_add_co_u32 v28, vcc_lo, s36, v15
	v_add_co_u32 v15, s2, s3, v11
	v_add_co_u32 v17, s3, s3, v13
	v_add_co_ci_u32_e32 v29, vcc_lo, s37, v16, vcc_lo
	v_add_co_ci_u32_e64 v18, vcc_lo, s6, v14, s3
	v_add_co_ci_u32_e64 v16, vcc_lo, s6, v12, s2
	s_lshl_b64 s[2:3], s[4:5], 2
	v_add_co_u32 v20, vcc_lo, v17, v60
	s_add_u32 s4, s20, s2
	v_add_co_u32 v22, s2, v15, v60
	s_addc_u32 s3, s21, s3
	s_or_b32 s6, s16, 24
	v_add_co_ci_u32_e64 v23, s2, 0, v16, s2
	v_add_co_u32 v17, s2, s4, v11
	s_mul_hi_i32 s5, s6, s17
	v_add_co_ci_u32_e64 v19, s2, s3, v12, s2
	s_waitcnt vmcnt(3)
	ds_store_b128 v46, v[81:84]
	s_waitcnt vmcnt(2)
	ds_store_b128 v47, v[85:88]
	;; [unrolled: 2-line block ×4, first 2 shown]
	s_waitcnt lgkmcnt(0)
	s_barrier
	buffer_gl0_inv
	ds_load_b128 v[81:84], v51
	ds_load_b128 v[85:88], v50 offset:128
	ds_load_b128 v[89:92], v51 offset:4608
	s_waitcnt lgkmcnt(1)
	;;#ASMSTART
	v_dot2_f32_f16 v73, v81, v85, v73
	;;#ASMEND
	;;#ASMSTART
	v_dot2_f32_f16 v73, v82, v86, v73
	;;#ASMEND
	;;#ASMSTART
	v_dot2_f32_f16 v73, v83, v87, v73
	;;#ASMEND
	;;#ASMSTART
	v_dot2_f32_f16 v73, v84, v88, v73
	;;#ASMEND
	s_waitcnt lgkmcnt(0)
	;;#ASMSTART
	v_dot2_f32_f16 v74, v89, v85, v74
	;;#ASMEND
	;;#ASMSTART
	v_dot2_f32_f16 v74, v90, v86, v74
	;;#ASMEND
	;;#ASMSTART
	v_dot2_f32_f16 v74, v91, v87, v74
	;;#ASMEND
	;;#ASMSTART
	v_dot2_f32_f16 v74, v92, v88, v74
	;;#ASMEND
	ds_load_b128 v[81:84], v51 offset:16
	ds_load_b128 v[85:88], v50 offset:144
	ds_load_b128 v[89:92], v51 offset:4624
	s_waitcnt lgkmcnt(1)
	;;#ASMSTART
	v_dot2_f32_f16 v73, v81, v85, v73
	;;#ASMEND
	;;#ASMSTART
	v_dot2_f32_f16 v73, v82, v86, v73
	;;#ASMEND
	;;#ASMSTART
	v_dot2_f32_f16 v73, v83, v87, v73
	;;#ASMEND
	;;#ASMSTART
	v_dot2_f32_f16 v73, v84, v88, v73
	;;#ASMEND
	s_waitcnt lgkmcnt(0)
	;;#ASMSTART
	v_dot2_f32_f16 v74, v89, v85, v74
	;;#ASMEND
	;;#ASMSTART
	v_dot2_f32_f16 v74, v90, v86, v74
	;;#ASMEND
	;;#ASMSTART
	v_dot2_f32_f16 v74, v91, v87, v74
	;;#ASMEND
	;;#ASMSTART
	v_dot2_f32_f16 v74, v92, v88, v74
	;;#ASMEND
	ds_load_b128 v[81:84], v51 offset:32
	;; [unrolled: 29-line block ×7, first 2 shown]
	ds_load_b128 v[85:88], v50 offset:240
	ds_load_b128 v[89:92], v51 offset:4720
	s_waitcnt lgkmcnt(1)
	;;#ASMSTART
	v_dot2_f32_f16 v73, v81, v85, v73
	;;#ASMEND
	;;#ASMSTART
	v_dot2_f32_f16 v73, v82, v86, v73
	;;#ASMEND
	;; [unrolled: 3-line block ×4, first 2 shown]
	s_waitcnt lgkmcnt(0)
	;;#ASMSTART
	v_dot2_f32_f16 v74, v89, v85, v74
	;;#ASMEND
	;;#ASMSTART
	v_dot2_f32_f16 v74, v90, v86, v74
	;;#ASMEND
	;; [unrolled: 3-line block ×4, first 2 shown]
	s_barrier
	buffer_gl0_inv
	s_clause 0x3
	global_load_b128 v[81:84], v[36:37], off offset:256
	global_load_b128 v[85:88], v[30:31], off offset:256
	;; [unrolled: 1-line block ×4, first 2 shown]
	s_waitcnt vmcnt(3)
	ds_store_b128 v46, v[81:84]
	s_waitcnt vmcnt(2)
	ds_store_b128 v47, v[85:88]
	;; [unrolled: 2-line block ×4, first 2 shown]
	s_waitcnt lgkmcnt(0)
	s_barrier
	buffer_gl0_inv
	ds_load_b128 v[81:84], v51
	ds_load_b128 v[85:88], v50 offset:256
	ds_load_b128 v[89:92], v51 offset:4608
	s_waitcnt lgkmcnt(1)
	;;#ASMSTART
	v_dot2_f32_f16 v73, v81, v85, v73
	;;#ASMEND
	;;#ASMSTART
	v_dot2_f32_f16 v73, v82, v86, v73
	;;#ASMEND
	;;#ASMSTART
	v_dot2_f32_f16 v73, v83, v87, v73
	;;#ASMEND
	;;#ASMSTART
	v_dot2_f32_f16 v73, v84, v88, v73
	;;#ASMEND
	s_waitcnt lgkmcnt(0)
	;;#ASMSTART
	v_dot2_f32_f16 v74, v89, v85, v74
	;;#ASMEND
	;;#ASMSTART
	v_dot2_f32_f16 v74, v90, v86, v74
	;;#ASMEND
	;;#ASMSTART
	v_dot2_f32_f16 v74, v91, v87, v74
	;;#ASMEND
	;;#ASMSTART
	v_dot2_f32_f16 v74, v92, v88, v74
	;;#ASMEND
	ds_load_b128 v[81:84], v51 offset:16
	ds_load_b128 v[85:88], v50 offset:272
	ds_load_b128 v[89:92], v51 offset:4624
	s_waitcnt lgkmcnt(1)
	;;#ASMSTART
	v_dot2_f32_f16 v73, v81, v85, v73
	;;#ASMEND
	;;#ASMSTART
	v_dot2_f32_f16 v73, v82, v86, v73
	;;#ASMEND
	;;#ASMSTART
	v_dot2_f32_f16 v73, v83, v87, v73
	;;#ASMEND
	;;#ASMSTART
	v_dot2_f32_f16 v73, v84, v88, v73
	;;#ASMEND
	s_waitcnt lgkmcnt(0)
	;;#ASMSTART
	v_dot2_f32_f16 v74, v89, v85, v74
	;;#ASMEND
	;;#ASMSTART
	v_dot2_f32_f16 v74, v90, v86, v74
	;;#ASMEND
	;;#ASMSTART
	v_dot2_f32_f16 v74, v91, v87, v74
	;;#ASMEND
	;;#ASMSTART
	v_dot2_f32_f16 v74, v92, v88, v74
	;;#ASMEND
	ds_load_b128 v[81:84], v51 offset:32
	;; [unrolled: 29-line block ×7, first 2 shown]
	ds_load_b128 v[85:88], v50 offset:368
	ds_load_b128 v[89:92], v51 offset:4720
	s_waitcnt lgkmcnt(1)
	;;#ASMSTART
	v_dot2_f32_f16 v73, v81, v85, v73
	;;#ASMEND
	;;#ASMSTART
	v_dot2_f32_f16 v73, v82, v86, v73
	;;#ASMEND
	;;#ASMSTART
	v_dot2_f32_f16 v73, v83, v87, v73
	;;#ASMEND
	;;#ASMSTART
	v_dot2_f32_f16 v73, v84, v88, v73
	;;#ASMEND
	s_waitcnt lgkmcnt(0)
	;;#ASMSTART
	v_dot2_f32_f16 v74, v89, v85, v74
	;;#ASMEND
	;;#ASMSTART
	v_dot2_f32_f16 v74, v90, v86, v74
	;;#ASMEND
	;; [unrolled: 3-line block ×4, first 2 shown]
	s_barrier
	buffer_gl0_inv
	s_clause 0x3
	global_load_b128 v[81:84], v[36:37], off offset:384
	global_load_b128 v[85:88], v[30:31], off offset:384
	global_load_b128 v[89:92], v[32:33], off offset:384
	global_load_b128 v[93:96], v[34:35], off offset:384
	s_waitcnt vmcnt(3)
	ds_store_b128 v46, v[81:84]
	s_waitcnt vmcnt(2)
	ds_store_b128 v47, v[85:88]
	;; [unrolled: 2-line block ×4, first 2 shown]
	s_waitcnt lgkmcnt(0)
	s_barrier
	buffer_gl0_inv
	ds_load_b128 v[81:84], v51
	ds_load_b128 v[85:88], v50 offset:384
	ds_load_b128 v[89:92], v51 offset:4608
	s_waitcnt lgkmcnt(1)
	;;#ASMSTART
	v_dot2_f32_f16 v73, v81, v85, v73
	;;#ASMEND
	;;#ASMSTART
	v_dot2_f32_f16 v73, v82, v86, v73
	;;#ASMEND
	;;#ASMSTART
	v_dot2_f32_f16 v73, v83, v87, v73
	;;#ASMEND
	;;#ASMSTART
	v_dot2_f32_f16 v73, v84, v88, v73
	;;#ASMEND
	s_waitcnt lgkmcnt(0)
	;;#ASMSTART
	v_dot2_f32_f16 v74, v89, v85, v74
	;;#ASMEND
	;;#ASMSTART
	v_dot2_f32_f16 v74, v90, v86, v74
	;;#ASMEND
	;;#ASMSTART
	v_dot2_f32_f16 v74, v91, v87, v74
	;;#ASMEND
	;;#ASMSTART
	v_dot2_f32_f16 v74, v92, v88, v74
	;;#ASMEND
	ds_load_b128 v[81:84], v51 offset:16
	ds_load_b128 v[85:88], v50 offset:400
	ds_load_b128 v[89:92], v51 offset:4624
	s_waitcnt lgkmcnt(1)
	;;#ASMSTART
	v_dot2_f32_f16 v73, v81, v85, v73
	;;#ASMEND
	;;#ASMSTART
	v_dot2_f32_f16 v73, v82, v86, v73
	;;#ASMEND
	;;#ASMSTART
	v_dot2_f32_f16 v73, v83, v87, v73
	;;#ASMEND
	;;#ASMSTART
	v_dot2_f32_f16 v73, v84, v88, v73
	;;#ASMEND
	s_waitcnt lgkmcnt(0)
	;;#ASMSTART
	v_dot2_f32_f16 v74, v89, v85, v74
	;;#ASMEND
	;;#ASMSTART
	v_dot2_f32_f16 v74, v90, v86, v74
	;;#ASMEND
	;;#ASMSTART
	v_dot2_f32_f16 v74, v91, v87, v74
	;;#ASMEND
	;;#ASMSTART
	v_dot2_f32_f16 v74, v92, v88, v74
	;;#ASMEND
	ds_load_b128 v[81:84], v51 offset:32
	;; [unrolled: 29-line block ×7, first 2 shown]
	ds_load_b128 v[85:88], v50 offset:496
	ds_load_b128 v[89:92], v51 offset:4720
	s_waitcnt lgkmcnt(1)
	;;#ASMSTART
	v_dot2_f32_f16 v73, v81, v85, v73
	;;#ASMEND
	;;#ASMSTART
	v_dot2_f32_f16 v73, v82, v86, v73
	;;#ASMEND
	;; [unrolled: 3-line block ×4, first 2 shown]
	s_waitcnt lgkmcnt(0)
	;;#ASMSTART
	v_dot2_f32_f16 v74, v89, v85, v74
	;;#ASMEND
	;;#ASMSTART
	v_dot2_f32_f16 v74, v90, v86, v74
	;;#ASMEND
	;; [unrolled: 3-line block ×4, first 2 shown]
	s_barrier
	buffer_gl0_inv
	s_clause 0x3
	global_load_b128 v[81:84], v[36:37], off offset:512
	global_load_b128 v[85:88], v[30:31], off offset:512
	global_load_b128 v[89:92], v[32:33], off offset:512
	global_load_b128 v[93:96], v[34:35], off offset:512
	s_waitcnt vmcnt(3)
	ds_store_b128 v46, v[81:84]
	s_waitcnt vmcnt(2)
	ds_store_b128 v47, v[85:88]
	;; [unrolled: 2-line block ×4, first 2 shown]
	s_waitcnt lgkmcnt(0)
	s_barrier
	buffer_gl0_inv
	ds_load_b128 v[81:84], v51
	ds_load_b128 v[85:88], v50 offset:512
	ds_load_b128 v[89:92], v51 offset:4608
	s_waitcnt lgkmcnt(1)
	;;#ASMSTART
	v_dot2_f32_f16 v73, v81, v85, v73
	;;#ASMEND
	;;#ASMSTART
	v_dot2_f32_f16 v73, v82, v86, v73
	;;#ASMEND
	;;#ASMSTART
	v_dot2_f32_f16 v73, v83, v87, v73
	;;#ASMEND
	;;#ASMSTART
	v_dot2_f32_f16 v73, v84, v88, v73
	;;#ASMEND
	s_waitcnt lgkmcnt(0)
	;;#ASMSTART
	v_dot2_f32_f16 v74, v89, v85, v74
	;;#ASMEND
	;;#ASMSTART
	v_dot2_f32_f16 v74, v90, v86, v74
	;;#ASMEND
	;;#ASMSTART
	v_dot2_f32_f16 v74, v91, v87, v74
	;;#ASMEND
	;;#ASMSTART
	v_dot2_f32_f16 v74, v92, v88, v74
	;;#ASMEND
	ds_load_b128 v[81:84], v51 offset:16
	ds_load_b128 v[85:88], v50 offset:528
	ds_load_b128 v[89:92], v51 offset:4624
	s_waitcnt lgkmcnt(1)
	;;#ASMSTART
	v_dot2_f32_f16 v73, v81, v85, v73
	;;#ASMEND
	;;#ASMSTART
	v_dot2_f32_f16 v73, v82, v86, v73
	;;#ASMEND
	;;#ASMSTART
	v_dot2_f32_f16 v73, v83, v87, v73
	;;#ASMEND
	;;#ASMSTART
	v_dot2_f32_f16 v73, v84, v88, v73
	;;#ASMEND
	s_waitcnt lgkmcnt(0)
	;;#ASMSTART
	v_dot2_f32_f16 v74, v89, v85, v74
	;;#ASMEND
	;;#ASMSTART
	v_dot2_f32_f16 v74, v90, v86, v74
	;;#ASMEND
	;;#ASMSTART
	v_dot2_f32_f16 v74, v91, v87, v74
	;;#ASMEND
	;;#ASMSTART
	v_dot2_f32_f16 v74, v92, v88, v74
	;;#ASMEND
	ds_load_b128 v[81:84], v51 offset:32
	;; [unrolled: 29-line block ×7, first 2 shown]
	ds_load_b128 v[85:88], v50 offset:624
	ds_load_b128 v[89:92], v51 offset:4720
	s_waitcnt lgkmcnt(1)
	;;#ASMSTART
	v_dot2_f32_f16 v73, v81, v85, v73
	;;#ASMEND
	;;#ASMSTART
	v_dot2_f32_f16 v73, v82, v86, v73
	;;#ASMEND
	;;#ASMSTART
	v_dot2_f32_f16 v73, v83, v87, v73
	;;#ASMEND
	;;#ASMSTART
	v_dot2_f32_f16 v73, v84, v88, v73
	;;#ASMEND
	s_waitcnt lgkmcnt(0)
	;;#ASMSTART
	v_dot2_f32_f16 v74, v89, v85, v74
	;;#ASMEND
	;;#ASMSTART
	v_dot2_f32_f16 v74, v90, v86, v74
	;;#ASMEND
	;; [unrolled: 3-line block ×4, first 2 shown]
	s_barrier
	buffer_gl0_inv
	s_clause 0x3
	global_load_b128 v[81:84], v[36:37], off offset:640
	global_load_b128 v[85:88], v[30:31], off offset:640
	;; [unrolled: 1-line block ×4, first 2 shown]
	s_waitcnt vmcnt(3)
	ds_store_b128 v46, v[81:84]
	s_waitcnt vmcnt(2)
	ds_store_b128 v47, v[85:88]
	;; [unrolled: 2-line block ×4, first 2 shown]
	s_waitcnt lgkmcnt(0)
	s_barrier
	buffer_gl0_inv
	ds_load_b128 v[81:84], v51
	ds_load_b128 v[85:88], v50 offset:640
	ds_load_b128 v[89:92], v51 offset:4608
	s_waitcnt lgkmcnt(1)
	;;#ASMSTART
	v_dot2_f32_f16 v73, v81, v85, v73
	;;#ASMEND
	;;#ASMSTART
	v_dot2_f32_f16 v73, v82, v86, v73
	;;#ASMEND
	;;#ASMSTART
	v_dot2_f32_f16 v73, v83, v87, v73
	;;#ASMEND
	;;#ASMSTART
	v_dot2_f32_f16 v73, v84, v88, v73
	;;#ASMEND
	s_waitcnt lgkmcnt(0)
	;;#ASMSTART
	v_dot2_f32_f16 v74, v89, v85, v74
	;;#ASMEND
	;;#ASMSTART
	v_dot2_f32_f16 v74, v90, v86, v74
	;;#ASMEND
	;;#ASMSTART
	v_dot2_f32_f16 v74, v91, v87, v74
	;;#ASMEND
	;;#ASMSTART
	v_dot2_f32_f16 v74, v92, v88, v74
	;;#ASMEND
	ds_load_b128 v[81:84], v51 offset:16
	ds_load_b128 v[85:88], v50 offset:656
	ds_load_b128 v[89:92], v51 offset:4624
	s_waitcnt lgkmcnt(1)
	;;#ASMSTART
	v_dot2_f32_f16 v73, v81, v85, v73
	;;#ASMEND
	;;#ASMSTART
	v_dot2_f32_f16 v73, v82, v86, v73
	;;#ASMEND
	;;#ASMSTART
	v_dot2_f32_f16 v73, v83, v87, v73
	;;#ASMEND
	;;#ASMSTART
	v_dot2_f32_f16 v73, v84, v88, v73
	;;#ASMEND
	s_waitcnt lgkmcnt(0)
	;;#ASMSTART
	v_dot2_f32_f16 v74, v89, v85, v74
	;;#ASMEND
	;;#ASMSTART
	v_dot2_f32_f16 v74, v90, v86, v74
	;;#ASMEND
	;;#ASMSTART
	v_dot2_f32_f16 v74, v91, v87, v74
	;;#ASMEND
	;;#ASMSTART
	v_dot2_f32_f16 v74, v92, v88, v74
	;;#ASMEND
	ds_load_b128 v[81:84], v51 offset:32
	;; [unrolled: 29-line block ×7, first 2 shown]
	ds_load_b128 v[85:88], v50 offset:752
	ds_load_b128 v[89:92], v51 offset:4720
	s_waitcnt lgkmcnt(1)
	;;#ASMSTART
	v_dot2_f32_f16 v73, v81, v85, v73
	;;#ASMEND
	;;#ASMSTART
	v_dot2_f32_f16 v73, v82, v86, v73
	;;#ASMEND
	;; [unrolled: 3-line block ×4, first 2 shown]
	s_waitcnt lgkmcnt(0)
	;;#ASMSTART
	v_dot2_f32_f16 v74, v89, v85, v74
	;;#ASMEND
	;;#ASMSTART
	v_dot2_f32_f16 v74, v90, v86, v74
	;;#ASMEND
	;; [unrolled: 3-line block ×4, first 2 shown]
	s_barrier
	buffer_gl0_inv
	s_clause 0x3
	global_load_b128 v[81:84], v[36:37], off offset:768
	global_load_b128 v[85:88], v[30:31], off offset:768
	;; [unrolled: 1-line block ×4, first 2 shown]
	s_waitcnt vmcnt(3)
	ds_store_b128 v46, v[81:84]
	s_waitcnt vmcnt(2)
	ds_store_b128 v47, v[85:88]
	;; [unrolled: 2-line block ×4, first 2 shown]
	s_waitcnt lgkmcnt(0)
	s_barrier
	buffer_gl0_inv
	ds_load_b128 v[81:84], v51
	ds_load_b128 v[85:88], v50 offset:768
	ds_load_b128 v[89:92], v51 offset:4608
	s_waitcnt lgkmcnt(1)
	;;#ASMSTART
	v_dot2_f32_f16 v73, v81, v85, v73
	;;#ASMEND
	;;#ASMSTART
	v_dot2_f32_f16 v73, v82, v86, v73
	;;#ASMEND
	;;#ASMSTART
	v_dot2_f32_f16 v73, v83, v87, v73
	;;#ASMEND
	;;#ASMSTART
	v_dot2_f32_f16 v73, v84, v88, v73
	;;#ASMEND
	s_waitcnt lgkmcnt(0)
	;;#ASMSTART
	v_dot2_f32_f16 v74, v89, v85, v74
	;;#ASMEND
	;;#ASMSTART
	v_dot2_f32_f16 v74, v90, v86, v74
	;;#ASMEND
	;;#ASMSTART
	v_dot2_f32_f16 v74, v91, v87, v74
	;;#ASMEND
	;;#ASMSTART
	v_dot2_f32_f16 v74, v92, v88, v74
	;;#ASMEND
	ds_load_b128 v[81:84], v51 offset:16
	ds_load_b128 v[85:88], v50 offset:784
	ds_load_b128 v[89:92], v51 offset:4624
	s_waitcnt lgkmcnt(1)
	;;#ASMSTART
	v_dot2_f32_f16 v73, v81, v85, v73
	;;#ASMEND
	;;#ASMSTART
	v_dot2_f32_f16 v73, v82, v86, v73
	;;#ASMEND
	;;#ASMSTART
	v_dot2_f32_f16 v73, v83, v87, v73
	;;#ASMEND
	;;#ASMSTART
	v_dot2_f32_f16 v73, v84, v88, v73
	;;#ASMEND
	s_waitcnt lgkmcnt(0)
	;;#ASMSTART
	v_dot2_f32_f16 v74, v89, v85, v74
	;;#ASMEND
	;;#ASMSTART
	v_dot2_f32_f16 v74, v90, v86, v74
	;;#ASMEND
	;;#ASMSTART
	v_dot2_f32_f16 v74, v91, v87, v74
	;;#ASMEND
	;;#ASMSTART
	v_dot2_f32_f16 v74, v92, v88, v74
	;;#ASMEND
	ds_load_b128 v[81:84], v51 offset:32
	;; [unrolled: 29-line block ×7, first 2 shown]
	ds_load_b128 v[85:88], v50 offset:880
	ds_load_b128 v[89:92], v51 offset:4720
	s_waitcnt lgkmcnt(1)
	;;#ASMSTART
	v_dot2_f32_f16 v73, v81, v85, v73
	;;#ASMEND
	;;#ASMSTART
	v_dot2_f32_f16 v73, v82, v86, v73
	;;#ASMEND
	;;#ASMSTART
	v_dot2_f32_f16 v73, v83, v87, v73
	;;#ASMEND
	;;#ASMSTART
	v_dot2_f32_f16 v73, v84, v88, v73
	;;#ASMEND
	s_waitcnt lgkmcnt(0)
	;;#ASMSTART
	v_dot2_f32_f16 v74, v89, v85, v74
	;;#ASMEND
	;;#ASMSTART
	v_dot2_f32_f16 v74, v90, v86, v74
	;;#ASMEND
	;; [unrolled: 3-line block ×4, first 2 shown]
	s_barrier
	buffer_gl0_inv
	s_clause 0x3
	global_load_b128 v[81:84], v[36:37], off offset:896
	global_load_b128 v[85:88], v[30:31], off offset:896
	;; [unrolled: 1-line block ×4, first 2 shown]
	s_waitcnt vmcnt(3)
	ds_store_b128 v46, v[81:84]
	s_waitcnt vmcnt(2)
	ds_store_b128 v47, v[85:88]
	;; [unrolled: 2-line block ×4, first 2 shown]
	s_waitcnt lgkmcnt(0)
	s_barrier
	buffer_gl0_inv
	ds_load_b128 v[34:37], v51
	ds_load_b128 v[81:84], v50 offset:896
	ds_load_b128 v[85:88], v51 offset:4608
	s_waitcnt lgkmcnt(1)
	;;#ASMSTART
	v_dot2_f32_f16 v73, v34, v81, v73
	;;#ASMEND
	;;#ASMSTART
	v_dot2_f32_f16 v73, v35, v82, v73
	;;#ASMEND
	;;#ASMSTART
	v_dot2_f32_f16 v73, v36, v83, v73
	;;#ASMEND
	;;#ASMSTART
	v_dot2_f32_f16 v73, v37, v84, v73
	;;#ASMEND
	s_waitcnt lgkmcnt(0)
	;;#ASMSTART
	v_dot2_f32_f16 v74, v85, v81, v74
	;;#ASMEND
	;;#ASMSTART
	v_dot2_f32_f16 v74, v86, v82, v74
	;;#ASMEND
	;;#ASMSTART
	v_dot2_f32_f16 v74, v87, v83, v74
	;;#ASMEND
	;;#ASMSTART
	v_dot2_f32_f16 v74, v88, v84, v74
	;;#ASMEND
	ds_load_b128 v[34:37], v51 offset:16
	ds_load_b128 v[81:84], v50 offset:912
	ds_load_b128 v[85:88], v51 offset:4624
	s_waitcnt lgkmcnt(1)
	;;#ASMSTART
	v_dot2_f32_f16 v73, v34, v81, v73
	;;#ASMEND
	;;#ASMSTART
	v_dot2_f32_f16 v73, v35, v82, v73
	;;#ASMEND
	;;#ASMSTART
	v_dot2_f32_f16 v73, v36, v83, v73
	;;#ASMEND
	;;#ASMSTART
	v_dot2_f32_f16 v73, v37, v84, v73
	;;#ASMEND
	s_waitcnt lgkmcnt(0)
	;;#ASMSTART
	v_dot2_f32_f16 v74, v85, v81, v74
	;;#ASMEND
	;;#ASMSTART
	v_dot2_f32_f16 v74, v86, v82, v74
	;;#ASMEND
	;;#ASMSTART
	v_dot2_f32_f16 v74, v87, v83, v74
	;;#ASMEND
	;;#ASMSTART
	v_dot2_f32_f16 v74, v88, v84, v74
	;;#ASMEND
	ds_load_b128 v[34:37], v51 offset:32
	;; [unrolled: 29-line block ×7, first 2 shown]
	ds_load_b128 v[81:84], v50 offset:1008
	ds_load_b128 v[85:88], v51 offset:4720
	s_waitcnt lgkmcnt(1)
	;;#ASMSTART
	v_dot2_f32_f16 v73, v34, v81, v73
	;;#ASMEND
	;;#ASMSTART
	v_dot2_f32_f16 v73, v35, v82, v73
	;;#ASMEND
	;; [unrolled: 3-line block ×4, first 2 shown]
	v_lshlrev_b32_e32 v76, 2, v21
	v_add_co_ci_u32_e32 v21, vcc_lo, 0, v18, vcc_lo
	v_add_co_u32 v15, vcc_lo, s4, v13
	s_mul_i32 s4, s6, s17
	v_add_co_ci_u32_e32 v97, vcc_lo, s3, v14, vcc_lo
	s_lshl_b64 s[2:3], s[4:5], 2
	s_delay_alu instid0(VALU_DEP_2)
	v_add_co_u32 v16, vcc_lo, v15, v60
	s_add_u32 s4, s20, s2
	v_add_co_u32 v18, s2, v17, v60
	v_add_co_ci_u32_e32 v17, vcc_lo, 0, v97, vcc_lo
	s_addc_u32 s3, s21, s3
	s_or_b32 s6, s16, 32
	v_add_co_ci_u32_e64 v19, s2, 0, v19, s2
	v_add_co_u32 v15, vcc_lo, s4, v13
	v_add_co_u32 v97, s2, s4, v11
	s_mul_hi_i32 s5, s6, s17
	s_mul_i32 s4, s6, s17
	v_add_co_ci_u32_e32 v31, vcc_lo, s3, v14, vcc_lo
	v_add_co_ci_u32_e64 v30, s2, s3, v12, s2
	s_lshl_b64 s[2:3], s[4:5], 2
	v_add_co_u32 v152, vcc_lo, v15, v60
	s_add_u32 s4, s20, s2
	v_add_co_ci_u32_e32 v153, vcc_lo, 0, v31, vcc_lo
	v_add_co_u32 v15, vcc_lo, s4, v13
	s_addc_u32 s3, s21, s3
	s_waitcnt lgkmcnt(0)
	;;#ASMSTART
	v_dot2_f32_f16 v74, v85, v81, v74
	;;#ASMEND
	v_add_co_u32 v154, s2, v97, v60
	;;#ASMSTART
	v_dot2_f32_f16 v74, v86, v82, v74
	;;#ASMEND
	v_add_co_ci_u32_e32 v93, vcc_lo, s3, v14, vcc_lo
	;;#ASMSTART
	v_dot2_f32_f16 v74, v87, v83, v74
	;;#ASMEND
	v_add_co_ci_u32_e64 v155, s2, 0, v30, s2
	v_add_co_u32 v30, vcc_lo, v15, v60
	;;#ASMSTART
	v_dot2_f32_f16 v74, v88, v84, v74
	;;#ASMEND
	s_clause 0x1
	flat_load_u16 v15, v[28:29]
	flat_load_u16 v89, v[28:29] offset:64
	s_waitcnt vmcnt(0) lgkmcnt(0)
	s_barrier
	buffer_gl0_inv
	s_clause 0x3
	global_load_b128 v[34:37], v[26:27], off
	global_load_b128 v[26:29], v[26:27], off offset:512
	global_load_b128 v[81:84], v[24:25], off
	global_load_b128 v[85:88], v[24:25], off offset:512
	s_or_b32 s6, s16, 40
	v_add_co_u32 v31, s2, s4, v11
	s_mul_hi_i32 s5, s6, s17
	s_mul_i32 s4, s6, s17
	v_add_co_ci_u32_e64 v33, s2, s3, v12, s2
	s_lshl_b64 s[2:3], s[4:5], 2
	s_delay_alu instid0(SALU_CYCLE_1)
	s_add_u32 s13, s20, s2
	v_add_co_u32 v32, s2, v31, v60
	s_addc_u32 s12, s21, s3
	v_add_co_ci_u32_e64 v33, s2, 0, v33, s2
	v_add_co_ci_u32_e32 v31, vcc_lo, 0, v93, vcc_lo
	v_add_co_u32 v158, vcc_lo, s13, v13
	s_or_b32 s23, s16, 48
	v_cvt_f32_f16_e32 v15, v15
	v_cvt_f32_f16_e32 v24, v89
	s_delay_alu instid0(VALU_DEP_1) | instskip(NEXT) | instid1(VALU_DEP_1)
	v_dual_add_f32 v25, v73, v15 :: v_dual_add_f32 v24, v74, v24
	v_add_f32_e32 v15, 0x40051340, v25
	s_delay_alu instid0(VALU_DEP_2) | instskip(NEXT) | instid1(VALU_DEP_1)
	v_add_f32_e32 v73, 0x40051340, v24
	v_max3_f32 v15, v72, v15, v73
	ds_bpermute_b32 v73, v80, v15
	s_waitcnt lgkmcnt(0)
	v_max_f32_e32 v73, v73, v73
	s_delay_alu instid0(VALU_DEP_1) | instskip(SKIP_3) | instid1(VALU_DEP_1)
	v_max_f32_e32 v15, v15, v73
	ds_bpermute_b32 v73, v79, v15
	s_waitcnt lgkmcnt(0)
	v_max_f32_e32 v73, v73, v73
	v_max_f32_e32 v15, v15, v73
	ds_bpermute_b32 v73, v78, v15
	s_waitcnt lgkmcnt(0)
	v_max_f32_e32 v73, v73, v73
	s_delay_alu instid0(VALU_DEP_1) | instskip(SKIP_3) | instid1(VALU_DEP_1)
	v_max_f32_e32 v15, v15, v73
	ds_bpermute_b32 v73, v77, v15
	s_waitcnt lgkmcnt(0)
	v_max_f32_e32 v73, v73, v73
	v_max_f32_e32 v15, v15, v73
	ds_bpermute_b32 v73, v76, v15
	s_waitcnt lgkmcnt(0)
	v_max_f32_e32 v73, v73, v73
	s_delay_alu instid0(VALU_DEP_1) | instskip(NEXT) | instid1(VALU_DEP_1)
	v_max_f32_e32 v15, v15, v73
	v_sub_f32_e32 v72, v72, v15
	v_sub_f32_e32 v24, v24, v15
	s_delay_alu instid0(VALU_DEP_2) | instskip(NEXT) | instid1(VALU_DEP_2)
	v_mul_f32_e32 v148, 0x3fb8aa3b, v72
	v_mul_f32_e32 v74, 0x3fb8aa3b, v24
	v_cmp_ngt_f32_e64 s2, 0xc2ce8ed0, v24
	v_cmp_nlt_f32_e64 s4, 0x42b17218, v24
	v_cmp_ngt_f32_e64 s6, 0xc2ce8ed0, v72
	v_fma_f32 v149, 0x3fb8aa3b, v72, -v148
	v_fma_f32 v78, 0x3fb8aa3b, v24, -v74
	v_rndne_f32_e32 v79, v74
	v_rndne_f32_e32 v150, v148
	v_cmp_nlt_f32_e64 s7, 0x42b17218, v72
	v_fmac_f32_e32 v149, 0x32a5705f, v72
	v_dual_sub_f32 v25, v25, v15 :: v_dual_fmac_f32 v78, 0x32a5705f, v24
	v_sub_f32_e32 v24, v74, v79
	v_cvt_i32_f32_e32 v74, v79
	s_delay_alu instid0(VALU_DEP_3) | instskip(SKIP_3) | instid1(VALU_DEP_4)
	v_mul_f32_e32 v73, 0x3fb8aa3b, v25
	v_cmp_ngt_f32_e64 s3, 0xc2ce8ed0, v25
	v_cmp_nlt_f32_e64 s5, 0x42b17218, v25
	v_add_f32_e32 v24, v24, v78
	v_fma_f32 v76, 0x3fb8aa3b, v25, -v73
	v_rndne_f32_e32 v77, v73
	s_delay_alu instid0(VALU_DEP_3) | instskip(NEXT) | instid1(VALU_DEP_2)
	v_exp_f32_e32 v24, v24
	v_fmac_f32_e32 v76, 0x32a5705f, v25
	s_delay_alu instid0(VALU_DEP_2) | instskip(SKIP_1) | instid1(VALU_DEP_2)
	v_sub_f32_e32 v25, v73, v77
	v_cvt_i32_f32_e32 v73, v77
	v_add_f32_e32 v25, v25, v76
	s_waitcnt_depctr 0xfff
	v_ldexp_f32 v24, v24, v74
	v_exp_f32_e32 v25, v25
	s_delay_alu instid0(VALU_DEP_1) | instskip(NEXT) | instid1(VALU_DEP_1)
	v_cndmask_b32_e64 v24, 0, v24, s2
	v_cndmask_b32_e64 v74, 0x7f800000, v24, s4
	s_mul_i32 s4, s23, s17
	s_waitcnt_depctr 0xfff
	v_ldexp_f32 v25, v25, v73
	s_delay_alu instid0(VALU_DEP_1) | instskip(NEXT) | instid1(VALU_DEP_1)
	v_cndmask_b32_e64 v25, 0, v25, s3
	v_cndmask_b32_e64 v73, 0x7f800000, v25, s5
	v_cvt_f16_f32_e32 v25, v74
	s_mul_hi_i32 s5, s23, s17
	s_delay_alu instid0(VALU_DEP_2)
	v_cvt_f16_f32_e32 v24, v73
	ds_store_b16 v54, v24
	ds_store_b16 v54, v25 offset:64
	s_waitcnt vmcnt(3)
	ds_store_b128 v53, v[34:37]
	s_waitcnt vmcnt(2)
	ds_store_b128 v55, v[26:29]
	s_waitcnt vmcnt(1)
	ds_store_b128 v56, v[81:84]
	s_waitcnt vmcnt(0)
	ds_store_b128 v57, v[85:88]
	s_waitcnt lgkmcnt(0)
	s_barrier
	buffer_gl0_inv
	ds_load_2addr_b64 v[24:27], v58 offset1:32
	ds_load_2addr_b64 v[34:37], v58 offset0:64 offset1:96
	ds_load_b128 v[76:79], v52
	ds_load_2addr_b64 v[80:83], v58 offset0:128 offset1:160
	ds_load_2addr_b64 v[84:87], v58 offset0:192 offset1:224
	ds_load_2addr_b64 v[88:91], v61 offset1:32
	ds_load_2addr_b64 v[92:95], v61 offset0:64 offset1:96
	ds_load_2addr_b64 v[96:99], v61 offset0:128 offset1:160
	ds_load_2addr_b64 v[100:103], v61 offset0:192 offset1:224
	ds_load_2addr_b64 v[104:107], v62 offset1:32
	ds_load_2addr_b64 v[108:111], v62 offset0:64 offset1:96
	;; [unrolled: 4-line block ×3, first 2 shown]
	ds_load_2addr_b64 v[128:131], v63 offset0:128 offset1:160
	ds_load_2addr_b64 v[132:135], v63 offset0:192 offset1:224
	s_waitcnt lgkmcnt(0)
	s_barrier
	buffer_gl0_inv
	s_clause 0x3
	global_load_b128 v[136:139], v[22:23], off
	global_load_b128 v[140:143], v[22:23], off offset:512
	global_load_b128 v[144:147], v[20:21], off
	global_load_b128 v[20:23], v[20:21], off offset:512
	v_sub_f32_e32 v28, v148, v150
	v_cvt_i32_f32_e32 v29, v150
	v_pk_mul_f16 v24, v24, v76 op_sel_hi:[1,0]
	v_pk_mul_f16 v25, v25, v76 op_sel_hi:[1,0]
	s_waitcnt vmcnt(3)
	ds_store_b128 v53, v[136:139]
	s_waitcnt vmcnt(2)
	ds_store_b128 v55, v[140:143]
	s_waitcnt vmcnt(1)
	ds_store_b128 v56, v[144:147]
	s_waitcnt vmcnt(0)
	ds_store_b128 v57, v[20:23]
	v_add_f32_e32 v28, v28, v149
	s_waitcnt lgkmcnt(0)
	s_barrier
	buffer_gl0_inv
	v_exp_f32_e32 v28, v28
	s_waitcnt_depctr 0xfff
	v_ldexp_f32 v28, v28, v29
	s_delay_alu instid0(VALU_DEP_1) | instskip(NEXT) | instid1(VALU_DEP_1)
	v_cndmask_b32_e64 v28, 0, v28, s6
	v_cndmask_b32_e64 v28, 0x7f800000, v28, s7
	s_delay_alu instid0(VALU_DEP_1) | instskip(NEXT) | instid1(VALU_DEP_1)
	v_cvt_f16_f32_e32 v29, v28
	v_pk_mul_f16 v68, v29, v68 op_sel_hi:[0,1]
	v_pk_mul_f16 v70, v29, v70 op_sel_hi:[0,1]
	;; [unrolled: 1-line block ×6, first 2 shown]
	v_pk_fma_f16 v26, v26, v76, v68 op_sel_hi:[1,0,1]
	v_pk_fma_f16 v27, v27, v76, v70 op_sel_hi:[1,0,1]
	v_pk_fma_f16 v34, v34, v76, v66 op_sel_hi:[1,0,1]
	v_pk_fma_f16 v35, v35, v76, v67 op_sel_hi:[1,0,1]
	v_pk_fma_f16 v36, v36, v76, v65 op_sel_hi:[1,0,1]
	v_pk_fma_f16 v37, v37, v76, v64 op_sel_hi:[1,0,1]
	v_pk_fma_f16 v24, v69, v29, v24 op_sel_hi:[1,0,1]
	v_pk_fma_f16 v25, v71, v29, v25 op_sel_hi:[1,0,1]
	v_pk_fma_f16 v26, v82, v76, v26 op_sel:[0,1,0]
	v_pk_fma_f16 v27, v83, v76, v27 op_sel:[0,1,0]
	v_pk_fma_f16 v29, v84, v76, v34 op_sel:[0,1,0]
	v_pk_fma_f16 v34, v85, v76, v35 op_sel:[0,1,0]
	v_pk_fma_f16 v35, v86, v76, v36 op_sel:[0,1,0]
	v_pk_fma_f16 v36, v87, v76, v37 op_sel:[0,1,0]
	v_pk_fma_f16 v24, v80, v76, v24 op_sel:[0,1,0]
	v_pk_fma_f16 v25, v81, v76, v25 op_sel:[0,1,0]
	v_pk_fma_f16 v26, v90, v77, v26 op_sel_hi:[1,0,1]
	v_pk_fma_f16 v27, v91, v77, v27 op_sel_hi:[1,0,1]
	v_pk_fma_f16 v29, v92, v77, v29 op_sel_hi:[1,0,1]
	v_pk_fma_f16 v34, v93, v77, v34 op_sel_hi:[1,0,1]
	v_pk_fma_f16 v35, v94, v77, v35 op_sel_hi:[1,0,1]
	v_pk_fma_f16 v36, v95, v77, v36 op_sel_hi:[1,0,1]
	v_pk_fma_f16 v24, v88, v77, v24 op_sel_hi:[1,0,1]
	v_pk_fma_f16 v25, v89, v77, v25 op_sel_hi:[1,0,1]
	v_pk_fma_f16 v26, v98, v77, v26 op_sel:[0,1,0]
	v_pk_fma_f16 v27, v99, v77, v27 op_sel:[0,1,0]
	v_pk_fma_f16 v29, v100, v77, v29 op_sel:[0,1,0]
	v_pk_fma_f16 v34, v101, v77, v34 op_sel:[0,1,0]
	v_pk_fma_f16 v35, v102, v77, v35 op_sel:[0,1,0]
	v_pk_fma_f16 v36, v103, v77, v36 op_sel:[0,1,0]
	v_pk_fma_f16 v24, v96, v77, v24 op_sel:[0,1,0]
	v_pk_fma_f16 v25, v97, v77, v25 op_sel:[0,1,0]
	;; [unrolled: 16-line block ×3, first 2 shown]
	v_pk_fma_f16 v72, v122, v79, v26 op_sel_hi:[1,0,1]
	v_pk_fma_f16 v76, v123, v79, v27 op_sel_hi:[1,0,1]
	;; [unrolled: 1-line block ×8, first 2 shown]
	v_pk_fma_f16 v132, v132, v79, v26 op_sel:[0,1,0]
	v_pk_fma_f16 v133, v133, v79, v27 op_sel:[0,1,0]
	ds_load_2addr_b64 v[20:23], v58 offset1:32
	ds_load_2addr_b64 v[24:27], v58 offset0:64 offset1:96
	ds_load_b128 v[34:37], v52 offset:16
	ds_load_2addr_b64 v[64:67], v58 offset0:128 offset1:160
	ds_load_2addr_b64 v[68:71], v58 offset0:192 offset1:224
	ds_load_2addr_b64 v[80:83], v61 offset1:32
	ds_load_2addr_b64 v[84:87], v61 offset0:64 offset1:96
	ds_load_2addr_b64 v[88:91], v61 offset0:128 offset1:160
	ds_load_2addr_b64 v[92:95], v61 offset0:192 offset1:224
	ds_load_2addr_b64 v[96:99], v62 offset1:32
	ds_load_2addr_b64 v[100:103], v62 offset0:64 offset1:96
	;; [unrolled: 4-line block ×3, first 2 shown]
	ds_load_2addr_b64 v[120:123], v63 offset0:128 offset1:160
	ds_load_2addr_b64 v[124:127], v63 offset0:192 offset1:224
	s_waitcnt lgkmcnt(0)
	s_barrier
	buffer_gl0_inv
	s_clause 0x3
	global_load_b128 v[136:139], v[18:19], off
	global_load_b128 v[140:143], v[18:19], off offset:512
	global_load_b128 v[144:147], v[16:17], off
	global_load_b128 v[148:151], v[16:17], off offset:512
	v_add_co_u32 v16, s2, s13, v11
	s_delay_alu instid0(VALU_DEP_1) | instskip(SKIP_2) | instid1(VALU_DEP_4)
	v_add_co_ci_u32_e64 v19, s2, s12, v12, s2
	v_pk_fma_f16 v17, v134, v79, v29 op_sel:[0,1,0]
	v_add_co_ci_u32_e32 v29, vcc_lo, s12, v14, vcc_lo
	v_add_co_u32 v156, vcc_lo, v16, v60
	s_delay_alu instid0(VALU_DEP_4) | instskip(SKIP_1) | instid1(VALU_DEP_4)
	v_add_co_ci_u32_e32 v157, vcc_lo, 0, v19, vcc_lo
	v_add_co_u32 v158, vcc_lo, v158, v60
	v_add_co_ci_u32_e32 v159, vcc_lo, 0, v29, vcc_lo
	v_pk_fma_f16 v19, v130, v79, v72 op_sel:[0,1,0]
	v_pk_fma_f16 v29, v131, v79, v76 op_sel:[0,1,0]
	;; [unrolled: 1-line block ×5, first 2 shown]
	v_pk_fma_f16 v19, v22, v34, v19 op_sel_hi:[1,0,1]
	v_pk_fma_f16 v22, v23, v34, v29 op_sel_hi:[1,0,1]
	;; [unrolled: 1-line block ×8, first 2 shown]
	v_pk_fma_f16 v20, v64, v34, v20 op_sel:[0,1,0]
	v_pk_fma_f16 v21, v65, v34, v21 op_sel:[0,1,0]
	;; [unrolled: 1-line block ×4, first 2 shown]
	s_lshl_b64 s[2:3], s[4:5], 2
	v_pk_fma_f16 v23, v68, v34, v23 op_sel:[0,1,0]
	v_pk_fma_f16 v24, v69, v34, v24 op_sel:[0,1,0]
	;; [unrolled: 1-line block ×4, first 2 shown]
	v_pk_fma_f16 v20, v80, v35, v20 op_sel_hi:[1,0,1]
	v_pk_fma_f16 v21, v81, v35, v21 op_sel_hi:[1,0,1]
	v_pk_fma_f16 v19, v82, v35, v19 op_sel_hi:[1,0,1]
	v_pk_fma_f16 v22, v83, v35, v22 op_sel_hi:[1,0,1]
	s_add_u32 s2, s20, s2
	s_addc_u32 s3, s21, s3
	s_or_b32 s4, s16, 56
	v_add_co_u32 v16, vcc_lo, s2, v13
	v_add_co_u32 v77, s2, s2, v11
	s_mul_hi_i32 s5, s4, s17
	s_mul_i32 s4, s4, s17
	v_pk_fma_f16 v23, v84, v35, v23 op_sel_hi:[1,0,1]
	v_pk_fma_f16 v24, v85, v35, v24 op_sel_hi:[1,0,1]
	;; [unrolled: 1-line block ×4, first 2 shown]
	v_pk_fma_f16 v20, v88, v35, v20 op_sel:[0,1,0]
	v_pk_fma_f16 v21, v89, v35, v21 op_sel:[0,1,0]
	;; [unrolled: 1-line block ×4, first 2 shown]
	v_add_co_ci_u32_e64 v78, s2, s3, v12, s2
	v_add_co_ci_u32_e32 v79, vcc_lo, s3, v14, vcc_lo
	s_lshl_b64 s[2:3], s[4:5], 2
	v_pk_fma_f16 v23, v92, v35, v23 op_sel:[0,1,0]
	s_add_u32 s4, s20, s2
	v_add_co_u32 v162, s2, v77, v60
	v_pk_fma_f16 v24, v93, v35, v24 op_sel:[0,1,0]
	v_pk_fma_f16 v17, v94, v35, v17 op_sel:[0,1,0]
	;; [unrolled: 1-line block ×3, first 2 shown]
	v_pk_fma_f16 v20, v96, v36, v20 op_sel_hi:[1,0,1]
	v_pk_fma_f16 v21, v97, v36, v21 op_sel_hi:[1,0,1]
	;; [unrolled: 1-line block ×4, first 2 shown]
	v_add_co_u32 v160, vcc_lo, v16, v60
	v_add_co_ci_u32_e64 v163, s2, 0, v78, s2
	s_addc_u32 s3, s21, s3
	v_add_co_u32 v77, s2, s4, v11
	v_add_co_ci_u32_e32 v161, vcc_lo, 0, v79, vcc_lo
	v_add_co_u32 v16, vcc_lo, s4, v13
	v_add_co_ci_u32_e64 v78, s2, s3, v12, s2
	v_pk_fma_f16 v23, v100, v36, v23 op_sel_hi:[1,0,1]
	v_pk_fma_f16 v24, v101, v36, v24 op_sel_hi:[1,0,1]
	;; [unrolled: 1-line block ×4, first 2 shown]
	v_pk_fma_f16 v20, v104, v36, v20 op_sel:[0,1,0]
	v_pk_fma_f16 v21, v105, v36, v21 op_sel:[0,1,0]
	;; [unrolled: 1-line block ×4, first 2 shown]
	v_add_co_ci_u32_e32 v79, vcc_lo, s3, v14, vcc_lo
	v_add_co_u32 v164, vcc_lo, v77, v60
	v_add_co_ci_u32_e32 v165, vcc_lo, 0, v78, vcc_lo
	v_add_co_u32 v166, vcc_lo, v16, v60
	v_add_f32_e32 v16, v73, v74
	v_pk_fma_f16 v23, v108, v36, v23 op_sel:[0,1,0]
	v_pk_fma_f16 v24, v109, v36, v24 op_sel:[0,1,0]
	;; [unrolled: 1-line block ×4, first 2 shown]
	v_pk_fma_f16 v20, v112, v37, v20 op_sel_hi:[1,0,1]
	v_pk_fma_f16 v21, v113, v37, v21 op_sel_hi:[1,0,1]
	;; [unrolled: 1-line block ×4, first 2 shown]
	v_add_co_ci_u32_e32 v167, vcc_lo, 0, v79, vcc_lo
	v_fmac_f32_e32 v16, v75, v28
	v_pk_fma_f16 v29, v116, v37, v23 op_sel_hi:[1,0,1]
	v_pk_fma_f16 v34, v117, v37, v24 op_sel_hi:[1,0,1]
	;; [unrolled: 1-line block ×4, first 2 shown]
	v_pk_fma_f16 v168, v120, v37, v20 op_sel:[0,1,0]
	v_pk_fma_f16 v169, v121, v37, v21 op_sel:[0,1,0]
	v_pk_fma_f16 v170, v122, v37, v19 op_sel:[0,1,0]
	v_pk_fma_f16 v171, v123, v37, v22 op_sel:[0,1,0]
	s_waitcnt vmcnt(3)
	ds_store_b128 v53, v[136:139]
	s_waitcnt vmcnt(2)
	ds_store_b128 v55, v[140:143]
	;; [unrolled: 2-line block ×4, first 2 shown]
	s_waitcnt lgkmcnt(0)
	s_barrier
	buffer_gl0_inv
	ds_load_2addr_b64 v[17:20], v58 offset1:32
	ds_load_2addr_b64 v[21:24], v58 offset0:64 offset1:96
	ds_load_b128 v[25:28], v52 offset:32
	ds_load_2addr_b64 v[64:67], v58 offset0:128 offset1:160
	ds_load_2addr_b64 v[68:71], v58 offset0:192 offset1:224
	ds_load_2addr_b64 v[72:75], v61 offset1:32
	ds_load_2addr_b64 v[76:79], v61 offset0:64 offset1:96
	ds_load_2addr_b64 v[80:83], v61 offset0:128 offset1:160
	ds_load_2addr_b64 v[84:87], v61 offset0:192 offset1:224
	ds_load_2addr_b64 v[88:91], v62 offset1:32
	ds_load_2addr_b64 v[92:95], v62 offset0:64 offset1:96
	;; [unrolled: 4-line block ×3, first 2 shown]
	ds_load_2addr_b64 v[112:115], v63 offset0:128 offset1:160
	ds_load_2addr_b64 v[116:119], v63 offset0:192 offset1:224
	s_waitcnt lgkmcnt(0)
	s_barrier
	buffer_gl0_inv
	s_clause 0x3
	global_load_b128 v[120:123], v[154:155], off
	global_load_b128 v[128:131], v[154:155], off offset:512
	global_load_b128 v[132:135], v[152:153], off
	global_load_b128 v[136:139], v[152:153], off offset:512
	v_pk_fma_f16 v29, v124, v37, v29 op_sel:[0,1,0]
	v_pk_fma_f16 v34, v125, v37, v34 op_sel:[0,1,0]
	v_pk_fma_f16 v35, v126, v37, v35 op_sel:[0,1,0]
	v_pk_fma_f16 v36, v127, v37, v36 op_sel:[0,1,0]
	v_pk_fma_f16 v17, v17, v25, v168 op_sel_hi:[1,0,1]
	v_pk_fma_f16 v18, v18, v25, v169 op_sel_hi:[1,0,1]
	v_pk_fma_f16 v19, v19, v25, v170 op_sel_hi:[1,0,1]
	v_pk_fma_f16 v20, v20, v25, v171 op_sel_hi:[1,0,1]
	v_pk_fma_f16 v21, v21, v25, v29 op_sel_hi:[1,0,1]
	v_pk_fma_f16 v22, v22, v25, v34 op_sel_hi:[1,0,1]
	v_pk_fma_f16 v23, v23, v25, v35 op_sel_hi:[1,0,1]
	v_pk_fma_f16 v24, v24, v25, v36 op_sel_hi:[1,0,1]
	v_pk_fma_f16 v17, v64, v25, v17 op_sel:[0,1,0]
	v_pk_fma_f16 v18, v65, v25, v18 op_sel:[0,1,0]
	v_pk_fma_f16 v19, v66, v25, v19 op_sel:[0,1,0]
	v_pk_fma_f16 v20, v67, v25, v20 op_sel:[0,1,0]
	v_pk_fma_f16 v21, v68, v25, v21 op_sel:[0,1,0]
	v_pk_fma_f16 v22, v69, v25, v22 op_sel:[0,1,0]
	v_pk_fma_f16 v23, v70, v25, v23 op_sel:[0,1,0]
	v_pk_fma_f16 v24, v71, v25, v24 op_sel:[0,1,0]
	v_pk_fma_f16 v17, v72, v26, v17 op_sel_hi:[1,0,1]
	v_pk_fma_f16 v18, v73, v26, v18 op_sel_hi:[1,0,1]
	v_pk_fma_f16 v19, v74, v26, v19 op_sel_hi:[1,0,1]
	v_pk_fma_f16 v20, v75, v26, v20 op_sel_hi:[1,0,1]
	v_pk_fma_f16 v21, v76, v26, v21 op_sel_hi:[1,0,1]
	v_pk_fma_f16 v22, v77, v26, v22 op_sel_hi:[1,0,1]
	v_pk_fma_f16 v23, v78, v26, v23 op_sel_hi:[1,0,1]
	v_pk_fma_f16 v24, v79, v26, v24 op_sel_hi:[1,0,1]
	v_pk_fma_f16 v17, v80, v26, v17 op_sel:[0,1,0]
	v_pk_fma_f16 v18, v81, v26, v18 op_sel:[0,1,0]
	v_pk_fma_f16 v19, v82, v26, v19 op_sel:[0,1,0]
	v_pk_fma_f16 v20, v83, v26, v20 op_sel:[0,1,0]
	;; [unrolled: 16-line block ×3, first 2 shown]
	v_pk_fma_f16 v21, v100, v27, v21 op_sel:[0,1,0]
	v_pk_fma_f16 v22, v101, v27, v22 op_sel:[0,1,0]
	;; [unrolled: 1-line block ×4, first 2 shown]
	v_pk_fma_f16 v25, v104, v28, v17 op_sel_hi:[1,0,1]
	v_pk_fma_f16 v26, v105, v28, v18 op_sel_hi:[1,0,1]
	;; [unrolled: 1-line block ×8, first 2 shown]
	s_waitcnt vmcnt(3)
	ds_store_b128 v53, v[120:123]
	s_waitcnt vmcnt(2)
	ds_store_b128 v55, v[128:131]
	;; [unrolled: 2-line block ×4, first 2 shown]
	s_waitcnt lgkmcnt(0)
	s_barrier
	buffer_gl0_inv
	ds_load_2addr_b64 v[17:20], v58 offset1:32
	ds_load_2addr_b64 v[21:24], v58 offset0:64 offset1:96
	ds_load_b128 v[34:37], v52 offset:48
	ds_load_2addr_b64 v[64:67], v58 offset0:128 offset1:160
	ds_load_2addr_b64 v[68:71], v58 offset0:192 offset1:224
	ds_load_2addr_b64 v[72:75], v61 offset1:32
	ds_load_2addr_b64 v[76:79], v61 offset0:64 offset1:96
	ds_load_2addr_b64 v[80:83], v61 offset0:128 offset1:160
	ds_load_2addr_b64 v[84:87], v61 offset0:192 offset1:224
	ds_load_2addr_b64 v[88:91], v62 offset1:32
	ds_load_2addr_b64 v[92:95], v62 offset0:64 offset1:96
	;; [unrolled: 4-line block ×3, first 2 shown]
	ds_load_2addr_b64 v[120:123], v63 offset0:128 offset1:160
	ds_load_2addr_b64 v[124:127], v63 offset0:192 offset1:224
	s_waitcnt lgkmcnt(0)
	s_barrier
	buffer_gl0_inv
	s_clause 0x3
	global_load_b128 v[128:131], v[32:33], off
	global_load_b128 v[132:135], v[32:33], off offset:512
	global_load_b128 v[136:139], v[30:31], off
	global_load_b128 v[29:32], v[30:31], off offset:512
	v_pk_fma_f16 v25, v112, v28, v25 op_sel:[0,1,0]
	v_pk_fma_f16 v26, v113, v28, v26 op_sel:[0,1,0]
	v_pk_fma_f16 v27, v114, v28, v27 op_sel:[0,1,0]
	v_pk_fma_f16 v33, v115, v28, v140 op_sel:[0,1,0]
	v_pk_fma_f16 v112, v116, v28, v141 op_sel:[0,1,0]
	v_pk_fma_f16 v113, v117, v28, v142 op_sel:[0,1,0]
	v_pk_fma_f16 v114, v118, v28, v143 op_sel:[0,1,0]
	v_pk_fma_f16 v28, v119, v28, v144 op_sel:[0,1,0]
	v_pk_fma_f16 v17, v17, v34, v25 op_sel_hi:[1,0,1]
	v_pk_fma_f16 v18, v18, v34, v26 op_sel_hi:[1,0,1]
	v_pk_fma_f16 v19, v19, v34, v27 op_sel_hi:[1,0,1]
	v_pk_fma_f16 v20, v20, v34, v33 op_sel_hi:[1,0,1]
	v_pk_fma_f16 v21, v21, v34, v112 op_sel_hi:[1,0,1]
	v_pk_fma_f16 v22, v22, v34, v113 op_sel_hi:[1,0,1]
	v_pk_fma_f16 v23, v23, v34, v114 op_sel_hi:[1,0,1]
	v_pk_fma_f16 v24, v24, v34, v28 op_sel_hi:[1,0,1]
	v_pk_fma_f16 v17, v64, v34, v17 op_sel:[0,1,0]
	v_pk_fma_f16 v18, v65, v34, v18 op_sel:[0,1,0]
	v_pk_fma_f16 v19, v66, v34, v19 op_sel:[0,1,0]
	v_pk_fma_f16 v20, v67, v34, v20 op_sel:[0,1,0]
	v_pk_fma_f16 v21, v68, v34, v21 op_sel:[0,1,0]
	v_pk_fma_f16 v22, v69, v34, v22 op_sel:[0,1,0]
	v_pk_fma_f16 v23, v70, v34, v23 op_sel:[0,1,0]
	v_pk_fma_f16 v24, v71, v34, v24 op_sel:[0,1,0]
	v_pk_fma_f16 v17, v72, v35, v17 op_sel_hi:[1,0,1]
	v_pk_fma_f16 v18, v73, v35, v18 op_sel_hi:[1,0,1]
	v_pk_fma_f16 v19, v74, v35, v19 op_sel_hi:[1,0,1]
	v_pk_fma_f16 v20, v75, v35, v20 op_sel_hi:[1,0,1]
	v_pk_fma_f16 v21, v76, v35, v21 op_sel_hi:[1,0,1]
	v_pk_fma_f16 v22, v77, v35, v22 op_sel_hi:[1,0,1]
	v_pk_fma_f16 v23, v78, v35, v23 op_sel_hi:[1,0,1]
	v_pk_fma_f16 v24, v79, v35, v24 op_sel_hi:[1,0,1]
	;; [unrolled: 16-line block ×3, first 2 shown]
	v_pk_fma_f16 v17, v96, v36, v17 op_sel:[0,1,0]
	v_pk_fma_f16 v18, v97, v36, v18 op_sel:[0,1,0]
	;; [unrolled: 1-line block ×8, first 2 shown]
	v_pk_fma_f16 v144, v104, v37, v17 op_sel_hi:[1,0,1]
	v_pk_fma_f16 v145, v105, v37, v18 op_sel_hi:[1,0,1]
	v_pk_fma_f16 v146, v106, v37, v19 op_sel_hi:[1,0,1]
	v_pk_fma_f16 v147, v107, v37, v20 op_sel_hi:[1,0,1]
	s_waitcnt vmcnt(3)
	ds_store_b128 v53, v[128:131]
	s_waitcnt vmcnt(2)
	ds_store_b128 v55, v[132:135]
	;; [unrolled: 2-line block ×4, first 2 shown]
	s_waitcnt lgkmcnt(0)
	s_barrier
	buffer_gl0_inv
	ds_load_2addr_b64 v[17:20], v58 offset1:32
	ds_load_2addr_b64 v[21:24], v58 offset0:64 offset1:96
	ds_load_b128 v[25:28], v52 offset:64
	ds_load_2addr_b64 v[29:32], v58 offset0:128 offset1:160
	ds_load_2addr_b64 v[33:36], v58 offset0:192 offset1:224
	ds_load_2addr_b64 v[64:67], v61 offset1:32
	ds_load_2addr_b64 v[68:71], v61 offset0:64 offset1:96
	ds_load_2addr_b64 v[72:75], v61 offset0:128 offset1:160
	ds_load_2addr_b64 v[76:79], v61 offset0:192 offset1:224
	ds_load_2addr_b64 v[80:83], v62 offset1:32
	ds_load_2addr_b64 v[84:87], v62 offset0:64 offset1:96
	;; [unrolled: 4-line block ×3, first 2 shown]
	ds_load_2addr_b64 v[104:107], v63 offset0:128 offset1:160
	ds_load_2addr_b64 v[112:115], v63 offset0:192 offset1:224
	s_waitcnt lgkmcnt(0)
	s_barrier
	buffer_gl0_inv
	s_clause 0x3
	global_load_b128 v[116:119], v[156:157], off
	global_load_b128 v[128:131], v[156:157], off offset:512
	global_load_b128 v[132:135], v[158:159], off
	global_load_b128 v[136:139], v[158:159], off offset:512
	v_pk_fma_f16 v108, v108, v37, v140 op_sel_hi:[1,0,1]
	v_pk_fma_f16 v109, v109, v37, v141 op_sel_hi:[1,0,1]
	v_pk_fma_f16 v110, v110, v37, v142 op_sel_hi:[1,0,1]
	v_pk_fma_f16 v111, v111, v37, v143 op_sel_hi:[1,0,1]
	v_pk_fma_f16 v120, v120, v37, v144 op_sel:[0,1,0]
	v_pk_fma_f16 v121, v121, v37, v145 op_sel:[0,1,0]
	v_pk_fma_f16 v122, v122, v37, v146 op_sel:[0,1,0]
	v_pk_fma_f16 v123, v123, v37, v147 op_sel:[0,1,0]
	v_pk_fma_f16 v108, v124, v37, v108 op_sel:[0,1,0]
	v_pk_fma_f16 v109, v125, v37, v109 op_sel:[0,1,0]
	v_pk_fma_f16 v110, v126, v37, v110 op_sel:[0,1,0]
	v_pk_fma_f16 v37, v127, v37, v111 op_sel:[0,1,0]
	v_pk_fma_f16 v17, v17, v25, v120 op_sel_hi:[1,0,1]
	v_pk_fma_f16 v18, v18, v25, v121 op_sel_hi:[1,0,1]
	v_pk_fma_f16 v19, v19, v25, v122 op_sel_hi:[1,0,1]
	v_pk_fma_f16 v20, v20, v25, v123 op_sel_hi:[1,0,1]
	v_pk_fma_f16 v21, v21, v25, v108 op_sel_hi:[1,0,1]
	v_pk_fma_f16 v22, v22, v25, v109 op_sel_hi:[1,0,1]
	v_pk_fma_f16 v23, v23, v25, v110 op_sel_hi:[1,0,1]
	v_pk_fma_f16 v24, v24, v25, v37 op_sel_hi:[1,0,1]
	v_pk_fma_f16 v17, v29, v25, v17 op_sel:[0,1,0]
	v_pk_fma_f16 v18, v30, v25, v18 op_sel:[0,1,0]
	v_pk_fma_f16 v19, v31, v25, v19 op_sel:[0,1,0]
	v_pk_fma_f16 v20, v32, v25, v20 op_sel:[0,1,0]
	v_pk_fma_f16 v21, v33, v25, v21 op_sel:[0,1,0]
	v_pk_fma_f16 v22, v34, v25, v22 op_sel:[0,1,0]
	v_pk_fma_f16 v23, v35, v25, v23 op_sel:[0,1,0]
	v_pk_fma_f16 v24, v36, v25, v24 op_sel:[0,1,0]
	v_pk_fma_f16 v17, v64, v26, v17 op_sel_hi:[1,0,1]
	v_pk_fma_f16 v18, v65, v26, v18 op_sel_hi:[1,0,1]
	v_pk_fma_f16 v19, v66, v26, v19 op_sel_hi:[1,0,1]
	v_pk_fma_f16 v20, v67, v26, v20 op_sel_hi:[1,0,1]
	;; [unrolled: 16-line block ×3, first 2 shown]
	v_pk_fma_f16 v21, v84, v27, v21 op_sel_hi:[1,0,1]
	v_pk_fma_f16 v22, v85, v27, v22 op_sel_hi:[1,0,1]
	;; [unrolled: 1-line block ×4, first 2 shown]
	v_pk_fma_f16 v25, v88, v27, v17 op_sel:[0,1,0]
	v_pk_fma_f16 v26, v89, v27, v18 op_sel:[0,1,0]
	;; [unrolled: 1-line block ×8, first 2 shown]
	s_waitcnt vmcnt(3)
	ds_store_b128 v53, v[116:119]
	s_waitcnt vmcnt(2)
	ds_store_b128 v55, v[128:131]
	;; [unrolled: 2-line block ×4, first 2 shown]
	s_waitcnt lgkmcnt(0)
	s_barrier
	buffer_gl0_inv
	ds_load_2addr_b64 v[17:20], v58 offset1:32
	ds_load_2addr_b64 v[21:24], v58 offset0:64 offset1:96
	ds_load_b128 v[29:32], v52 offset:80
	ds_load_2addr_b64 v[33:36], v58 offset0:128 offset1:160
	ds_load_2addr_b64 v[64:67], v58 offset0:192 offset1:224
	ds_load_2addr_b64 v[68:71], v61 offset1:32
	ds_load_2addr_b64 v[72:75], v61 offset0:64 offset1:96
	ds_load_2addr_b64 v[76:79], v61 offset0:128 offset1:160
	ds_load_2addr_b64 v[80:83], v61 offset0:192 offset1:224
	ds_load_2addr_b64 v[84:87], v62 offset1:32
	ds_load_2addr_b64 v[88:91], v62 offset0:64 offset1:96
	;; [unrolled: 4-line block ×3, first 2 shown]
	ds_load_2addr_b64 v[124:127], v63 offset0:128 offset1:160
	ds_load_2addr_b64 v[128:131], v63 offset0:192 offset1:224
	s_waitcnt lgkmcnt(0)
	s_barrier
	buffer_gl0_inv
	s_clause 0x3
	global_load_b128 v[132:135], v[162:163], off
	global_load_b128 v[136:139], v[162:163], off offset:512
	global_load_b128 v[140:143], v[160:161], off
	global_load_b128 v[144:147], v[160:161], off offset:512
	v_pk_fma_f16 v25, v96, v28, v25 op_sel_hi:[1,0,1]
	v_pk_fma_f16 v26, v97, v28, v26 op_sel_hi:[1,0,1]
	v_pk_fma_f16 v37, v98, v28, v37 op_sel_hi:[1,0,1]
	v_pk_fma_f16 v96, v99, v28, v148 op_sel_hi:[1,0,1]
	v_pk_fma_f16 v97, v100, v28, v149 op_sel_hi:[1,0,1]
	v_pk_fma_f16 v98, v101, v28, v150 op_sel_hi:[1,0,1]
	v_pk_fma_f16 v99, v102, v28, v151 op_sel_hi:[1,0,1]
	v_pk_fma_f16 v27, v103, v28, v27 op_sel_hi:[1,0,1]
	v_pk_fma_f16 v25, v104, v28, v25 op_sel:[0,1,0]
	v_pk_fma_f16 v26, v105, v28, v26 op_sel:[0,1,0]
	v_pk_fma_f16 v37, v106, v28, v37 op_sel:[0,1,0]
	v_pk_fma_f16 v96, v107, v28, v96 op_sel:[0,1,0]
	v_pk_fma_f16 v97, v112, v28, v97 op_sel:[0,1,0]
	v_pk_fma_f16 v98, v113, v28, v98 op_sel:[0,1,0]
	v_pk_fma_f16 v99, v114, v28, v99 op_sel:[0,1,0]
	v_pk_fma_f16 v27, v115, v28, v27 op_sel:[0,1,0]
	v_pk_fma_f16 v17, v17, v29, v25 op_sel_hi:[1,0,1]
	v_pk_fma_f16 v18, v18, v29, v26 op_sel_hi:[1,0,1]
	v_pk_fma_f16 v19, v19, v29, v37 op_sel_hi:[1,0,1]
	v_pk_fma_f16 v20, v20, v29, v96 op_sel_hi:[1,0,1]
	v_pk_fma_f16 v21, v21, v29, v97 op_sel_hi:[1,0,1]
	v_pk_fma_f16 v22, v22, v29, v98 op_sel_hi:[1,0,1]
	v_pk_fma_f16 v23, v23, v29, v99 op_sel_hi:[1,0,1]
	v_pk_fma_f16 v24, v24, v29, v27 op_sel_hi:[1,0,1]
	v_pk_fma_f16 v17, v33, v29, v17 op_sel:[0,1,0]
	v_pk_fma_f16 v18, v34, v29, v18 op_sel:[0,1,0]
	v_pk_fma_f16 v19, v35, v29, v19 op_sel:[0,1,0]
	v_pk_fma_f16 v20, v36, v29, v20 op_sel:[0,1,0]
	v_pk_fma_f16 v21, v64, v29, v21 op_sel:[0,1,0]
	v_pk_fma_f16 v22, v65, v29, v22 op_sel:[0,1,0]
	v_pk_fma_f16 v23, v66, v29, v23 op_sel:[0,1,0]
	v_pk_fma_f16 v24, v67, v29, v24 op_sel:[0,1,0]
	;; [unrolled: 16-line block ×3, first 2 shown]
	v_pk_fma_f16 v17, v84, v31, v17 op_sel_hi:[1,0,1]
	v_pk_fma_f16 v18, v85, v31, v18 op_sel_hi:[1,0,1]
	;; [unrolled: 1-line block ×8, first 2 shown]
	v_pk_fma_f16 v153, v92, v31, v17 op_sel:[0,1,0]
	v_pk_fma_f16 v154, v93, v31, v18 op_sel:[0,1,0]
	;; [unrolled: 1-line block ×4, first 2 shown]
	s_waitcnt vmcnt(3)
	ds_store_b128 v53, v[132:135]
	s_waitcnt vmcnt(2)
	ds_store_b128 v55, v[136:139]
	;; [unrolled: 2-line block ×4, first 2 shown]
	s_waitcnt lgkmcnt(0)
	s_barrier
	buffer_gl0_inv
	ds_load_2addr_b64 v[17:20], v58 offset1:32
	ds_load_2addr_b64 v[21:24], v58 offset0:64 offset1:96
	ds_load_b128 v[25:28], v52 offset:96
	ds_load_2addr_b64 v[33:36], v58 offset0:128 offset1:160
	ds_load_2addr_b64 v[64:67], v58 offset0:192 offset1:224
	ds_load_2addr_b64 v[68:71], v61 offset1:32
	ds_load_2addr_b64 v[72:75], v61 offset0:64 offset1:96
	ds_load_2addr_b64 v[76:79], v61 offset0:128 offset1:160
	ds_load_2addr_b64 v[80:83], v61 offset0:192 offset1:224
	ds_load_2addr_b64 v[84:87], v62 offset1:32
	ds_load_2addr_b64 v[88:91], v62 offset0:64 offset1:96
	;; [unrolled: 4-line block ×3, first 2 shown]
	ds_load_2addr_b64 v[112:115], v63 offset0:128 offset1:160
	ds_load_2addr_b64 v[132:135], v63 offset0:192 offset1:224
	s_waitcnt lgkmcnt(0)
	s_barrier
	buffer_gl0_inv
	s_clause 0x3
	global_load_b128 v[136:139], v[164:165], off
	global_load_b128 v[140:143], v[164:165], off offset:512
	global_load_b128 v[144:147], v[166:167], off
	global_load_b128 v[148:151], v[166:167], off offset:512
	v_pk_fma_f16 v29, v108, v31, v29 op_sel:[0,1,0]
	v_pk_fma_f16 v30, v109, v31, v30 op_sel:[0,1,0]
	v_pk_fma_f16 v37, v110, v31, v37 op_sel:[0,1,0]
	v_pk_fma_f16 v31, v111, v31, v152 op_sel:[0,1,0]
	v_pk_fma_f16 v108, v116, v32, v153 op_sel_hi:[1,0,1]
	v_pk_fma_f16 v109, v117, v32, v154 op_sel_hi:[1,0,1]
	v_pk_fma_f16 v110, v118, v32, v155 op_sel_hi:[1,0,1]
	v_pk_fma_f16 v111, v119, v32, v156 op_sel_hi:[1,0,1]
	v_pk_fma_f16 v29, v120, v32, v29 op_sel_hi:[1,0,1]
	v_pk_fma_f16 v30, v121, v32, v30 op_sel_hi:[1,0,1]
	v_pk_fma_f16 v37, v122, v32, v37 op_sel_hi:[1,0,1]
	v_pk_fma_f16 v31, v123, v32, v31 op_sel_hi:[1,0,1]
	v_pk_fma_f16 v108, v124, v32, v108 op_sel:[0,1,0]
	v_pk_fma_f16 v109, v125, v32, v109 op_sel:[0,1,0]
	v_pk_fma_f16 v110, v126, v32, v110 op_sel:[0,1,0]
	v_pk_fma_f16 v111, v127, v32, v111 op_sel:[0,1,0]
	v_pk_fma_f16 v29, v128, v32, v29 op_sel:[0,1,0]
	v_pk_fma_f16 v30, v129, v32, v30 op_sel:[0,1,0]
	v_pk_fma_f16 v37, v130, v32, v37 op_sel:[0,1,0]
	v_pk_fma_f16 v31, v131, v32, v31 op_sel:[0,1,0]
	v_pk_fma_f16 v17, v17, v25, v108 op_sel_hi:[1,0,1]
	v_pk_fma_f16 v18, v18, v25, v109 op_sel_hi:[1,0,1]
	v_pk_fma_f16 v19, v19, v25, v110 op_sel_hi:[1,0,1]
	v_pk_fma_f16 v20, v20, v25, v111 op_sel_hi:[1,0,1]
	v_pk_fma_f16 v21, v21, v25, v29 op_sel_hi:[1,0,1]
	v_pk_fma_f16 v22, v22, v25, v30 op_sel_hi:[1,0,1]
	v_pk_fma_f16 v23, v23, v25, v37 op_sel_hi:[1,0,1]
	v_pk_fma_f16 v24, v24, v25, v31 op_sel_hi:[1,0,1]
	v_pk_fma_f16 v17, v33, v25, v17 op_sel:[0,1,0]
	v_pk_fma_f16 v18, v34, v25, v18 op_sel:[0,1,0]
	v_pk_fma_f16 v19, v35, v25, v19 op_sel:[0,1,0]
	v_pk_fma_f16 v20, v36, v25, v20 op_sel:[0,1,0]
	;; [unrolled: 16-line block ×5, first 2 shown]
	v_pk_fma_f16 v115, v132, v28, v21 op_sel:[0,1,0]
	v_pk_fma_f16 v116, v133, v28, v22 op_sel:[0,1,0]
	;; [unrolled: 1-line block ×4, first 2 shown]
	s_waitcnt vmcnt(3)
	ds_store_b128 v53, v[136:139]
	s_waitcnt vmcnt(2)
	ds_store_b128 v55, v[140:143]
	;; [unrolled: 2-line block ×4, first 2 shown]
	s_waitcnt lgkmcnt(0)
	s_barrier
	buffer_gl0_inv
	ds_load_2addr_b64 v[17:20], v58 offset1:32
	ds_load_2addr_b64 v[21:24], v58 offset0:64 offset1:96
	ds_load_b128 v[25:28], v52 offset:112
	ds_load_2addr_b64 v[29:32], v58 offset0:128 offset1:160
	ds_load_2addr_b64 v[33:36], v58 offset0:192 offset1:224
	ds_load_2addr_b64 v[64:67], v61 offset1:32
	ds_load_2addr_b64 v[68:71], v61 offset0:64 offset1:96
	ds_load_2addr_b64 v[72:75], v61 offset0:128 offset1:160
	ds_load_2addr_b64 v[76:79], v61 offset0:192 offset1:224
	ds_load_2addr_b64 v[80:83], v62 offset1:32
	ds_load_2addr_b64 v[84:87], v62 offset0:64 offset1:96
	;; [unrolled: 4-line block ×3, first 2 shown]
	ds_load_2addr_b64 v[104:107], v63 offset0:128 offset1:160
	ds_load_2addr_b64 v[108:111], v63 offset0:192 offset1:224
	s_waitcnt lgkmcnt(0)
	s_barrier
	buffer_gl0_inv
	s_load_b32 s2, s[8:9], 0x4
	v_pk_fma_f16 v17, v17, v25, v37 op_sel_hi:[1,0,1]
	v_pk_fma_f16 v18, v18, v25, v112 op_sel_hi:[1,0,1]
	v_pk_fma_f16 v19, v19, v25, v113 op_sel_hi:[1,0,1]
	v_pk_fma_f16 v20, v20, v25, v114 op_sel_hi:[1,0,1]
	v_pk_fma_f16 v21, v21, v25, v115 op_sel_hi:[1,0,1]
	v_pk_fma_f16 v22, v22, v25, v116 op_sel_hi:[1,0,1]
	v_pk_fma_f16 v23, v23, v25, v117 op_sel_hi:[1,0,1]
	v_pk_fma_f16 v24, v24, v25, v118 op_sel_hi:[1,0,1]
	v_pk_fma_f16 v17, v29, v25, v17 op_sel:[0,1,0]
	v_pk_fma_f16 v18, v30, v25, v18 op_sel:[0,1,0]
	v_pk_fma_f16 v19, v31, v25, v19 op_sel:[0,1,0]
	v_pk_fma_f16 v20, v32, v25, v20 op_sel:[0,1,0]
	v_pk_fma_f16 v21, v33, v25, v21 op_sel:[0,1,0]
	v_pk_fma_f16 v22, v34, v25, v22 op_sel:[0,1,0]
	v_pk_fma_f16 v23, v35, v25, v23 op_sel:[0,1,0]
	v_pk_fma_f16 v24, v36, v25, v24 op_sel:[0,1,0]
	v_pk_fma_f16 v17, v64, v26, v17 op_sel_hi:[1,0,1]
	v_pk_fma_f16 v18, v65, v26, v18 op_sel_hi:[1,0,1]
	v_pk_fma_f16 v19, v66, v26, v19 op_sel_hi:[1,0,1]
	v_pk_fma_f16 v20, v67, v26, v20 op_sel_hi:[1,0,1]
	v_pk_fma_f16 v21, v68, v26, v21 op_sel_hi:[1,0,1]
	v_pk_fma_f16 v22, v69, v26, v22 op_sel_hi:[1,0,1]
	v_pk_fma_f16 v23, v70, v26, v23 op_sel_hi:[1,0,1]
	v_pk_fma_f16 v24, v71, v26, v24 op_sel_hi:[1,0,1]
	v_pk_fma_f16 v17, v72, v26, v17 op_sel:[0,1,0]
	v_pk_fma_f16 v18, v73, v26, v18 op_sel:[0,1,0]
	v_pk_fma_f16 v19, v74, v26, v19 op_sel:[0,1,0]
	v_pk_fma_f16 v20, v75, v26, v20 op_sel:[0,1,0]
	v_pk_fma_f16 v21, v76, v26, v21 op_sel:[0,1,0]
	v_pk_fma_f16 v22, v77, v26, v22 op_sel:[0,1,0]
	v_pk_fma_f16 v23, v78, v26, v23 op_sel:[0,1,0]
	v_pk_fma_f16 v24, v79, v26, v24 op_sel:[0,1,0]
	;; [unrolled: 16-line block ×3, first 2 shown]
	v_pk_fma_f16 v17, v96, v28, v17 op_sel_hi:[1,0,1]
	v_pk_fma_f16 v18, v97, v28, v18 op_sel_hi:[1,0,1]
	;; [unrolled: 1-line block ×8, first 2 shown]
	s_waitcnt lgkmcnt(0)
	s_lshl_b32 s2, s2, 6
	v_pk_fma_f16 v69, v104, v28, v17 op_sel:[0,1,0]
	v_pk_fma_f16 v71, v105, v28, v18 op_sel:[0,1,0]
	v_pk_fma_f16 v68, v106, v28, v19 op_sel:[0,1,0]
	v_pk_fma_f16 v70, v107, v28, v20 op_sel:[0,1,0]
	v_pk_fma_f16 v66, v108, v28, v21 op_sel:[0,1,0]
	v_pk_fma_f16 v67, v109, v28, v22 op_sel:[0,1,0]
	v_pk_fma_f16 v65, v110, v28, v23 op_sel:[0,1,0]
	v_pk_fma_f16 v64, v111, v28, v24 op_sel:[0,1,0]
	s_add_i32 s16, s2, s16
	s_delay_alu instid0(SALU_CYCLE_1)
	s_cmp_lt_i32 s16, s34
	s_cbranch_scc1 .LBB23_9
; %bb.10:
	v_dual_mov_b32 v5, 32 :: v_dual_mov_b32 v6, v40
.LBB23_11:
	s_delay_alu instid0(VALU_DEP_1)
	v_cmp_lt_i32_e32 vcc_lo, v45, v5
	s_cmp_eq_u64 s[24:25], 0
	s_cselect_b32 s2, -1, 0
	s_cmp_lg_u32 s14, 0
	v_cndmask_b32_e32 v2, v6, v45, vcc_lo
	v_cmp_lt_i32_e32 vcc_lo, v44, v5
	s_cselect_b32 s3, -1, 0
	s_delay_alu instid0(SALU_CYCLE_1) | instskip(SKIP_2) | instid1(VALU_DEP_2)
	s_or_b32 s2, s3, s2
	v_cndmask_b32_e32 v3, v6, v44, vcc_lo
	v_cmp_lt_i32_e32 vcc_lo, v43, v5
	v_lshlrev_b32_e32 v3, 2, v3
	v_lshlrev_b32_e32 v2, 2, v2
	v_cndmask_b32_e32 v4, v6, v43, vcc_lo
	v_cmp_lt_i32_e32 vcc_lo, v42, v5
	ds_bpermute_b32 v2, v2, v16
	v_lshlrev_b32_e32 v4, 2, v4
	s_waitcnt lgkmcnt(0)
	v_add_f32_e32 v2, v16, v2
	ds_bpermute_b32 v3, v3, v2
	s_waitcnt lgkmcnt(0)
	v_add_f32_e32 v2, v2, v3
	ds_bpermute_b32 v3, v4, v2
	v_cndmask_b32_e32 v4, v6, v42, vcc_lo
	v_cmp_lt_i32_e32 vcc_lo, v41, v5
	s_delay_alu instid0(VALU_DEP_2)
	v_lshlrev_b32_e32 v4, 2, v4
	s_waitcnt lgkmcnt(0)
	v_add_f32_e32 v2, v2, v3
	ds_bpermute_b32 v3, v4, v2
	v_cndmask_b32_e32 v4, v6, v41, vcc_lo
	s_and_b32 vcc_lo, exec_lo, s2
	s_waitcnt lgkmcnt(0)
	s_delay_alu instid0(VALU_DEP_1)
	v_dual_add_f32 v3, v2, v3 :: v_dual_lshlrev_b32 v4, 2, v4
	v_add_nc_u32_e32 v2, s15, v39
	ds_bpermute_b32 v4, v4, v3
	s_waitcnt lgkmcnt(0)
	v_add_f32_e32 v16, v3, v4
	s_cbranch_vccnz .LBB23_13
; %bb.12:
	v_ashrrev_i32_e32 v3, 31, v2
	s_delay_alu instid0(VALU_DEP_1) | instskip(NEXT) | instid1(VALU_DEP_1)
	v_lshlrev_b64 v[3:4], 2, v[2:3]
	v_add_co_u32 v3, vcc_lo, s24, v3
	s_delay_alu instid0(VALU_DEP_2) | instskip(SKIP_4) | instid1(VALU_DEP_1)
	v_add_co_ci_u32_e32 v4, vcc_lo, s25, v4, vcc_lo
	global_load_b32 v3, v[3:4], off
	v_max_f32_e32 v4, v15, v15
	s_waitcnt vmcnt(0)
	v_max_f32_e32 v5, v3, v3
	v_max_f32_e32 v4, v4, v5
	s_delay_alu instid0(VALU_DEP_1) | instskip(NEXT) | instid1(VALU_DEP_1)
	v_sub_f32_e32 v3, v3, v4
	v_mul_f32_e32 v7, 0x3fb8aa3b, v3
	s_delay_alu instid0(VALU_DEP_1) | instskip(SKIP_2) | instid1(VALU_DEP_3)
	v_fma_f32 v10, 0x3fb8aa3b, v3, -v7
	v_sub_f32_e32 v5, v15, v4
	v_rndne_f32_e32 v11, v7
	v_dual_mov_b32 v15, v4 :: v_dual_fmac_f32 v10, 0x32a5705f, v3
	s_delay_alu instid0(VALU_DEP_2) | instskip(SKIP_1) | instid1(VALU_DEP_2)
	v_dual_mul_f32 v6, 0x3fb8aa3b, v5 :: v_dual_sub_f32 v7, v7, v11
	v_cmp_ngt_f32_e32 vcc_lo, 0xc2ce8ed0, v5
	v_fma_f32 v8, 0x3fb8aa3b, v5, -v6
	v_rndne_f32_e32 v9, v6
	s_delay_alu instid0(VALU_DEP_2) | instskip(NEXT) | instid1(VALU_DEP_2)
	v_dual_add_f32 v7, v7, v10 :: v_dual_fmac_f32 v8, 0x32a5705f, v5
	v_sub_f32_e32 v6, v6, v9
	s_delay_alu instid0(VALU_DEP_2) | instskip(NEXT) | instid1(VALU_DEP_1)
	v_exp_f32_e32 v7, v7
	v_add_f32_e32 v6, v6, v8
	v_cvt_i32_f32_e32 v8, v9
	v_cvt_i32_f32_e32 v9, v11
	s_delay_alu instid0(VALU_DEP_3) | instskip(SKIP_3) | instid1(VALU_DEP_1)
	v_exp_f32_e32 v6, v6
	s_waitcnt_depctr 0xfff
	v_ldexp_f32 v7, v7, v9
	v_ldexp_f32 v6, v6, v8
	v_cndmask_b32_e32 v6, 0, v6, vcc_lo
	v_cmp_ngt_f32_e32 vcc_lo, 0xc2ce8ed0, v3
	s_delay_alu instid0(VALU_DEP_4) | instskip(SKIP_1) | instid1(VALU_DEP_4)
	v_cndmask_b32_e32 v7, 0, v7, vcc_lo
	v_cmp_nlt_f32_e32 vcc_lo, 0x42b17218, v5
	v_cndmask_b32_e32 v5, 0x7f800000, v6, vcc_lo
	v_cmp_nlt_f32_e32 vcc_lo, 0x42b17218, v3
	s_delay_alu instid0(VALU_DEP_2) | instskip(SKIP_1) | instid1(VALU_DEP_2)
	v_cvt_f16_f32_e32 v6, v5
	v_cndmask_b32_e32 v3, 0x7f800000, v7, vcc_lo
	v_pk_mul_f16 v69, v6, v69 op_sel_hi:[0,1]
	s_delay_alu instid0(VALU_DEP_2)
	v_fmac_f32_e32 v3, v16, v5
	v_pk_mul_f16 v71, v6, v71 op_sel_hi:[0,1]
	v_pk_mul_f16 v68, v6, v68 op_sel_hi:[0,1]
	;; [unrolled: 1-line block ×7, first 2 shown]
	v_mov_b32_e32 v16, v3
.LBB23_13:
	s_delay_alu instid0(VALU_DEP_1) | instskip(SKIP_2) | instid1(VALU_DEP_2)
	v_div_scale_f32 v6, null, v16, v16, 1.0
	s_load_b32 s0, s[0:1], 0xd4
	v_mad_u64_u32 v[3:4], null, s33, s10, v[1:2]
	v_rcp_f32_e32 v7, v6
	v_div_scale_f32 v8, vcc_lo, 1.0, v16, 1.0
	v_cvt_f32_f16_e32 v10, v71
	v_cvt_f32_f16_e32 v12, v69
	v_lshrrev_b32_e32 v11, 16, v69
	v_mad_u64_u32 v[4:5], null, v3, s11, v[2:3]
	v_lshrrev_b32_e32 v3, 16, v70
	v_lshrrev_b32_e32 v14, 16, v68
	s_delay_alu instid0(TRANS32_DEP_1)
	v_fma_f32 v1, -v6, v7, 1.0
	v_cvt_f32_f16_e32 v13, v70
	v_lshrrev_b32_e32 v20, 16, v67
	v_cvt_f32_f16_e32 v26, v3
	v_cvt_f32_f16_e32 v11, v11
	v_dual_fmac_f32 v7, v1, v7 :: v_dual_mov_b32 v18, 0
	s_waitcnt lgkmcnt(0)
	v_mad_u64_u32 v[1:2], null, s0, v4, s[14:15]
	s_cmp_lg_u32 s0, 1
	v_lshrrev_b32_e32 v25, 16, v66
	s_cselect_b32 s1, -1, 0
	v_cvt_f32_f16_e32 v14, v14
	v_cvt_f32_f16_e32 v19, v68
	;; [unrolled: 1-line block ×3, first 2 shown]
	v_lshl_add_u32 v17, v1, 9, v38
	v_mul_f32_e32 v5, v8, v7
	v_lshrrev_b32_e32 v9, 16, v71
	v_lshrrev_b32_e32 v27, 16, v65
	v_cvt_f32_f16_e32 v31, v65
	s_delay_alu instid0(VALU_DEP_4) | instskip(NEXT) | instid1(VALU_DEP_4)
	v_fma_f32 v2, -v6, v5, v8
	v_cvt_f32_f16_e32 v9, v9
	s_delay_alu instid0(VALU_DEP_4) | instskip(NEXT) | instid1(VALU_DEP_3)
	v_cvt_f32_f16_e32 v30, v27
	v_dual_fmac_f32 v5, v2, v7 :: v_dual_add_nc_u32 v2, 0x80, v17
	s_delay_alu instid0(VALU_DEP_1) | instskip(NEXT) | instid1(VALU_DEP_1)
	v_fma_f32 v4, -v6, v5, v8
	v_div_fmas_f32 v6, v4, v7, v5
	v_lshlrev_b64 v[4:5], 2, v[17:18]
	s_delay_alu instid0(VALU_DEP_2) | instskip(NEXT) | instid1(VALU_DEP_2)
	v_div_fixup_f32 v6, v6, v16, 1.0
	v_add_co_u32 v21, vcc_lo, s28, v4
	s_delay_alu instid0(VALU_DEP_3) | instskip(NEXT) | instid1(VALU_DEP_3)
	v_add_co_ci_u32_e32 v22, vcc_lo, s29, v5, vcc_lo
	v_cndmask_b32_e64 v29, v6, 1.0, s1
	s_delay_alu instid0(VALU_DEP_1) | instskip(NEXT) | instid1(VALU_DEP_1)
	v_dual_mov_b32 v3, v18 :: v_dual_mul_f32 v4, v29, v10
	v_lshlrev_b64 v[2:3], 2, v[2:3]
	v_mul_f32_e32 v8, v29, v13
	v_dual_mul_f32 v7, v29, v14 :: v_dual_add_nc_u32 v10, 0x100, v17
	v_cvt_f32_f16_e32 v14, v25
	v_dual_mul_f32 v6, v29, v19 :: v_dual_add_nc_u32 v17, 0x180, v17
	v_add_co_u32 v23, vcc_lo, s28, v2
	v_add_co_ci_u32_e32 v24, vcc_lo, s29, v3, vcc_lo
	v_mul_f32_e32 v3, v29, v11
	v_mov_b32_e32 v11, v18
	v_mul_f32_e32 v13, v29, v20
	v_cvt_f32_f16_e32 v25, v66
	v_lshlrev_b64 v[27:28], 2, v[17:18]
	v_mul_f32_e32 v2, v29, v12
	v_lshlrev_b64 v[19:20], 2, v[10:11]
	v_mul_f32_e32 v11, v29, v14
	v_lshrrev_b32_e32 v14, 16, v64
	v_cvt_f32_f16_e32 v12, v67
	v_mul_f32_e32 v10, v29, v25
	v_mul_f32_e32 v5, v29, v9
	v_add_co_u32 v25, vcc_lo, s28, v19
	v_cvt_f32_f16_e32 v14, v14
	v_cvt_f32_f16_e32 v19, v64
	v_mul_f32_e32 v9, v29, v26
	v_add_co_ci_u32_e32 v26, vcc_lo, s29, v20, vcc_lo
	v_cmp_eq_u32_e32 vcc_lo, 0, v0
	v_add_co_u32 v27, s0, s28, v27
	v_mul_f32_e32 v12, v29, v12
	v_mul_f32_e32 v20, v29, v14
	;; [unrolled: 1-line block ×5, first 2 shown]
	v_add_co_ci_u32_e64 v28, s0, s29, v28, s0
	s_and_b32 s0, vcc_lo, s1
	s_clause 0x3
	global_store_b128 v[21:22], v[2:5], off
	global_store_b128 v[23:24], v[6:9], off
	;; [unrolled: 1-line block ×4, first 2 shown]
	s_and_saveexec_b32 s1, s0
	s_cbranch_execz .LBB23_15
; %bb.14:
	v_ashrrev_i32_e32 v2, 31, v1
	s_delay_alu instid0(VALU_DEP_1) | instskip(NEXT) | instid1(VALU_DEP_1)
	v_lshlrev_b64 v[0:1], 3, v[1:2]
	v_add_co_u32 v0, vcc_lo, s30, v0
	s_delay_alu instid0(VALU_DEP_2)
	v_add_co_ci_u32_e32 v1, vcc_lo, s31, v1, vcc_lo
	global_store_b64 v[0:1], v[15:16], off
.LBB23_15:
	s_nop 0
	s_sendmsg sendmsg(MSG_DEALLOC_VGPRS)
	s_endpgm
	.section	.rodata,"a",@progbits
	.p2align	6, 0x0
	.amdhsa_kernel _ZL15flash_attn_tileILi512ELi512ELi1ELi4ELb0EEvPKcS1_S1_S1_S1_PKiPfP15HIP_vector_typeIfLj2EEffffjfiS5_IjLj3EEiiiiiiiiiiiliiliiiiil
		.amdhsa_group_segment_fixed_size 13824
		.amdhsa_private_segment_fixed_size 0
		.amdhsa_kernarg_size 464
		.amdhsa_user_sgpr_count 13
		.amdhsa_user_sgpr_dispatch_ptr 0
		.amdhsa_user_sgpr_queue_ptr 0
		.amdhsa_user_sgpr_kernarg_segment_ptr 1
		.amdhsa_user_sgpr_dispatch_id 0
		.amdhsa_user_sgpr_private_segment_size 0
		.amdhsa_wavefront_size32 1
		.amdhsa_uses_dynamic_stack 0
		.amdhsa_enable_private_segment 0
		.amdhsa_system_sgpr_workgroup_id_x 1
		.amdhsa_system_sgpr_workgroup_id_y 1
		.amdhsa_system_sgpr_workgroup_id_z 1
		.amdhsa_system_sgpr_workgroup_info 0
		.amdhsa_system_vgpr_workitem_id 1
		.amdhsa_next_free_vgpr 172
		.amdhsa_next_free_sgpr 41
		.amdhsa_reserve_vcc 1
		.amdhsa_float_round_mode_32 0
		.amdhsa_float_round_mode_16_64 0
		.amdhsa_float_denorm_mode_32 3
		.amdhsa_float_denorm_mode_16_64 3
		.amdhsa_dx10_clamp 1
		.amdhsa_ieee_mode 1
		.amdhsa_fp16_overflow 0
		.amdhsa_workgroup_processor_mode 1
		.amdhsa_memory_ordered 1
		.amdhsa_forward_progress 0
		.amdhsa_shared_vgpr_count 0
		.amdhsa_exception_fp_ieee_invalid_op 0
		.amdhsa_exception_fp_denorm_src 0
		.amdhsa_exception_fp_ieee_div_zero 0
		.amdhsa_exception_fp_ieee_overflow 0
		.amdhsa_exception_fp_ieee_underflow 0
		.amdhsa_exception_fp_ieee_inexact 0
		.amdhsa_exception_int_div_zero 0
	.end_amdhsa_kernel
	.section	.text._ZL15flash_attn_tileILi512ELi512ELi1ELi4ELb0EEvPKcS1_S1_S1_S1_PKiPfP15HIP_vector_typeIfLj2EEffffjfiS5_IjLj3EEiiiiiiiiiiiliiliiiiil,"axG",@progbits,_ZL15flash_attn_tileILi512ELi512ELi1ELi4ELb0EEvPKcS1_S1_S1_S1_PKiPfP15HIP_vector_typeIfLj2EEffffjfiS5_IjLj3EEiiiiiiiiiiiliiliiiiil,comdat
.Lfunc_end23:
	.size	_ZL15flash_attn_tileILi512ELi512ELi1ELi4ELb0EEvPKcS1_S1_S1_S1_PKiPfP15HIP_vector_typeIfLj2EEffffjfiS5_IjLj3EEiiiiiiiiiiiliiliiiiil, .Lfunc_end23-_ZL15flash_attn_tileILi512ELi512ELi1ELi4ELb0EEvPKcS1_S1_S1_S1_PKiPfP15HIP_vector_typeIfLj2EEffffjfiS5_IjLj3EEiiiiiiiiiiiliiliiiiil
                                        ; -- End function
	.section	.AMDGPU.csdata,"",@progbits
; Kernel info:
; codeLenInByte = 23868
; NumSgprs: 43
; NumVgprs: 172
; ScratchSize: 0
; MemoryBound: 0
; FloatMode: 240
; IeeeMode: 1
; LDSByteSize: 13824 bytes/workgroup (compile time only)
; SGPRBlocks: 5
; VGPRBlocks: 21
; NumSGPRsForWavesPerEU: 43
; NumVGPRsForWavesPerEU: 172
; Occupancy: 8
; WaveLimiterHint : 1
; COMPUTE_PGM_RSRC2:SCRATCH_EN: 0
; COMPUTE_PGM_RSRC2:USER_SGPR: 13
; COMPUTE_PGM_RSRC2:TRAP_HANDLER: 0
; COMPUTE_PGM_RSRC2:TGID_X_EN: 1
; COMPUTE_PGM_RSRC2:TGID_Y_EN: 1
; COMPUTE_PGM_RSRC2:TGID_Z_EN: 1
; COMPUTE_PGM_RSRC2:TIDIG_COMP_CNT: 1
	.section	.text._ZL33flash_attn_stream_k_fixup_uniformILi512ELi1ELi4EEvPfPK15HIP_vector_typeIfLj2EEiiiiiiS1_IjLj3EES5_S5_,"axG",@progbits,_ZL33flash_attn_stream_k_fixup_uniformILi512ELi1ELi4EEvPfPK15HIP_vector_typeIfLj2EEiiiiiiS1_IjLj3EES5_S5_,comdat
	.globl	_ZL33flash_attn_stream_k_fixup_uniformILi512ELi1ELi4EEvPfPK15HIP_vector_typeIfLj2EEiiiiiiS1_IjLj3EES5_S5_ ; -- Begin function _ZL33flash_attn_stream_k_fixup_uniformILi512ELi1ELi4EEvPfPK15HIP_vector_typeIfLj2EEiiiiiiS1_IjLj3EES5_S5_
	.p2align	8
	.type	_ZL33flash_attn_stream_k_fixup_uniformILi512ELi1ELi4EEvPfPK15HIP_vector_typeIfLj2EEiiiiiiS1_IjLj3EES5_S5_,@function
_ZL33flash_attn_stream_k_fixup_uniformILi512ELi1ELi4EEvPfPK15HIP_vector_typeIfLj2EEiiiiiiS1_IjLj3EES5_S5_: ; @_ZL33flash_attn_stream_k_fixup_uniformILi512ELi1ELi4EEvPfPK15HIP_vector_typeIfLj2EEiiiiiiS1_IjLj3EES5_S5_
; %bb.0:
	s_clause 0x1
	s_load_b256 s[4:11], s[0:1], 0x1c
	s_load_b128 s[16:19], s[0:1], 0x3c
	s_waitcnt lgkmcnt(0)
	s_mul_hi_u32 s2, s7, s13
	s_delay_alu instid0(SALU_CYCLE_1) | instskip(NEXT) | instid1(SALU_CYCLE_1)
	s_add_i32 s2, s13, s2
	s_lshr_b32 s7, s2, s8
	s_delay_alu instid0(SALU_CYCLE_1) | instskip(SKIP_2) | instid1(SALU_CYCLE_1)
	s_mul_i32 s2, s7, s9
	s_load_b64 s[8:9], s[0:1], 0x10
	s_sub_i32 s2, s13, s2
	s_mul_hi_u32 s3, s2, s10
	s_delay_alu instid0(SALU_CYCLE_1) | instskip(NEXT) | instid1(SALU_CYCLE_1)
	s_add_i32 s3, s2, s3
	s_lshr_b32 s10, s3, s11
	s_delay_alu instid0(SALU_CYCLE_1) | instskip(NEXT) | instid1(SALU_CYCLE_1)
	s_mul_i32 s3, s10, s16
	s_sub_i32 s2, s2, s3
	s_delay_alu instid0(SALU_CYCLE_1) | instskip(NEXT) | instid1(SALU_CYCLE_1)
	s_mul_hi_u32 s3, s2, s17
	s_add_i32 s3, s2, s3
	s_delay_alu instid0(SALU_CYCLE_1) | instskip(NEXT) | instid1(SALU_CYCLE_1)
	s_lshr_b32 s3, s3, s18
	s_mul_i32 s11, s3, s19
	s_lshl_b32 s12, s3, 2
	s_sub_i32 s11, s2, s11
	s_delay_alu instid0(SALU_CYCLE_1) | instskip(SKIP_4) | instid1(SALU_CYCLE_1)
	s_add_i32 s11, s11, s14
	s_waitcnt lgkmcnt(0)
	s_cmp_lt_i32 s11, s8
	s_cselect_b32 s2, -1, 0
	s_add_i32 s12, s12, s15
	s_cmp_lt_i32 s12, s5
	s_cselect_b32 s3, -1, 0
	s_delay_alu instid0(SALU_CYCLE_1) | instskip(NEXT) | instid1(SALU_CYCLE_1)
	s_and_b32 s2, s2, s3
	s_and_not1_b32 vcc_lo, exec_lo, s2
	s_cbranch_vccnz .LBB24_6
; %bb.1:
	s_mul_i32 s7, s7, s8
	s_mul_i32 s10, s10, s5
	s_add_i32 s5, s11, s7
	s_load_b128 s[0:3], s[0:1], 0x0
	s_add_i32 s7, s12, s10
	s_mul_i32 s5, s5, s9
	s_delay_alu instid0(SALU_CYCLE_1) | instskip(SKIP_3) | instid1(VALU_DEP_1)
	s_add_i32 s7, s7, s5
	s_mul_i32 s5, s13, s6
	v_lshl_or_b32 v1, s7, 9, v0
	s_add_i32 s9, s5, s6
	v_ashrrev_i32_e32 v2, 31, v1
	s_delay_alu instid0(VALU_DEP_1) | instskip(SKIP_1) | instid1(VALU_DEP_1)
	v_lshlrev_b64 v[1:2], 2, v[1:2]
	s_waitcnt lgkmcnt(0)
	v_add_co_u32 v1, vcc_lo, s0, v1
	s_delay_alu instid0(VALU_DEP_2) | instskip(SKIP_1) | instid1(SALU_CYCLE_1)
	v_add_co_ci_u32_e32 v2, vcc_lo, s1, v2, vcc_lo
	s_add_i32 s0, s14, s9
	s_lshl_b32 s0, s0, 2
	global_load_b32 v5, v[1:2], off
	s_add_i32 s0, s0, s15
	s_delay_alu instid0(SALU_CYCLE_1) | instskip(NEXT) | instid1(SALU_CYCLE_1)
	s_add_i32 s0, s0, -4
	s_ashr_i32 s1, s0, 31
	s_delay_alu instid0(SALU_CYCLE_1) | instskip(NEXT) | instid1(SALU_CYCLE_1)
	s_lshl_b64 s[0:1], s[0:1], 3
	s_add_u32 s0, s2, s0
	s_addc_u32 s1, s3, s1
	s_add_i32 s7, s9, -2
	s_load_b32 s10, s[0:1], 0x4
	s_cmp_lt_i32 s7, s5
	s_cbranch_scc1 .LBB24_4
; %bb.2:
	s_lshl_b32 s16, s4, 4
	s_load_b32 s11, s[0:1], 0x0
	s_ashr_i32 s17, s16, 31
	s_delay_alu instid0(SALU_CYCLE_1) | instskip(NEXT) | instid1(SALU_CYCLE_1)
	s_lshl_b64 s[0:1], s[16:17], 2
	s_add_u32 s7, s2, s0
	s_addc_u32 s8, s3, s1
	s_add_i32 s13, s13, 1
	s_lshl_b32 s0, s15, 9
	s_lshl_b32 s1, s14, 11
	s_mul_i32 s6, s6, s13
	s_add_i32 s0, s0, s1
	s_lshl_b32 s1, s6, 11
	s_delay_alu instid0(SALU_CYCLE_1)
	s_add_i32 s0, s0, s1
	s_add_i32 s1, s14, s4
	v_or_b32_e32 v0, s0, v0
	s_add_i32 s1, s1, s9
	s_waitcnt lgkmcnt(0)
	v_mov_b32_e32 v6, s10
	s_lshl_b32 s0, s1, 2
	s_add_i32 s4, s9, -1
	v_dual_mov_b32 v0, s11 :: v_dual_add_nc_u32 v3, 0xfffff000, v0
	s_add_i32 s0, s15, s0
	s_delay_alu instid0(SALU_CYCLE_1)
	s_add_i32 s0, s0, -8
.LBB24_3:                               ; =>This Inner Loop Header: Depth=1
	s_delay_alu instid0(VALU_DEP_1) | instskip(SKIP_1) | instid1(SALU_CYCLE_1)
	v_ashrrev_i32_e32 v4, 31, v3
	s_ashr_i32 s1, s0, 31
	s_lshl_b64 s[10:11], s[0:1], 3
	s_delay_alu instid0(SALU_CYCLE_1) | instskip(NEXT) | instid1(VALU_DEP_1)
	s_add_u32 s10, s2, s10
	v_lshlrev_b64 v[7:8], 2, v[3:4]
	s_addc_u32 s11, s3, s11
	s_add_i32 s4, s4, -1
	s_add_i32 s0, s0, -4
	s_cmp_le_i32 s4, s5
	s_load_b64 s[10:11], s[10:11], 0x0
	v_add_co_u32 v7, vcc_lo, s7, v7
	v_add_co_ci_u32_e32 v8, vcc_lo, s8, v8, vcc_lo
	global_load_b32 v4, v[7:8], off
	v_max_f32_e32 v7, v0, v0
	s_waitcnt lgkmcnt(0)
	v_max_f32_e64 v8, s10, s10
	s_delay_alu instid0(VALU_DEP_1) | instskip(NEXT) | instid1(VALU_DEP_1)
	v_max_f32_e32 v7, v7, v8
	v_sub_f32_e32 v8, s10, v7
	s_delay_alu instid0(VALU_DEP_1) | instskip(NEXT) | instid1(VALU_DEP_1)
	v_dual_sub_f32 v0, v0, v7 :: v_dual_mul_f32 v9, 0x3fb8aa3b, v8
	v_fma_f32 v10, 0x3fb8aa3b, v8, -v9
	v_rndne_f32_e32 v11, v9
	s_delay_alu instid0(VALU_DEP_3) | instskip(NEXT) | instid1(VALU_DEP_2)
	v_mul_f32_e32 v12, 0x3fb8aa3b, v0
	v_dual_fmac_f32 v10, 0x32a5705f, v8 :: v_dual_sub_f32 v9, v9, v11
	v_cvt_i32_f32_e32 v11, v11
	s_delay_alu instid0(VALU_DEP_3) | instskip(SKIP_1) | instid1(VALU_DEP_4)
	v_fma_f32 v13, 0x3fb8aa3b, v0, -v12
	v_rndne_f32_e32 v14, v12
	v_add_f32_e32 v9, v9, v10
	v_cmp_ngt_f32_e32 vcc_lo, 0xc2ce8ed0, v8
	s_delay_alu instid0(VALU_DEP_3) | instskip(NEXT) | instid1(VALU_DEP_3)
	v_sub_f32_e32 v10, v12, v14
	v_exp_f32_e32 v9, v9
	s_waitcnt_depctr 0xfff
	v_ldexp_f32 v9, v9, v11
	v_cvt_i32_f32_e32 v11, v14
	s_delay_alu instid0(VALU_DEP_2) | instskip(SKIP_1) | instid1(VALU_DEP_2)
	v_cndmask_b32_e32 v9, 0, v9, vcc_lo
	v_cmp_nlt_f32_e32 vcc_lo, 0x42b17218, v8
	v_cndmask_b32_e32 v9, 0x7f800000, v9, vcc_lo
	v_cmp_ngt_f32_e32 vcc_lo, 0xc2ce8ed0, v0
	v_fmac_f32_e32 v13, 0x32a5705f, v0
	s_delay_alu instid0(VALU_DEP_1) | instskip(NEXT) | instid1(VALU_DEP_1)
	v_add_f32_e32 v10, v10, v13
	v_exp_f32_e32 v10, v10
	s_waitcnt_depctr 0xfff
	v_ldexp_f32 v10, v10, v11
	s_delay_alu instid0(VALU_DEP_1)
	v_dual_mov_b32 v11, v6 :: v_dual_cndmask_b32 v10, 0, v10
	v_cmp_le_f32_e32 vcc_lo, 0xc1a00000, v8
	s_waitcnt vmcnt(1)
	v_dual_cndmask_b32 v8, 0, v9 :: v_dual_mov_b32 v9, v5
	v_cmp_nlt_f32_e32 vcc_lo, 0x42b17218, v0
	v_cndmask_b32_e32 v5, 0x7f800000, v10, vcc_lo
	s_delay_alu instid0(VALU_DEP_3) | instskip(SKIP_2) | instid1(VALU_DEP_3)
	v_mul_f32_e32 v10, s11, v8
	v_cmp_le_f32_e32 vcc_lo, 0xc1a00000, v0
	v_mov_b32_e32 v0, v7
	v_mov_b32_e32 v6, v10
	s_waitcnt vmcnt(0)
	v_dual_cndmask_b32 v12, 0, v5 :: v_dual_mul_f32 v5, v4, v8
	s_delay_alu instid0(VALU_DEP_1) | instskip(NEXT) | instid1(VALU_DEP_2)
	v_dual_fmac_f32 v6, v11, v12 :: v_dual_add_nc_u32 v3, 0xfffff800, v3
	v_fmac_f32_e32 v5, v9, v12
	s_cbranch_scc0 .LBB24_3
	s_branch .LBB24_5
.LBB24_4:
	s_waitcnt lgkmcnt(0)
	v_mov_b32_e32 v6, s10
.LBB24_5:
	s_waitcnt vmcnt(0)
	s_delay_alu instid0(VALU_DEP_1) | instskip(NEXT) | instid1(VALU_DEP_1)
	v_div_scale_f32 v0, null, v6, v6, v5
	v_rcp_f32_e32 v3, v0
	s_waitcnt_depctr 0xfff
	v_fma_f32 v4, -v0, v3, 1.0
	s_delay_alu instid0(VALU_DEP_1) | instskip(SKIP_1) | instid1(VALU_DEP_1)
	v_fmac_f32_e32 v3, v4, v3
	v_div_scale_f32 v4, vcc_lo, v5, v6, v5
	v_mul_f32_e32 v7, v4, v3
	s_delay_alu instid0(VALU_DEP_1) | instskip(NEXT) | instid1(VALU_DEP_1)
	v_fma_f32 v8, -v0, v7, v4
	v_fmac_f32_e32 v7, v8, v3
	s_delay_alu instid0(VALU_DEP_1) | instskip(NEXT) | instid1(VALU_DEP_1)
	v_fma_f32 v0, -v0, v7, v4
	v_div_fmas_f32 v0, v0, v3, v7
	s_delay_alu instid0(VALU_DEP_1)
	v_div_fixup_f32 v0, v0, v6, v5
	global_store_b32 v[1:2], v0, off
.LBB24_6:
	s_nop 0
	s_sendmsg sendmsg(MSG_DEALLOC_VGPRS)
	s_endpgm
	.section	.rodata,"a",@progbits
	.p2align	6, 0x0
	.amdhsa_kernel _ZL33flash_attn_stream_k_fixup_uniformILi512ELi1ELi4EEvPfPK15HIP_vector_typeIfLj2EEiiiiiiS1_IjLj3EES5_S5_
		.amdhsa_group_segment_fixed_size 0
		.amdhsa_private_segment_fixed_size 0
		.amdhsa_kernarg_size 76
		.amdhsa_user_sgpr_count 13
		.amdhsa_user_sgpr_dispatch_ptr 0
		.amdhsa_user_sgpr_queue_ptr 0
		.amdhsa_user_sgpr_kernarg_segment_ptr 1
		.amdhsa_user_sgpr_dispatch_id 0
		.amdhsa_user_sgpr_private_segment_size 0
		.amdhsa_wavefront_size32 1
		.amdhsa_uses_dynamic_stack 0
		.amdhsa_enable_private_segment 0
		.amdhsa_system_sgpr_workgroup_id_x 1
		.amdhsa_system_sgpr_workgroup_id_y 1
		.amdhsa_system_sgpr_workgroup_id_z 1
		.amdhsa_system_sgpr_workgroup_info 0
		.amdhsa_system_vgpr_workitem_id 0
		.amdhsa_next_free_vgpr 15
		.amdhsa_next_free_sgpr 20
		.amdhsa_reserve_vcc 1
		.amdhsa_float_round_mode_32 0
		.amdhsa_float_round_mode_16_64 0
		.amdhsa_float_denorm_mode_32 3
		.amdhsa_float_denorm_mode_16_64 3
		.amdhsa_dx10_clamp 1
		.amdhsa_ieee_mode 1
		.amdhsa_fp16_overflow 0
		.amdhsa_workgroup_processor_mode 1
		.amdhsa_memory_ordered 1
		.amdhsa_forward_progress 0
		.amdhsa_shared_vgpr_count 0
		.amdhsa_exception_fp_ieee_invalid_op 0
		.amdhsa_exception_fp_denorm_src 0
		.amdhsa_exception_fp_ieee_div_zero 0
		.amdhsa_exception_fp_ieee_overflow 0
		.amdhsa_exception_fp_ieee_underflow 0
		.amdhsa_exception_fp_ieee_inexact 0
		.amdhsa_exception_int_div_zero 0
	.end_amdhsa_kernel
	.section	.text._ZL33flash_attn_stream_k_fixup_uniformILi512ELi1ELi4EEvPfPK15HIP_vector_typeIfLj2EEiiiiiiS1_IjLj3EES5_S5_,"axG",@progbits,_ZL33flash_attn_stream_k_fixup_uniformILi512ELi1ELi4EEvPfPK15HIP_vector_typeIfLj2EEiiiiiiS1_IjLj3EES5_S5_,comdat
.Lfunc_end24:
	.size	_ZL33flash_attn_stream_k_fixup_uniformILi512ELi1ELi4EEvPfPK15HIP_vector_typeIfLj2EEiiiiiiS1_IjLj3EES5_S5_, .Lfunc_end24-_ZL33flash_attn_stream_k_fixup_uniformILi512ELi1ELi4EEvPfPK15HIP_vector_typeIfLj2EEiiiiiiS1_IjLj3EES5_S5_
                                        ; -- End function
	.section	.AMDGPU.csdata,"",@progbits
; Kernel info:
; codeLenInByte = 968
; NumSgprs: 22
; NumVgprs: 15
; ScratchSize: 0
; MemoryBound: 0
; FloatMode: 240
; IeeeMode: 1
; LDSByteSize: 0 bytes/workgroup (compile time only)
; SGPRBlocks: 2
; VGPRBlocks: 1
; NumSGPRsForWavesPerEU: 22
; NumVGPRsForWavesPerEU: 15
; Occupancy: 16
; WaveLimiterHint : 0
; COMPUTE_PGM_RSRC2:SCRATCH_EN: 0
; COMPUTE_PGM_RSRC2:USER_SGPR: 13
; COMPUTE_PGM_RSRC2:TRAP_HANDLER: 0
; COMPUTE_PGM_RSRC2:TGID_X_EN: 1
; COMPUTE_PGM_RSRC2:TGID_Y_EN: 1
; COMPUTE_PGM_RSRC2:TGID_Z_EN: 1
; COMPUTE_PGM_RSRC2:TIDIG_COMP_CNT: 0
	.section	.text._ZL33flash_attn_stream_k_fixup_generalILi512ELi1ELi4EEvPfPK15HIP_vector_typeIfLj2EEiiiiS1_IjLj3EES5_S5_S5_,"axG",@progbits,_ZL33flash_attn_stream_k_fixup_generalILi512ELi1ELi4EEvPfPK15HIP_vector_typeIfLj2EEiiiiS1_IjLj3EES5_S5_S5_,comdat
	.globl	_ZL33flash_attn_stream_k_fixup_generalILi512ELi1ELi4EEvPfPK15HIP_vector_typeIfLj2EEiiiiS1_IjLj3EES5_S5_S5_ ; -- Begin function _ZL33flash_attn_stream_k_fixup_generalILi512ELi1ELi4EEvPfPK15HIP_vector_typeIfLj2EEiiiiS1_IjLj3EES5_S5_S5_
	.p2align	8
	.type	_ZL33flash_attn_stream_k_fixup_generalILi512ELi1ELi4EEvPfPK15HIP_vector_typeIfLj2EEiiiiS1_IjLj3EES5_S5_S5_,@function
_ZL33flash_attn_stream_k_fixup_generalILi512ELi1ELi4EEvPfPK15HIP_vector_typeIfLj2EEiiiiS1_IjLj3EES5_S5_S5_: ; @_ZL33flash_attn_stream_k_fixup_generalILi512ELi1ELi4EEvPfPK15HIP_vector_typeIfLj2EEiiiiS1_IjLj3EES5_S5_S5_
; %bb.0:
	s_clause 0x1
	s_load_b128 s[4:7], s[0:1], 0x10
	s_load_b32 s20, s[0:1], 0x50
	s_mov_b32 s2, 0
	s_waitcnt lgkmcnt(0)
	s_mul_hi_i32 s3, s7, s13
	s_mul_i32 s12, s7, s13
	s_cmp_lg_u64 s[2:3], 0
	s_cbranch_scc0 .LBB25_21
; %bb.1:
	v_cvt_f32_ubyte0_e32 v1, 0
	v_cvt_f32_u32_e32 v2, s20
	s_sub_u32 s10, 0, s20
	s_subb_u32 s11, 0, 0
	s_delay_alu instid0(VALU_DEP_1) | instskip(NEXT) | instid1(VALU_DEP_1)
	v_fmamk_f32 v1, v1, 0x4f800000, v2
	v_rcp_f32_e32 v1, v1
	s_waitcnt_depctr 0xfff
	v_mul_f32_e32 v1, 0x5f7ffffc, v1
	s_delay_alu instid0(VALU_DEP_1) | instskip(NEXT) | instid1(VALU_DEP_1)
	v_mul_f32_e32 v2, 0x2f800000, v1
	v_trunc_f32_e32 v2, v2
	s_delay_alu instid0(VALU_DEP_1) | instskip(SKIP_1) | instid1(VALU_DEP_2)
	v_fmamk_f32 v1, v2, 0xcf800000, v1
	v_cvt_u32_f32_e32 v2, v2
	v_cvt_u32_f32_e32 v1, v1
	s_delay_alu instid0(VALU_DEP_2) | instskip(NEXT) | instid1(VALU_DEP_2)
	v_readfirstlane_b32 s8, v2
	v_readfirstlane_b32 s9, v1
	s_delay_alu instid0(VALU_DEP_2) | instskip(NEXT) | instid1(VALU_DEP_1)
	s_mul_i32 s16, s10, s8
	s_mul_hi_u32 s18, s10, s9
	s_mul_i32 s17, s11, s9
	s_add_i32 s16, s18, s16
	s_mul_i32 s19, s10, s9
	s_add_i32 s16, s16, s17
	s_mul_hi_u32 s18, s9, s19
	s_mul_hi_u32 s21, s8, s19
	s_mul_i32 s17, s8, s19
	s_mul_hi_u32 s19, s9, s16
	s_mul_i32 s9, s9, s16
	s_mul_hi_u32 s22, s8, s16
	s_add_u32 s9, s18, s9
	s_addc_u32 s18, 0, s19
	s_add_u32 s9, s9, s17
	s_mul_i32 s16, s8, s16
	s_addc_u32 s9, s18, s21
	s_addc_u32 s17, s22, 0
	s_add_u32 s9, s9, s16
	s_addc_u32 s16, 0, s17
	v_add_co_u32 v1, s9, v1, s9
	s_delay_alu instid0(VALU_DEP_1) | instskip(SKIP_1) | instid1(VALU_DEP_1)
	s_cmp_lg_u32 s9, 0
	s_addc_u32 s8, s8, s16
	v_readfirstlane_b32 s9, v1
	s_mul_i32 s16, s10, s8
	s_delay_alu instid0(VALU_DEP_1)
	s_mul_hi_u32 s17, s10, s9
	s_mul_i32 s11, s11, s9
	s_add_i32 s16, s17, s16
	s_mul_i32 s10, s10, s9
	s_add_i32 s16, s16, s11
	s_mul_hi_u32 s17, s8, s10
	s_mul_i32 s18, s8, s10
	s_mul_hi_u32 s10, s9, s10
	s_mul_hi_u32 s19, s9, s16
	s_mul_i32 s9, s9, s16
	s_mul_hi_u32 s11, s8, s16
	s_add_u32 s9, s10, s9
	s_addc_u32 s10, 0, s19
	s_add_u32 s9, s9, s18
	s_mul_i32 s16, s8, s16
	s_addc_u32 s9, s10, s17
	s_addc_u32 s10, s11, 0
	s_add_u32 s9, s9, s16
	s_addc_u32 s10, 0, s10
	v_add_co_u32 v1, s9, v1, s9
	s_delay_alu instid0(VALU_DEP_1) | instskip(SKIP_2) | instid1(SALU_CYCLE_1)
	s_cmp_lg_u32 s9, 0
	s_addc_u32 s16, s8, s10
	s_ashr_i32 s8, s3, 31
	s_add_u32 s10, s12, s8
	s_addc_u32 s11, s3, s8
	v_readfirstlane_b32 s3, v1
	s_mov_b32 s9, s8
	s_delay_alu instid0(SALU_CYCLE_1) | instskip(NEXT) | instid1(SALU_CYCLE_1)
	s_xor_b64 s[10:11], s[10:11], s[8:9]
	s_mul_i32 s18, s10, s16
	s_delay_alu instid0(VALU_DEP_1)
	s_mul_hi_u32 s19, s10, s3
	s_mul_hi_u32 s17, s10, s16
	;; [unrolled: 1-line block ×3, first 2 shown]
	s_mul_i32 s3, s11, s3
	s_add_u32 s18, s19, s18
	s_addc_u32 s17, 0, s17
	s_mul_hi_u32 s21, s11, s16
	s_add_u32 s3, s18, s3
	s_mul_i32 s16, s11, s16
	s_addc_u32 s3, s17, s22
	s_addc_u32 s17, s21, 0
	s_add_u32 s3, s3, s16
	s_addc_u32 s16, 0, s17
	s_mul_i32 s18, s20, s3
	s_add_u32 s17, s3, 1
	v_sub_co_u32 v1, s10, s10, s18
	s_mul_hi_u32 s18, s20, s3
	s_addc_u32 s19, s16, 0
	s_mul_i32 s21, s20, s16
	s_delay_alu instid0(VALU_DEP_1)
	v_sub_co_u32 v2, s22, v1, s20
	s_add_u32 s23, s3, 2
	s_addc_u32 s24, s16, 0
	s_add_i32 s18, s18, s21
	s_cmp_lg_u32 s10, 0
	v_readfirstlane_b32 s10, v2
	s_subb_u32 s11, s11, s18
	s_cmp_lg_u32 s22, 0
	s_subb_u32 s18, s11, 0
	s_delay_alu instid0(VALU_DEP_1) | instskip(SKIP_4) | instid1(SALU_CYCLE_1)
	s_cmp_ge_u32 s10, s20
	s_cselect_b32 s10, -1, 0
	s_cmp_eq_u32 s18, 0
	v_readfirstlane_b32 s18, v1
	s_cselect_b32 s10, s10, -1
	s_cmp_lg_u32 s10, 0
	s_cselect_b32 s10, s23, s17
	s_cselect_b32 s17, s24, s19
	s_cmp_ge_u32 s18, s20
	s_cselect_b32 s18, -1, 0
	s_cmp_eq_u32 s11, 0
	s_cselect_b32 s11, s18, -1
	s_delay_alu instid0(SALU_CYCLE_1) | instskip(SKIP_2) | instid1(SALU_CYCLE_1)
	s_cmp_lg_u32 s11, 0
	s_cselect_b32 s11, s17, s16
	s_cselect_b32 s10, s10, s3
	s_xor_b64 s[10:11], s[10:11], s[8:9]
	s_delay_alu instid0(SALU_CYCLE_1)
	s_sub_u32 s16, s10, s8
	s_load_b128 s[8:11], s[0:1], 0x44
	s_and_not1_b32 vcc_lo, exec_lo, s2
	s_cbranch_vccnz .LBB25_3
.LBB25_2:
	v_cvt_f32_u32_e32 v1, s20
	s_sub_i32 s3, 0, s20
	s_delay_alu instid0(VALU_DEP_1) | instskip(SKIP_2) | instid1(VALU_DEP_1)
	v_rcp_iflag_f32_e32 v1, v1
	s_waitcnt_depctr 0xfff
	v_mul_f32_e32 v1, 0x4f7ffffe, v1
	v_cvt_u32_f32_e32 v1, v1
	s_delay_alu instid0(VALU_DEP_1) | instskip(NEXT) | instid1(VALU_DEP_1)
	v_readfirstlane_b32 s2, v1
	s_mul_i32 s3, s3, s2
	s_delay_alu instid0(SALU_CYCLE_1) | instskip(NEXT) | instid1(SALU_CYCLE_1)
	s_mul_hi_u32 s3, s2, s3
	s_add_i32 s2, s2, s3
	s_delay_alu instid0(SALU_CYCLE_1) | instskip(NEXT) | instid1(SALU_CYCLE_1)
	s_mul_hi_u32 s2, s12, s2
	s_mul_i32 s3, s2, s20
	s_waitcnt lgkmcnt(0)
	s_add_i32 s11, s2, 1
	s_sub_i32 s3, s12, s3
	s_delay_alu instid0(SALU_CYCLE_1)
	s_sub_i32 s12, s3, s20
	s_cmp_ge_u32 s3, s20
	s_cselect_b32 s2, s11, s2
	s_cselect_b32 s3, s12, s3
	s_add_i32 s11, s2, 1
	s_cmp_ge_u32 s3, s20
	s_cselect_b32 s16, s11, s2
.LBB25_3:
	s_waitcnt lgkmcnt(0)
	s_add_i32 s11, s13, 1
	s_mov_b32 s2, 0
	s_mul_hi_i32 s3, s7, s11
	s_mul_i32 s11, s7, s11
	s_cmp_lg_u64 s[2:3], 0
	s_cbranch_scc0 .LBB25_22
; %bb.4:
	v_cvt_f32_ubyte0_e32 v1, 0
	v_cvt_f32_u32_e32 v2, s20
	s_sub_u32 s18, 0, s20
	s_subb_u32 s19, 0, 0
	s_delay_alu instid0(VALU_DEP_1) | instskip(NEXT) | instid1(VALU_DEP_1)
	v_fmamk_f32 v1, v1, 0x4f800000, v2
	v_rcp_f32_e32 v1, v1
	s_waitcnt_depctr 0xfff
	v_mul_f32_e32 v1, 0x5f7ffffc, v1
	s_delay_alu instid0(VALU_DEP_1) | instskip(NEXT) | instid1(VALU_DEP_1)
	v_mul_f32_e32 v2, 0x2f800000, v1
	v_trunc_f32_e32 v2, v2
	s_delay_alu instid0(VALU_DEP_1) | instskip(SKIP_1) | instid1(VALU_DEP_2)
	v_fmamk_f32 v1, v2, 0xcf800000, v1
	v_cvt_u32_f32_e32 v2, v2
	v_cvt_u32_f32_e32 v1, v1
	s_delay_alu instid0(VALU_DEP_2) | instskip(NEXT) | instid1(VALU_DEP_2)
	v_readfirstlane_b32 s12, v2
	v_readfirstlane_b32 s17, v1
	s_delay_alu instid0(VALU_DEP_2) | instskip(NEXT) | instid1(VALU_DEP_1)
	s_mul_i32 s21, s18, s12
	s_mul_hi_u32 s23, s18, s17
	s_mul_i32 s22, s19, s17
	s_add_i32 s21, s23, s21
	s_mul_i32 s24, s18, s17
	s_add_i32 s21, s21, s22
	s_mul_hi_u32 s23, s17, s24
	s_mul_hi_u32 s25, s12, s24
	s_mul_i32 s22, s12, s24
	s_mul_hi_u32 s24, s17, s21
	s_mul_i32 s17, s17, s21
	s_mul_hi_u32 s26, s12, s21
	s_add_u32 s17, s23, s17
	s_addc_u32 s23, 0, s24
	s_add_u32 s17, s17, s22
	s_mul_i32 s21, s12, s21
	s_addc_u32 s17, s23, s25
	s_addc_u32 s22, s26, 0
	s_add_u32 s17, s17, s21
	s_addc_u32 s21, 0, s22
	v_add_co_u32 v1, s17, v1, s17
	s_delay_alu instid0(VALU_DEP_1) | instskip(SKIP_1) | instid1(VALU_DEP_1)
	s_cmp_lg_u32 s17, 0
	s_addc_u32 s12, s12, s21
	v_readfirstlane_b32 s17, v1
	s_mul_i32 s21, s18, s12
	s_delay_alu instid0(VALU_DEP_1)
	s_mul_hi_u32 s22, s18, s17
	s_mul_i32 s19, s19, s17
	s_add_i32 s21, s22, s21
	s_mul_i32 s18, s18, s17
	s_add_i32 s21, s21, s19
	s_mul_hi_u32 s22, s12, s18
	s_mul_i32 s23, s12, s18
	s_mul_hi_u32 s18, s17, s18
	s_mul_hi_u32 s24, s17, s21
	s_mul_i32 s17, s17, s21
	s_mul_hi_u32 s19, s12, s21
	s_add_u32 s17, s18, s17
	s_addc_u32 s18, 0, s24
	s_add_u32 s17, s17, s23
	s_mul_i32 s21, s12, s21
	s_addc_u32 s17, s18, s22
	s_addc_u32 s18, s19, 0
	s_add_u32 s17, s17, s21
	s_addc_u32 s18, 0, s18
	v_add_co_u32 v1, s17, v1, s17
	s_delay_alu instid0(VALU_DEP_1) | instskip(SKIP_2) | instid1(SALU_CYCLE_1)
	s_cmp_lg_u32 s17, 0
	s_addc_u32 s12, s12, s18
	s_ashr_i32 s18, s3, 31
	s_add_u32 s22, s11, s18
	s_addc_u32 s23, s3, s18
	v_readfirstlane_b32 s3, v1
	s_mov_b32 s19, s18
	s_delay_alu instid0(SALU_CYCLE_1) | instskip(NEXT) | instid1(SALU_CYCLE_1)
	s_xor_b64 s[22:23], s[22:23], s[18:19]
	s_mul_i32 s21, s22, s12
	s_delay_alu instid0(VALU_DEP_1)
	s_mul_hi_u32 s24, s22, s3
	s_mul_hi_u32 s17, s22, s12
	;; [unrolled: 1-line block ×3, first 2 shown]
	s_mul_i32 s3, s23, s3
	s_add_u32 s21, s24, s21
	s_addc_u32 s17, 0, s17
	s_mul_hi_u32 s25, s23, s12
	s_add_u32 s3, s21, s3
	s_mul_i32 s12, s23, s12
	s_addc_u32 s3, s17, s26
	s_addc_u32 s17, s25, 0
	s_add_u32 s3, s3, s12
	s_addc_u32 s12, 0, s17
	s_mul_i32 s21, s20, s3
	s_add_u32 s17, s3, 1
	v_sub_co_u32 v1, s21, s22, s21
	s_mul_hi_u32 s22, s20, s3
	s_addc_u32 s24, s12, 0
	s_mul_i32 s25, s20, s12
	s_delay_alu instid0(VALU_DEP_1)
	v_sub_co_u32 v2, s26, v1, s20
	s_add_u32 s27, s3, 2
	s_addc_u32 s28, s12, 0
	s_add_i32 s22, s22, s25
	s_cmp_lg_u32 s21, 0
	v_readfirstlane_b32 s21, v2
	s_subb_u32 s22, s23, s22
	s_cmp_lg_u32 s26, 0
	s_subb_u32 s23, s22, 0
	s_delay_alu instid0(VALU_DEP_1) | instskip(SKIP_4) | instid1(SALU_CYCLE_1)
	s_cmp_ge_u32 s21, s20
	s_cselect_b32 s21, -1, 0
	s_cmp_eq_u32 s23, 0
	v_readfirstlane_b32 s23, v1
	s_cselect_b32 s21, s21, -1
	s_cmp_lg_u32 s21, 0
	s_cselect_b32 s17, s27, s17
	s_cselect_b32 s21, s28, s24
	s_cmp_ge_u32 s23, s20
	s_cselect_b32 s23, -1, 0
	s_cmp_eq_u32 s22, 0
	s_cselect_b32 s22, s23, -1
	s_delay_alu instid0(SALU_CYCLE_1) | instskip(SKIP_2) | instid1(SALU_CYCLE_1)
	s_cmp_lg_u32 s22, 0
	s_cselect_b32 s23, s21, s12
	s_cselect_b32 s22, s17, s3
	s_xor_b64 s[22:23], s[22:23], s[18:19]
	s_delay_alu instid0(SALU_CYCLE_1)
	s_sub_u32 s18, s22, s18
	s_and_not1_b32 vcc_lo, exec_lo, s2
	s_cbranch_vccnz .LBB25_6
.LBB25_5:
	v_cvt_f32_u32_e32 v1, s20
	s_sub_i32 s3, 0, s20
	s_delay_alu instid0(VALU_DEP_1) | instskip(SKIP_2) | instid1(VALU_DEP_1)
	v_rcp_iflag_f32_e32 v1, v1
	s_waitcnt_depctr 0xfff
	v_mul_f32_e32 v1, 0x4f7ffffe, v1
	v_cvt_u32_f32_e32 v1, v1
	s_delay_alu instid0(VALU_DEP_1) | instskip(NEXT) | instid1(VALU_DEP_1)
	v_readfirstlane_b32 s2, v1
	s_mul_i32 s3, s3, s2
	s_delay_alu instid0(SALU_CYCLE_1) | instskip(NEXT) | instid1(SALU_CYCLE_1)
	s_mul_hi_u32 s3, s2, s3
	s_add_i32 s2, s2, s3
	s_delay_alu instid0(SALU_CYCLE_1) | instskip(NEXT) | instid1(SALU_CYCLE_1)
	s_mul_hi_u32 s2, s11, s2
	s_mul_i32 s3, s2, s20
	s_delay_alu instid0(SALU_CYCLE_1)
	s_sub_i32 s3, s11, s3
	s_add_i32 s11, s2, 1
	s_sub_i32 s12, s3, s20
	s_cmp_ge_u32 s3, s20
	s_cselect_b32 s2, s11, s2
	s_cselect_b32 s3, s12, s3
	s_add_i32 s11, s2, 1
	s_cmp_ge_u32 s3, s20
	s_cselect_b32 s18, s11, s2
.LBB25_6:
	s_delay_alu instid0(SALU_CYCLE_1) | instskip(SKIP_3) | instid1(SALU_CYCLE_1)
	s_cmp_eq_u32 s16, s18
	s_mul_hi_u32 s2, s16, s8
	s_cselect_b32 s3, -1, 0
	s_add_i32 s2, s2, s16
	s_lshr_b32 s11, s2, s9
	s_delay_alu instid0(SALU_CYCLE_1) | instskip(NEXT) | instid1(SALU_CYCLE_1)
	s_mul_i32 s2, s11, s10
	s_cmp_eq_u32 s2, s16
	s_mul_hi_u32 s2, s18, s8
	s_cselect_b32 s12, -1, 0
	s_add_i32 s2, s2, s18
	s_delay_alu instid0(SALU_CYCLE_1) | instskip(NEXT) | instid1(SALU_CYCLE_1)
	s_lshr_b32 s2, s2, s9
	s_cmp_eq_u32 s11, s2
	s_mul_i32 s2, s2, s10
	s_cselect_b32 s17, -1, 0
	s_cmp_lg_u32 s2, s18
	s_cselect_b32 s2, -1, 0
	s_or_b32 s3, s3, s12
	s_and_b32 s2, s17, s2
	s_delay_alu instid0(SALU_CYCLE_1) | instskip(NEXT) | instid1(SALU_CYCLE_1)
	s_or_b32 s2, s3, s2
	s_and_b32 vcc_lo, exec_lo, s2
	s_cbranch_vccnz .LBB25_24
; %bb.7:
	s_load_b256 s[24:31], s[0:1], 0x20
	s_waitcnt lgkmcnt(0)
	s_mul_hi_u32 s2, s16, s24
	s_delay_alu instid0(SALU_CYCLE_1) | instskip(NEXT) | instid1(SALU_CYCLE_1)
	s_add_i32 s2, s2, s16
	s_lshr_b32 s17, s2, s25
	s_load_b32 s2, s[0:1], 0x40
	s_mul_i32 s3, s17, s26
	s_delay_alu instid0(SALU_CYCLE_1) | instskip(NEXT) | instid1(SALU_CYCLE_1)
	s_sub_i32 s3, s16, s3
	s_mul_hi_u32 s12, s3, s27
	s_delay_alu instid0(SALU_CYCLE_1) | instskip(NEXT) | instid1(SALU_CYCLE_1)
	s_add_i32 s12, s3, s12
	s_lshr_b32 s18, s12, s28
	s_delay_alu instid0(SALU_CYCLE_1) | instskip(NEXT) | instid1(SALU_CYCLE_1)
	s_mul_i32 s12, s18, s29
	s_sub_i32 s3, s3, s12
	s_delay_alu instid0(SALU_CYCLE_1) | instskip(NEXT) | instid1(SALU_CYCLE_1)
	s_mul_hi_u32 s12, s3, s30
	s_add_i32 s12, s3, s12
	s_delay_alu instid0(SALU_CYCLE_1)
	s_lshr_b32 s12, s12, s31
	s_waitcnt lgkmcnt(0)
	s_mul_i32 s2, s12, s2
	s_lshl_b32 s21, s12, 2
	s_sub_i32 s2, s3, s2
	s_mov_b32 s12, 0
	s_mul_hi_u32 s3, s2, s8
	s_delay_alu instid0(SALU_CYCLE_1) | instskip(NEXT) | instid1(SALU_CYCLE_1)
	s_add_i32 s2, s2, s3
	s_lshr_b32 s19, s2, s9
	s_delay_alu instid0(SALU_CYCLE_1) | instskip(NEXT) | instid1(SALU_CYCLE_1)
	s_add_i32 s19, s19, s14
	s_cmp_lt_i32 s19, s4
	s_cselect_b32 s2, -1, 0
	s_add_i32 s21, s21, s15
	s_delay_alu instid0(SALU_CYCLE_1) | instskip(SKIP_1) | instid1(SALU_CYCLE_1)
	s_cmp_lt_i32 s21, s6
	s_cselect_b32 s3, -1, 0
	s_and_b32 s2, s2, s3
	s_delay_alu instid0(SALU_CYCLE_1)
	s_and_not1_b32 vcc_lo, exec_lo, s2
	s_cbranch_vccnz .LBB25_24
; %bb.8:
	s_load_b128 s[0:3], s[0:1], 0x0
	s_lshl_b32 s22, s20, 4
	s_mov_b32 s23, s12
	s_mul_i32 s4, s17, s4
	s_lshl_b64 s[22:23], s[22:23], 2
	s_mul_i32 s18, s18, s6
	v_cvt_f32_ubyte0_e32 v4, 0
	v_cvt_f32_u32_e32 v5, s20
	s_waitcnt lgkmcnt(0)
	s_add_u32 s6, s2, s22
	s_addc_u32 s17, s3, s23
	s_add_i32 s4, s19, s4
	s_add_i32 s18, s21, s18
	s_mul_i32 s4, s4, s5
	s_delay_alu instid0(SALU_CYCLE_1) | instskip(NEXT) | instid1(SALU_CYCLE_1)
	s_add_i32 s18, s18, s4
	v_lshl_or_b32 v1, s18, 9, v0
	v_lshl_or_b32 v0, s15, 9, v0
	s_delay_alu instid0(VALU_DEP_2) | instskip(NEXT) | instid1(VALU_DEP_1)
	v_ashrrev_i32_e32 v2, 31, v1
	v_lshlrev_b64 v[1:2], 2, v[1:2]
	s_delay_alu instid0(VALU_DEP_1) | instskip(NEXT) | instid1(VALU_DEP_2)
	v_add_co_u32 v1, vcc_lo, s0, v1
	v_add_co_ci_u32_e32 v2, vcc_lo, s1, v2, vcc_lo
	s_add_i32 s0, s14, s13
	s_delay_alu instid0(SALU_CYCLE_1) | instskip(SKIP_2) | instid1(SALU_CYCLE_1)
	s_lshl_b32 s0, s0, 2
	global_load_b32 v3, v[1:2], off
	s_add_i32 s0, s0, s15
	s_ashr_i32 s1, s0, 31
	s_delay_alu instid0(SALU_CYCLE_1) | instskip(NEXT) | instid1(SALU_CYCLE_1)
	s_lshl_b64 s[0:1], s[0:1], 3
	s_add_u32 s0, s2, s0
	s_addc_u32 s1, s3, s1
	s_add_i32 s19, s13, -1
	s_load_b64 s[0:1], s[0:1], 0x0
	v_fmac_f32_e32 v5, 0x4f800000, v4
	s_sub_i32 s18, 0, s20
	s_waitcnt lgkmcnt(0)
	v_mov_b32_e32 v8, s0
	s_delay_alu instid0(VALU_DEP_2) | instskip(SKIP_2) | instid1(VALU_DEP_2)
	v_rcp_f32_e32 v4, v5
	v_cvt_f32_u32_e32 v5, s20
	v_mov_b32_e32 v7, s1
	v_rcp_iflag_f32_e32 v5, v5
	s_waitcnt_depctr 0xfff
	v_mul_f32_e32 v4, 0x5f7ffffc, v4
	s_delay_alu instid0(VALU_DEP_1) | instskip(SKIP_1) | instid1(VALU_DEP_2)
	v_mul_f32_e32 v6, 0x2f800000, v4
	v_mul_f32_e32 v9, 0x4f7ffffe, v5
	v_trunc_f32_e32 v6, v6
	s_delay_alu instid0(VALU_DEP_1) | instskip(SKIP_1) | instid1(VALU_DEP_4)
	v_fmac_f32_e32 v4, 0xcf800000, v6
	v_cvt_u32_f32_e32 v5, v6
	v_cvt_u32_f32_e32 v6, v9
	s_delay_alu instid0(VALU_DEP_3)
	v_cvt_u32_f32_e32 v4, v4
.LBB25_9:                               ; =>This Inner Loop Header: Depth=1
	s_mul_hi_i32 s13, s19, s7
	s_mul_i32 s4, s19, s7
	s_cmp_lg_u64 s[12:13], 0
	s_mov_b32 s5, -1
                                        ; implicit-def: $sgpr0_sgpr1
	s_cbranch_scc0 .LBB25_11
; %bb.10:                               ;   in Loop: Header=BB25_9 Depth=1
	v_readfirstlane_b32 s0, v4
	v_readfirstlane_b32 s1, v5
	s_sub_u32 s5, 0, s20
	s_subb_u32 s21, 0, 0
	s_delay_alu instid0(VALU_DEP_2) | instskip(NEXT) | instid1(VALU_DEP_1)
	s_mul_hi_u32 s22, s5, s0
	s_mul_i32 s23, s5, s1
	s_mul_i32 s24, s21, s0
	s_add_i32 s22, s22, s23
	s_mul_i32 s23, s5, s0
	s_add_i32 s22, s22, s24
	s_mul_hi_u32 s24, s0, s23
	s_mul_i32 s25, s0, s22
	s_mul_hi_u32 s0, s0, s22
	s_add_u32 s24, s24, s25
	s_mul_i32 s26, s1, s23
	s_addc_u32 s0, 0, s0
	s_mul_hi_u32 s23, s1, s23
	s_mul_hi_u32 s25, s1, s22
	s_add_u32 s24, s24, s26
	s_addc_u32 s0, s0, s23
	s_mul_i32 s22, s1, s22
	s_addc_u32 s23, s25, 0
	s_add_u32 s0, s0, s22
	s_addc_u32 s22, 0, s23
	v_add_co_u32 v9, s0, v4, s0
	s_delay_alu instid0(VALU_DEP_1) | instskip(SKIP_1) | instid1(VALU_DEP_1)
	s_cmp_lg_u32 s0, 0
	s_addc_u32 s1, s1, s22
	v_readfirstlane_b32 s0, v9
	s_mul_i32 s22, s5, s1
	s_delay_alu instid0(VALU_DEP_1)
	s_mul_hi_u32 s23, s5, s0
	s_mul_i32 s21, s21, s0
	s_add_i32 s22, s23, s22
	s_mul_i32 s5, s5, s0
	s_add_i32 s22, s22, s21
	s_mul_hi_u32 s21, s1, s5
	s_mul_i32 s24, s1, s5
	s_mul_i32 s25, s0, s22
	s_mul_hi_u32 s5, s0, s5
	s_mul_hi_u32 s0, s0, s22
	s_add_u32 s5, s5, s25
	s_addc_u32 s0, 0, s0
	s_mul_hi_u32 s23, s1, s22
	s_add_u32 s5, s5, s24
	s_addc_u32 s0, s0, s21
	s_mul_i32 s5, s1, s22
	s_addc_u32 s21, s23, 0
	s_add_u32 s0, s0, s5
	s_addc_u32 s5, 0, s21
	v_add_co_u32 v9, s0, v9, s0
	s_delay_alu instid0(VALU_DEP_1) | instskip(SKIP_2) | instid1(SALU_CYCLE_1)
	s_cmp_lg_u32 s0, 0
	s_addc_u32 s5, s1, s5
	s_ashr_i32 s0, s13, 31
	s_add_u32 s22, s4, s0
	s_addc_u32 s23, s13, s0
	v_readfirstlane_b32 s13, v9
	s_mov_b32 s1, s0
	s_delay_alu instid0(SALU_CYCLE_1) | instskip(NEXT) | instid1(SALU_CYCLE_1)
	s_xor_b64 s[22:23], s[22:23], s[0:1]
	s_mul_i32 s21, s22, s5
	s_delay_alu instid0(VALU_DEP_1)
	s_mul_hi_u32 s24, s22, s13
	s_mul_hi_u32 s25, s22, s5
	s_add_u32 s21, s24, s21
	s_mul_i32 s26, s23, s13
	s_addc_u32 s24, 0, s25
	s_mul_hi_u32 s13, s23, s13
	s_mul_hi_u32 s25, s23, s5
	s_add_u32 s21, s21, s26
	s_addc_u32 s13, s24, s13
	s_mul_i32 s5, s23, s5
	s_addc_u32 s21, s25, 0
	s_add_u32 s5, s13, s5
	s_addc_u32 s13, 0, s21
	s_mul_i32 s24, s20, s5
	s_add_u32 s21, s5, 1
	v_sub_co_u32 v9, s22, s22, s24
	s_addc_u32 s24, s13, 0
	s_mul_i32 s26, s20, s13
	s_mul_hi_u32 s28, s20, s5
	s_delay_alu instid0(VALU_DEP_1)
	v_sub_co_u32 v10, s27, v9, s20
	s_add_u32 s25, s5, 2
	s_addc_u32 s29, s13, 0
	s_add_i32 s28, s28, s26
	s_cmp_lg_u32 s22, 0
	v_readfirstlane_b32 s22, v10
	s_subb_u32 s23, s23, s28
	s_cmp_lg_u32 s27, 0
	s_subb_u32 s26, s23, 0
	s_delay_alu instid0(VALU_DEP_1) | instskip(SKIP_4) | instid1(SALU_CYCLE_1)
	s_cmp_ge_u32 s22, s20
	s_cselect_b32 s22, -1, 0
	s_cmp_eq_u32 s26, 0
	v_readfirstlane_b32 s26, v9
	s_cselect_b32 s22, s22, -1
	s_cmp_lg_u32 s22, 0
	s_cselect_b32 s21, s25, s21
	s_cselect_b32 s22, s29, s24
	s_cmp_ge_u32 s26, s20
	s_cselect_b32 s24, -1, 0
	s_cmp_eq_u32 s23, 0
	s_cselect_b32 s23, s24, -1
	s_delay_alu instid0(SALU_CYCLE_1) | instskip(SKIP_4) | instid1(SALU_CYCLE_1)
	s_cmp_lg_u32 s23, 0
	s_cselect_b32 s23, s22, s13
	s_cselect_b32 s22, s21, s5
	s_mov_b32 s5, 0
	s_xor_b64 s[22:23], s[22:23], s[0:1]
	s_sub_u32 s0, s22, s0
.LBB25_11:                              ;   in Loop: Header=BB25_9 Depth=1
	s_and_not1_b32 vcc_lo, exec_lo, s5
	s_cbranch_vccnz .LBB25_13
; %bb.12:                               ;   in Loop: Header=BB25_9 Depth=1
	v_readfirstlane_b32 s0, v6
	s_delay_alu instid0(VALU_DEP_1) | instskip(NEXT) | instid1(SALU_CYCLE_1)
	s_mul_i32 s1, s18, s0
	s_mul_hi_u32 s1, s0, s1
	s_delay_alu instid0(SALU_CYCLE_1) | instskip(NEXT) | instid1(SALU_CYCLE_1)
	s_add_i32 s0, s0, s1
	s_mul_hi_u32 s0, s4, s0
	s_delay_alu instid0(SALU_CYCLE_1) | instskip(NEXT) | instid1(SALU_CYCLE_1)
	s_mul_i32 s1, s0, s20
	s_sub_i32 s1, s4, s1
	s_add_i32 s4, s0, 1
	s_sub_i32 s5, s1, s20
	s_cmp_ge_u32 s1, s20
	s_cselect_b32 s0, s4, s0
	s_cselect_b32 s1, s5, s1
	s_add_i32 s4, s0, 1
	s_cmp_ge_u32 s1, s20
	s_cselect_b32 s0, s4, s0
.LBB25_13:                              ;   in Loop: Header=BB25_9 Depth=1
	s_delay_alu instid0(SALU_CYCLE_1)
	s_cmp_lg_u32 s16, s0
	s_cbranch_scc0 .LBB25_17
; %bb.14:                               ;   in Loop: Header=BB25_9 Depth=1
	s_add_i32 s22, s19, s14
	s_mov_b32 s5, s12
	s_add_i32 s1, s22, s20
	s_mov_b32 s21, s16
	s_lshl_b32 s1, s1, 2
	s_delay_alu instid0(SALU_CYCLE_1) | instskip(SKIP_2) | instid1(SALU_CYCLE_1)
	s_add_i32 s4, s1, s15
	s_mul_hi_u32 s1, s0, s8
	s_lshl_b64 s[4:5], s[4:5], 3
	s_add_u32 s4, s2, s4
	s_addc_u32 s5, s3, s5
	s_add_i32 s1, s1, s0
	s_delay_alu instid0(SALU_CYCLE_1) | instskip(NEXT) | instid1(SALU_CYCLE_1)
	s_lshr_b32 s1, s1, s9
	s_mul_i32 s13, s1, s10
	s_delay_alu instid0(SALU_CYCLE_1) | instskip(SKIP_3) | instid1(SALU_CYCLE_1)
	s_cmp_eq_u32 s13, s0
	s_cselect_b32 s13, -1, 0
	s_cmp_lt_u32 s1, s11
	s_cselect_b32 s1, -1, 0
	s_or_b32 s1, s1, s13
	s_mov_b32 s13, -1
	s_and_b32 vcc_lo, exec_lo, s1
	s_mov_b32 s1, s19
	s_cbranch_vccnz .LBB25_16
; %bb.15:                               ;   in Loop: Header=BB25_9 Depth=1
	s_add_i32 s1, s19, -1
	s_mov_b32 s13, 0
	s_mov_b32 s21, s0
.LBB25_16:                              ;   in Loop: Header=BB25_9 Depth=1
	v_lshl_add_u32 v9, s22, 11, v0
	s_load_b64 s[4:5], s[4:5], 0x0
	s_delay_alu instid0(VALU_DEP_1) | instskip(NEXT) | instid1(VALU_DEP_1)
	v_ashrrev_i32_e32 v10, 31, v9
	v_lshlrev_b64 v[9:10], 2, v[9:10]
	s_delay_alu instid0(VALU_DEP_1) | instskip(NEXT) | instid1(VALU_DEP_2)
	v_add_co_u32 v9, vcc_lo, s6, v9
	v_add_co_ci_u32_e32 v10, vcc_lo, s17, v10, vcc_lo
	s_waitcnt lgkmcnt(0)
	v_max_f32_e64 v11, s4, s4
	global_load_b32 v10, v[9:10], off
	v_max_f32_e32 v9, v8, v8
	s_delay_alu instid0(VALU_DEP_1) | instskip(NEXT) | instid1(VALU_DEP_1)
	v_max_f32_e32 v9, v9, v11
	v_sub_f32_e32 v12, v8, v9
	s_delay_alu instid0(VALU_DEP_1) | instskip(NEXT) | instid1(VALU_DEP_1)
	v_dual_mul_f32 v14, 0x3fb8aa3b, v12 :: v_dual_sub_f32 v11, s4, v9
	v_rndne_f32_e32 v18, v14
	s_delay_alu instid0(VALU_DEP_2) | instskip(SKIP_2) | instid1(VALU_DEP_4)
	v_mul_f32_e32 v13, 0x3fb8aa3b, v11
	v_fma_f32 v17, 0x3fb8aa3b, v12, -v14
	v_cmp_ngt_f32_e32 vcc_lo, 0xc2ce8ed0, v11
	v_sub_f32_e32 v14, v14, v18
	s_delay_alu instid0(VALU_DEP_4) | instskip(SKIP_2) | instid1(VALU_DEP_3)
	v_fma_f32 v15, 0x3fb8aa3b, v11, -v13
	v_rndne_f32_e32 v16, v13
	v_fmac_f32_e32 v17, 0x32a5705f, v12
	v_fmac_f32_e32 v15, 0x32a5705f, v11
	s_delay_alu instid0(VALU_DEP_2) | instskip(NEXT) | instid1(VALU_DEP_1)
	v_dual_sub_f32 v13, v13, v16 :: v_dual_add_f32 v14, v14, v17
	v_add_f32_e32 v13, v13, v15
	s_delay_alu instid0(VALU_DEP_2) | instskip(SKIP_2) | instid1(VALU_DEP_3)
	v_exp_f32_e32 v14, v14
	v_cvt_i32_f32_e32 v15, v16
	v_cvt_i32_f32_e32 v16, v18
	v_exp_f32_e32 v13, v13
	s_waitcnt_depctr 0xfff
	v_ldexp_f32 v14, v14, v16
	v_ldexp_f32 v13, v13, v15
	s_delay_alu instid0(VALU_DEP_1) | instskip(SKIP_1) | instid1(VALU_DEP_4)
	v_cndmask_b32_e32 v13, 0, v13, vcc_lo
	v_cmp_ngt_f32_e32 vcc_lo, 0xc2ce8ed0, v12
	v_cndmask_b32_e32 v14, 0, v14, vcc_lo
	v_cmp_nlt_f32_e32 vcc_lo, 0x42b17218, v11
	s_delay_alu instid0(VALU_DEP_4) | instskip(SKIP_1) | instid1(VALU_DEP_4)
	v_cndmask_b32_e32 v13, 0x7f800000, v13, vcc_lo
	v_cmp_nlt_f32_e32 vcc_lo, 0x42b17218, v12
	v_cndmask_b32_e32 v14, 0x7f800000, v14, vcc_lo
	v_cmp_le_f32_e32 vcc_lo, 0xc1a00000, v11
	s_delay_alu instid0(VALU_DEP_4) | instskip(SKIP_1) | instid1(VALU_DEP_4)
	v_cndmask_b32_e32 v11, 0, v13, vcc_lo
	v_cmp_le_f32_e32 vcc_lo, 0xc1a00000, v12
	v_cndmask_b32_e32 v12, 0, v14, vcc_lo
	s_waitcnt vmcnt(0)
	s_delay_alu instid0(VALU_DEP_3) | instskip(NEXT) | instid1(VALU_DEP_1)
	v_mul_f32_e32 v10, v10, v11
	v_dual_mul_f32 v11, s5, v11 :: v_dual_fmac_f32 v10, v3, v12
	s_delay_alu instid0(VALU_DEP_1)
	v_fmac_f32_e32 v11, v7, v12
	s_cbranch_execz .LBB25_18
	s_branch .LBB25_19
.LBB25_17:                              ;   in Loop: Header=BB25_9 Depth=1
                                        ; implicit-def: $sgpr13
                                        ; implicit-def: $vgpr10
                                        ; implicit-def: $vgpr9
                                        ; implicit-def: $vgpr11
                                        ; implicit-def: $sgpr1
                                        ; implicit-def: $sgpr21
.LBB25_18:                              ;   in Loop: Header=BB25_9 Depth=1
	v_mov_b32_e32 v11, v7
	s_waitcnt vmcnt(0)
	v_dual_mov_b32 v9, v8 :: v_dual_mov_b32 v10, v3
	s_add_i32 s1, s19, -1
	s_mov_b32 s13, 0
	s_mov_b32 s21, s16
.LBB25_19:                              ;   in Loop: Header=BB25_9 Depth=1
	s_and_not1_b32 vcc_lo, exec_lo, s13
	s_cbranch_vccz .LBB25_23
; %bb.20:                               ;   in Loop: Header=BB25_9 Depth=1
	v_dual_mov_b32 v7, v11 :: v_dual_mov_b32 v8, v9
	s_waitcnt vmcnt(0)
	v_mov_b32_e32 v3, v10
	s_mov_b32 s16, s21
	s_mov_b32 s19, s1
	s_branch .LBB25_9
.LBB25_21:
                                        ; implicit-def: $sgpr16_sgpr17
	s_load_b128 s[8:11], s[0:1], 0x44
	s_branch .LBB25_2
.LBB25_22:
                                        ; implicit-def: $sgpr18_sgpr19
	s_branch .LBB25_5
.LBB25_23:
	v_div_scale_f32 v0, null, v11, v11, v10
	s_waitcnt vmcnt(0)
	s_delay_alu instid0(VALU_DEP_1) | instskip(SKIP_2) | instid1(VALU_DEP_1)
	v_rcp_f32_e32 v3, v0
	s_waitcnt_depctr 0xfff
	v_fma_f32 v4, -v0, v3, 1.0
	v_fmac_f32_e32 v3, v4, v3
	v_div_scale_f32 v4, vcc_lo, v10, v11, v10
	s_delay_alu instid0(VALU_DEP_1) | instskip(NEXT) | instid1(VALU_DEP_1)
	v_mul_f32_e32 v5, v4, v3
	v_fma_f32 v6, -v0, v5, v4
	s_delay_alu instid0(VALU_DEP_1) | instskip(NEXT) | instid1(VALU_DEP_1)
	v_fmac_f32_e32 v5, v6, v3
	v_fma_f32 v0, -v0, v5, v4
	s_delay_alu instid0(VALU_DEP_1) | instskip(NEXT) | instid1(VALU_DEP_1)
	v_div_fmas_f32 v0, v0, v3, v5
	v_div_fixup_f32 v0, v0, v11, v10
	global_store_b32 v[1:2], v0, off
.LBB25_24:
	s_nop 0
	s_sendmsg sendmsg(MSG_DEALLOC_VGPRS)
	s_endpgm
	.section	.rodata,"a",@progbits
	.p2align	6, 0x0
	.amdhsa_kernel _ZL33flash_attn_stream_k_fixup_generalILi512ELi1ELi4EEvPfPK15HIP_vector_typeIfLj2EEiiiiS1_IjLj3EES5_S5_S5_
		.amdhsa_group_segment_fixed_size 0
		.amdhsa_private_segment_fixed_size 0
		.amdhsa_kernarg_size 336
		.amdhsa_user_sgpr_count 13
		.amdhsa_user_sgpr_dispatch_ptr 0
		.amdhsa_user_sgpr_queue_ptr 0
		.amdhsa_user_sgpr_kernarg_segment_ptr 1
		.amdhsa_user_sgpr_dispatch_id 0
		.amdhsa_user_sgpr_private_segment_size 0
		.amdhsa_wavefront_size32 1
		.amdhsa_uses_dynamic_stack 0
		.amdhsa_enable_private_segment 0
		.amdhsa_system_sgpr_workgroup_id_x 1
		.amdhsa_system_sgpr_workgroup_id_y 1
		.amdhsa_system_sgpr_workgroup_id_z 1
		.amdhsa_system_sgpr_workgroup_info 0
		.amdhsa_system_vgpr_workitem_id 0
		.amdhsa_next_free_vgpr 19
		.amdhsa_next_free_sgpr 32
		.amdhsa_reserve_vcc 1
		.amdhsa_float_round_mode_32 0
		.amdhsa_float_round_mode_16_64 0
		.amdhsa_float_denorm_mode_32 3
		.amdhsa_float_denorm_mode_16_64 3
		.amdhsa_dx10_clamp 1
		.amdhsa_ieee_mode 1
		.amdhsa_fp16_overflow 0
		.amdhsa_workgroup_processor_mode 1
		.amdhsa_memory_ordered 1
		.amdhsa_forward_progress 0
		.amdhsa_shared_vgpr_count 0
		.amdhsa_exception_fp_ieee_invalid_op 0
		.amdhsa_exception_fp_denorm_src 0
		.amdhsa_exception_fp_ieee_div_zero 0
		.amdhsa_exception_fp_ieee_overflow 0
		.amdhsa_exception_fp_ieee_underflow 0
		.amdhsa_exception_fp_ieee_inexact 0
		.amdhsa_exception_int_div_zero 0
	.end_amdhsa_kernel
	.section	.text._ZL33flash_attn_stream_k_fixup_generalILi512ELi1ELi4EEvPfPK15HIP_vector_typeIfLj2EEiiiiS1_IjLj3EES5_S5_S5_,"axG",@progbits,_ZL33flash_attn_stream_k_fixup_generalILi512ELi1ELi4EEvPfPK15HIP_vector_typeIfLj2EEiiiiS1_IjLj3EES5_S5_S5_,comdat
.Lfunc_end25:
	.size	_ZL33flash_attn_stream_k_fixup_generalILi512ELi1ELi4EEvPfPK15HIP_vector_typeIfLj2EEiiiiS1_IjLj3EES5_S5_S5_, .Lfunc_end25-_ZL33flash_attn_stream_k_fixup_generalILi512ELi1ELi4EEvPfPK15HIP_vector_typeIfLj2EEiiiiS1_IjLj3EES5_S5_S5_
                                        ; -- End function
	.section	.AMDGPU.csdata,"",@progbits
; Kernel info:
; codeLenInByte = 3200
; NumSgprs: 34
; NumVgprs: 19
; ScratchSize: 0
; MemoryBound: 0
; FloatMode: 240
; IeeeMode: 1
; LDSByteSize: 0 bytes/workgroup (compile time only)
; SGPRBlocks: 4
; VGPRBlocks: 2
; NumSGPRsForWavesPerEU: 34
; NumVGPRsForWavesPerEU: 19
; Occupancy: 16
; WaveLimiterHint : 0
; COMPUTE_PGM_RSRC2:SCRATCH_EN: 0
; COMPUTE_PGM_RSRC2:USER_SGPR: 13
; COMPUTE_PGM_RSRC2:TRAP_HANDLER: 0
; COMPUTE_PGM_RSRC2:TGID_X_EN: 1
; COMPUTE_PGM_RSRC2:TGID_Y_EN: 1
; COMPUTE_PGM_RSRC2:TGID_Z_EN: 1
; COMPUTE_PGM_RSRC2:TIDIG_COMP_CNT: 0
	.section	.text._ZL15flash_attn_tileILi512ELi512ELi4ELi8ELb1EEvPKcS1_S1_S1_S1_PKiPfP15HIP_vector_typeIfLj2EEffffjfiS5_IjLj3EEiiiiiiiiiiiliiliiiiil,"axG",@progbits,_ZL15flash_attn_tileILi512ELi512ELi4ELi8ELb1EEvPKcS1_S1_S1_S1_PKiPfP15HIP_vector_typeIfLj2EEffffjfiS5_IjLj3EEiiiiiiiiiiiliiliiiiil,comdat
	.globl	_ZL15flash_attn_tileILi512ELi512ELi4ELi8ELb1EEvPKcS1_S1_S1_S1_PKiPfP15HIP_vector_typeIfLj2EEffffjfiS5_IjLj3EEiiiiiiiiiiiliiliiiiil ; -- Begin function _ZL15flash_attn_tileILi512ELi512ELi4ELi8ELb1EEvPKcS1_S1_S1_S1_PKiPfP15HIP_vector_typeIfLj2EEffffjfiS5_IjLj3EEiiiiiiiiiiiliiliiiiil
	.p2align	8
	.type	_ZL15flash_attn_tileILi512ELi512ELi4ELi8ELb1EEvPKcS1_S1_S1_S1_PKiPfP15HIP_vector_typeIfLj2EEffffjfiS5_IjLj3EEiiiiiiiiiiiliiliiiiil,@function
_ZL15flash_attn_tileILi512ELi512ELi4ELi8ELb1EEvPKcS1_S1_S1_S1_PKiPfP15HIP_vector_typeIfLj2EEffffjfiS5_IjLj3EEiiiiiiiiiiiliiliiiiil: ; @_ZL15flash_attn_tileILi512ELi512ELi4ELi8ELb1EEvPKcS1_S1_S1_S1_PKiPfP15HIP_vector_typeIfLj2EEffffjfiS5_IjLj3EEiiiiiiiiiiiliiliiiiil
; %bb.0:
	s_clause 0x3
	s_load_b128 s[4:7], s[0:1], 0x5c
	s_load_b64 s[2:3], s[0:1], 0x80
	s_load_b512 s[16:31], s[0:1], 0x0
	s_load_b64 s[36:37], s[0:1], 0xb8
	s_mov_b64 s[34:35], 0
	s_waitcnt lgkmcnt(0)
	s_ashr_i32 s8, s7, 31
	s_delay_alu instid0(SALU_CYCLE_1) | instskip(NEXT) | instid1(SALU_CYCLE_1)
	s_lshr_b32 s8, s8, 29
	s_add_i32 s8, s7, s8
	s_delay_alu instid0(SALU_CYCLE_1) | instskip(NEXT) | instid1(SALU_CYCLE_1)
	s_ashr_i32 s8, s8, 3
	v_cvt_f32_u32_e32 v1, s8
	s_sub_i32 s10, 0, s8
	s_delay_alu instid0(VALU_DEP_1) | instskip(SKIP_2) | instid1(VALU_DEP_1)
	v_rcp_iflag_f32_e32 v1, v1
	s_waitcnt_depctr 0xfff
	v_mul_f32_e32 v1, 0x4f7ffffe, v1
	v_cvt_u32_f32_e32 v1, v1
	s_delay_alu instid0(VALU_DEP_1) | instskip(NEXT) | instid1(VALU_DEP_1)
	v_readfirstlane_b32 s9, v1
	s_mul_i32 s10, s10, s9
	s_delay_alu instid0(SALU_CYCLE_1) | instskip(NEXT) | instid1(SALU_CYCLE_1)
	s_mul_hi_u32 s10, s9, s10
	s_add_i32 s9, s9, s10
	s_delay_alu instid0(SALU_CYCLE_1) | instskip(NEXT) | instid1(SALU_CYCLE_1)
	s_mul_hi_u32 s9, s15, s9
	s_mul_i32 s10, s9, s8
	s_add_i32 s11, s9, 1
	s_sub_i32 s10, s15, s10
	s_delay_alu instid0(SALU_CYCLE_1)
	s_sub_i32 s12, s10, s8
	s_cmp_ge_u32 s10, s8
	s_cselect_b32 s9, s11, s9
	s_cselect_b32 s10, s12, s10
	s_add_i32 s11, s9, 1
	s_cmp_ge_u32 s10, s8
	s_cselect_b32 s33, s11, s9
	s_abs_i32 s8, s3
	s_lshl_b32 s11, s15, 3
	v_cvt_f32_u32_e32 v1, s8
	s_sub_i32 s10, 0, s8
	s_abs_i32 s15, s7
	s_mul_i32 s12, s33, s7
	s_xor_b32 s3, s7, s3
	v_rcp_iflag_f32_e32 v1, v1
	s_sub_i32 s12, s11, s12
	s_ashr_i32 s3, s3, 31
	s_waitcnt_depctr 0xfff
	v_mul_f32_e32 v1, 0x4f7ffffe, v1
	s_delay_alu instid0(VALU_DEP_1) | instskip(NEXT) | instid1(VALU_DEP_1)
	v_cvt_u32_f32_e32 v1, v1
	v_readfirstlane_b32 s9, v1
	s_delay_alu instid0(VALU_DEP_1) | instskip(NEXT) | instid1(SALU_CYCLE_1)
	s_mul_i32 s10, s10, s9
	s_mul_hi_u32 s10, s9, s10
	s_delay_alu instid0(SALU_CYCLE_1) | instskip(NEXT) | instid1(SALU_CYCLE_1)
	s_add_i32 s9, s9, s10
	s_mul_hi_u32 s9, s15, s9
	s_delay_alu instid0(SALU_CYCLE_1) | instskip(SKIP_2) | instid1(SALU_CYCLE_1)
	s_mul_i32 s10, s9, s8
	s_add_i32 s11, s9, 1
	s_sub_i32 s10, s15, s10
	s_sub_i32 s15, s10, s8
	s_cmp_ge_u32 s10, s8
	s_cselect_b32 s9, s11, s9
	s_cselect_b32 s10, s15, s10
	s_add_i32 s11, s9, 1
	s_cmp_ge_u32 s10, s8
	s_cselect_b32 s8, s11, s9
	s_delay_alu instid0(SALU_CYCLE_1) | instskip(NEXT) | instid1(SALU_CYCLE_1)
	s_xor_b32 s8, s8, s3
	s_sub_i32 s38, s8, s3
	s_delay_alu instid0(SALU_CYCLE_1) | instskip(SKIP_2) | instid1(VALU_DEP_1)
	s_abs_i32 s15, s38
	s_cmp_eq_u64 s[22:23], 0
	v_cvt_f32_u32_e32 v1, s15
	v_rcp_iflag_f32_e32 v1, v1
	s_waitcnt_depctr 0xfff
	v_mul_f32_e32 v1, 0x4f7ffffe, v1
	s_delay_alu instid0(VALU_DEP_1) | instskip(NEXT) | instid1(VALU_DEP_1)
	v_cvt_u32_f32_e32 v1, v1
	v_readfirstlane_b32 s39, v1
	s_cbranch_scc1 .LBB26_2
; %bb.1:
	s_abs_i32 s3, s36
	s_abs_i32 s10, s33
	v_cvt_f32_u32_e32 v1, s3
	s_sub_i32 s9, 0, s3
	s_delay_alu instid0(VALU_DEP_1) | instskip(SKIP_2) | instid1(VALU_DEP_1)
	v_rcp_iflag_f32_e32 v1, v1
	s_waitcnt_depctr 0xfff
	v_mul_f32_e32 v1, 0x4f7ffffe, v1
	v_cvt_u32_f32_e32 v1, v1
	s_delay_alu instid0(VALU_DEP_1) | instskip(NEXT) | instid1(VALU_DEP_1)
	v_readfirstlane_b32 s8, v1
	s_mul_i32 s9, s9, s8
	s_delay_alu instid0(SALU_CYCLE_1) | instskip(NEXT) | instid1(SALU_CYCLE_1)
	s_mul_hi_u32 s9, s8, s9
	s_add_i32 s11, s8, s9
	s_load_b64 s[8:9], s[0:1], 0xc8
	s_mul_hi_u32 s11, s10, s11
	s_delay_alu instid0(SALU_CYCLE_1) | instskip(NEXT) | instid1(SALU_CYCLE_1)
	s_mul_i32 s11, s11, s3
	s_sub_i32 s10, s10, s11
	s_ashr_i32 s11, s33, 31
	s_sub_i32 s34, s10, s3
	s_cmp_ge_u32 s10, s3
	s_cselect_b32 s10, s34, s10
	s_delay_alu instid0(SALU_CYCLE_1) | instskip(SKIP_2) | instid1(SALU_CYCLE_1)
	s_sub_i32 s34, s10, s3
	s_cmp_ge_u32 s10, s3
	s_cselect_b32 s3, s34, s10
	s_xor_b32 s3, s3, s11
	s_delay_alu instid0(SALU_CYCLE_1)
	s_sub_i32 s3, s3, s11
	s_waitcnt lgkmcnt(0)
	s_mul_i32 s9, s3, s9
	s_mul_hi_u32 s10, s3, s8
	s_ashr_i32 s11, s3, 31
	s_add_i32 s9, s10, s9
	s_mul_i32 s11, s11, s8
	s_mul_i32 s3, s3, s8
	s_add_i32 s9, s9, s11
	s_add_u32 s34, s22, s3
	s_addc_u32 s35, s23, s9
.LBB26_2:
	v_bfe_u32 v4, v0, 10, 10
	s_load_b128 s[8:11], s[0:1], 0x70
	v_and_b32_e32 v17, 0x3ff, v0
	s_delay_alu instid0(VALU_DEP_2) | instskip(SKIP_1) | instid1(VALU_DEP_2)
	v_lshrrev_b32_e32 v1, 1, v4
	v_lshlrev_b32_e32 v5, 2, v4
	v_lshl_add_u32 v16, s13, 2, v1
	s_delay_alu instid0(VALU_DEP_2) | instskip(SKIP_2) | instid1(VALU_DEP_4)
	v_or_b32_e32 v75, 2, v5
	v_or_b32_e32 v74, 1, v5
	;; [unrolled: 1-line block ×3, first 2 shown]
	v_mul_hi_u32 v1, s4, v16
	s_delay_alu instid0(VALU_DEP_4) | instskip(NEXT) | instid1(VALU_DEP_3)
	v_and_b32_e32 v15, 6, v75
	v_and_b32_e32 v18, 7, v76
	v_lshlrev_b32_e32 v76, 8, v76
	s_waitcnt lgkmcnt(0)
	s_mul_i32 s3, s33, s10
	s_mul_i32 s4, s12, s9
	s_delay_alu instid0(VALU_DEP_4) | instskip(NEXT) | instid1(VALU_DEP_1)
	v_add_nc_u32_e32 v0, v16, v1
	v_lshrrev_b32_e32 v0, s5, v0
	s_ashr_i32 s5, s3, 31
	s_add_u32 s3, s16, s3
	s_addc_u32 s5, s17, s5
	s_ashr_i32 s10, s4, 31
	s_add_u32 s3, s3, s4
	s_addc_u32 s4, s5, s10
	s_ashr_i32 s5, s8, 31
	v_mul_lo_u32 v0, v0, s6
	v_alignbit_b32 v2, s5, s8, 2
	s_ashr_i32 s8, s9, 31
	s_lshr_b32 s5, s5, 2
	v_alignbit_b32 v12, s8, s9, 2
	s_lshr_b32 s8, s8, 2
	s_cmp_eq_u64 s[26:27], 0
	s_delay_alu instid0(VALU_DEP_3) | instskip(NEXT) | instid1(VALU_DEP_2)
	v_sub_nc_u32_e32 v6, v16, v0
	v_mad_u64_u32 v[7:8], null, v12, v15, 0
	v_and_b32_e32 v14, 5, v74
	v_mad_u64_u32 v[30:31], null, v12, v18, 0
	s_delay_alu instid0(VALU_DEP_4) | instskip(NEXT) | instid1(VALU_DEP_3)
	v_mad_u64_u32 v[0:1], null, v2, v6, 0
	v_mad_u64_u32 v[2:3], null, v12, v14, 0
	v_lshlrev_b32_e32 v74, 8, v74
	s_delay_alu instid0(VALU_DEP_2) | instskip(NEXT) | instid1(VALU_DEP_3)
	v_mad_u64_u32 v[9:10], null, s5, v6, v[1:2]
	v_mov_b32_e32 v1, v3
	v_dual_mov_b32 v3, v8 :: v_dual_mov_b32 v8, v31
	v_and_b32_e32 v32, 4, v5
	s_delay_alu instid0(VALU_DEP_1) | instskip(NEXT) | instid1(VALU_DEP_4)
	v_mad_u64_u32 v[10:11], null, v12, v32, 0
	v_mad_u64_u32 v[12:13], null, s8, v14, v[1:2]
	v_mov_b32_e32 v1, v9
	v_mul_lo_u32 v19, s8, v32
	v_mad_u64_u32 v[13:14], null, s8, v15, v[3:4]
	s_delay_alu instid0(VALU_DEP_3)
	v_lshlrev_b64 v[0:1], 2, v[0:1]
	v_mov_b32_e32 v3, v12
	v_mad_u64_u32 v[14:15], null, s8, v18, v[8:9]
	v_or_b32_e32 v11, v11, v19
	v_dual_mov_b32 v8, v13 :: v_dual_lshlrev_b32 v19, 4, v17
	v_add_co_u32 v0, vcc_lo, s3, v0
	v_add_co_ci_u32_e32 v1, vcc_lo, s4, v1, vcc_lo
	s_delay_alu instid0(VALU_DEP_4) | instskip(NEXT) | instid1(VALU_DEP_3)
	v_lshlrev_b64 v[9:10], 2, v[10:11]
	v_add_co_u32 v33, vcc_lo, v0, v19
	s_delay_alu instid0(VALU_DEP_3) | instskip(SKIP_2) | instid1(VALU_DEP_4)
	v_add_co_ci_u32_e32 v50, vcc_lo, 0, v1, vcc_lo
	v_lshlrev_b64 v[0:1], 2, v[2:3]
	v_mov_b32_e32 v31, v14
	v_add_co_u32 v18, vcc_lo, v33, v9
	v_lshlrev_b64 v[26:27], 2, v[7:8]
	v_add_co_ci_u32_e32 v19, vcc_lo, v50, v10, vcc_lo
	v_add_co_u32 v38, vcc_lo, v33, v0
	v_lshlrev_b64 v[30:31], 2, v[30:31]
	v_add_co_ci_u32_e32 v39, vcc_lo, v50, v1, vcc_lo
	v_add_co_u32 v54, vcc_lo, v33, v26
	v_add_co_ci_u32_e32 v55, vcc_lo, v50, v27, vcc_lo
	global_load_b128 v[0:3], v[18:19], off
	v_add_co_u32 v30, vcc_lo, v33, v30
	s_clause 0x4
	global_load_b128 v[8:11], v[18:19], off offset:512
	global_load_b128 v[12:15], v[18:19], off offset:1024
	;; [unrolled: 1-line block ×3, first 2 shown]
	global_load_b128 v[22:25], v[38:39], off
	global_load_b128 v[26:29], v[38:39], off offset:512
	v_add_co_ci_u32_e32 v31, vcc_lo, v50, v31, vcc_lo
	s_clause 0x9
	global_load_b128 v[34:37], v[38:39], off offset:1024
	global_load_b128 v[38:41], v[38:39], off offset:1536
	global_load_b128 v[42:45], v[54:55], off
	global_load_b128 v[46:49], v[54:55], off offset:512
	global_load_b128 v[50:53], v[54:55], off offset:1024
	;; [unrolled: 1-line block ×3, first 2 shown]
	global_load_b128 v[58:61], v[30:31], off
	global_load_b128 v[62:65], v[30:31], off offset:512
	global_load_b128 v[66:69], v[30:31], off offset:1024
	;; [unrolled: 1-line block ×3, first 2 shown]
	v_lshlrev_b32_e32 v30, 1, v17
	s_load_b32 s4, s[0:1], 0x40
	v_lshlrev_b32_e32 v7, 10, v4
	v_lshlrev_b32_e32 v33, 3, v17
	s_mov_b32 s3, 0
	v_add_lshl_u32 v106, v74, v30, 2
	v_add_lshl_u32 v107, v76, v30, 2
	v_or_b32_e32 v31, v7, v30
	v_lshl_or_b32 v105, v75, 10, v33
	s_delay_alu instid0(VALU_DEP_2)
	v_lshlrev_b32_e32 v104, 2, v31
	s_waitcnt vmcnt(14) lgkmcnt(0)
	v_fma_mixlo_f16 v74, v8, s4, 0
	v_fma_mixlo_f16 v30, v0, s4, 0
	v_fma_mixlo_f16 v31, v2, s4, 0
	v_fma_mixlo_f16 v75, v10, s4, 0
	s_waitcnt vmcnt(13)
	v_fma_mixlo_f16 v76, v12, s4, 0
	v_fma_mixlo_f16 v77, v14, s4, 0
	s_waitcnt vmcnt(12)
	v_fma_mixlo_f16 v78, v18, s4, 0
	v_fma_mixlo_f16 v79, v20, s4, 0
	;; [unrolled: 3-line block ×14, first 2 shown]
	v_fma_mixhi_f16 v31, v3, s4, 0
	v_fma_mixhi_f16 v30, v1, s4, 0
	;; [unrolled: 1-line block ×32, first 2 shown]
	ds_store_2addr_b64 v104, v[30:31], v[74:75] offset1:32
	ds_store_2addr_b64 v104, v[76:77], v[78:79] offset0:64 offset1:96
	ds_store_2addr_b64 v106, v[80:81], v[82:83] offset1:32
	ds_store_2addr_b64 v106, v[84:85], v[86:87] offset0:64 offset1:96
	ds_store_2addr_b64 v105, v[88:89], v[90:91] offset1:32
	ds_store_2addr_b64 v105, v[92:93], v[94:95] offset0:64 offset1:96
	ds_store_2addr_b64 v107, v[96:97], v[98:99] offset1:32
	ds_store_2addr_b64 v107, v[100:101], v[102:103] offset0:64 offset1:96
	s_waitcnt lgkmcnt(0)
	s_barrier
	buffer_gl0_inv
	s_cbranch_scc1 .LBB26_4
; %bb.3:
	s_load_b32 s2, s[0:1], 0xd0
	s_waitcnt lgkmcnt(0)
	s_mul_i32 s2, s2, s33
	s_delay_alu instid0(SALU_CYCLE_1) | instskip(NEXT) | instid1(SALU_CYCLE_1)
	s_add_i32 s2, s2, s13
	s_lshl_b64 s[2:3], s[2:3], 2
	s_delay_alu instid0(SALU_CYCLE_1)
	s_add_u32 s2, s26, s2
	s_addc_u32 s3, s27, s3
	s_load_b32 s2, s[2:3], 0x0
.LBB26_4:
	v_lshlrev_b32_e32 v31, 2, v17
	v_mbcnt_lo_u32_b32 v34, -1, 0
	s_lshl_b32 s3, s14, 7
	s_waitcnt lgkmcnt(0)
	s_cmp_lt_i32 s3, s2
	s_cbranch_scc1 .LBB26_6
; %bb.5:
	v_mbcnt_lo_u32_b32 v8, -1, 0
	v_mov_b32_e32 v35, 32
	s_mov_b32 s4, 0
	s_mov_b32 s5, 0xfeffffff
	s_delay_alu instid0(VALU_DEP_2)
	v_xor_b32_e32 v51, 16, v8
	v_xor_b32_e32 v15, 8, v8
	;; [unrolled: 1-line block ×5, first 2 shown]
	s_branch .LBB26_7
.LBB26_6:
	s_mov_b32 s4, -1
                                        ; implicit-def: $sgpr5
                                        ; implicit-def: $vgpr8
                                        ; implicit-def: $vgpr35
                                        ; implicit-def: $vgpr51
                                        ; implicit-def: $vgpr15
                                        ; implicit-def: $vgpr14
                                        ; implicit-def: $vgpr13
                                        ; implicit-def: $vgpr12
.LBB26_7:
	s_delay_alu instid0(SALU_CYCLE_1) | instskip(SKIP_2) | instid1(VALU_DEP_3)
	v_cndmask_b32_e64 v0, 0, 1, s4
	v_dual_mov_b32 v3, s5 :: v_dual_mov_b32 v86, s4
	v_dual_mov_b32 v69, s4 :: v_dual_mov_b32 v2, s5
	v_cmp_ne_u32_e32 vcc_lo, 1, v0
	v_dual_mov_b32 v1, s5 :: v_dual_mov_b32 v0, s5
	v_dual_mov_b32 v84, s4 :: v_dual_mov_b32 v83, s4
	v_dual_mov_b32 v82, s4 :: v_dual_mov_b32 v81, s4
	v_dual_mov_b32 v80, s4 :: v_dual_mov_b32 v77, s4
	v_dual_mov_b32 v78, s4 :: v_dual_mov_b32 v79, s4
	v_dual_mov_b32 v75, s4 :: v_dual_mov_b32 v76, s4
	v_dual_mov_b32 v66, s4 :: v_dual_mov_b32 v71, s4
	v_dual_mov_b32 v74, s4 :: v_dual_mov_b32 v73, s4
	v_dual_mov_b32 v70, s4 :: v_dual_mov_b32 v67, s4
	v_dual_mov_b32 v72, s4 :: v_dual_mov_b32 v61, s4
	v_dual_mov_b32 v68, s4 :: v_dual_mov_b32 v65, s4
	v_dual_mov_b32 v62, s4 :: v_dual_mov_b32 v63, s4
	v_dual_mov_b32 v64, s4 :: v_dual_mov_b32 v59, s4
	v_dual_mov_b32 v60, s4 :: v_dual_mov_b32 v57, s4
	v_dual_mov_b32 v58, s4 :: v_dual_mov_b32 v53, s4
	v_dual_mov_b32 v56, s4 :: v_dual_mov_b32 v55, s4
	v_dual_mov_b32 v52, s4 :: v_dual_mov_b32 v49, s4
	v_mov_b32_e32 v54, s4
	v_mov_b32_e32 v50, s4
	s_cbranch_vccnz .LBB26_80
; %bb.8:
	s_clause 0x1
	s_load_b128 s[8:11], s[0:1], 0x98
	s_load_b64 s[4:5], s[0:1], 0x8c
	s_sub_i32 s13, 0, s15
	s_abs_i32 s22, s12
	s_mul_i32 s13, s13, s39
	s_ashr_i32 s27, s37, 1
	s_mul_hi_u32 s13, s39, s13
	s_ashr_i32 s37, s33, 31
	s_add_i32 s39, s39, s13
	s_ashr_i32 s23, s12, 31
	s_mul_hi_u32 s36, s22, s39
	s_ashr_i32 s26, s38, 31
	s_load_b64 s[16:17], s[0:1], 0xa8
	s_mul_i32 s38, s36, s15
	v_lshrrev_b32_e32 v0, 3, v17
	v_dual_mov_b32 v49, 0 :: v_dual_and_b32 v14, 28, v31
	v_mov_b32_e32 v50, 0
	s_delay_alu instid0(VALU_DEP_3)
	v_dual_mov_b32 v54, 0 :: v_dual_add_nc_u32 v1, v0, v5
	s_waitcnt lgkmcnt(0)
	s_mul_i32 s39, s37, s8
	s_ashr_i32 s13, s4, 2
	s_mul_i32 s4, s33, s9
	s_mul_hi_u32 s9, s33, s8
	s_mul_i32 s8, s33, s8
	s_add_i32 s4, s9, s4
	s_ashr_i32 s10, s10, 2
	s_add_i32 s4, s4, s39
	s_add_u32 s8, s18, s8
	s_addc_u32 s4, s19, s4
	s_sub_i32 s18, s22, s38
	s_xor_b32 s9, s23, s26
	s_add_i32 s19, s36, 1
	s_sub_i32 s22, s18, s15
	s_cmp_ge_u32 s18, s15
	s_mul_i32 s17, s33, s17
	s_cselect_b32 s19, s19, s36
	s_cselect_b32 s18, s22, s18
	s_add_i32 s22, s19, 1
	s_cmp_ge_u32 s18, s15
	s_mul_hi_u32 s18, s33, s16
	s_cselect_b32 s15, s22, s19
	s_mul_i32 s37, s37, s16
	s_xor_b32 s15, s15, s9
	s_mul_i32 s19, s33, s16
	s_sub_i32 s9, s15, s9
	v_mul_lo_u32 v0, s13, v1
	s_mul_i32 s5, s9, s5
	v_lshlrev_b32_e32 v3, 2, v14
	s_ashr_i32 s16, s5, 31
	s_add_u32 s15, s8, s5
	s_addc_u32 s16, s4, s16
	s_add_i32 s4, s18, s17
	s_mul_i32 s9, s9, s11
	s_add_i32 s4, s4, s37
	s_add_u32 s5, s20, s19
	s_addc_u32 s4, s21, s4
	s_ashr_i32 s8, s9, 31
	s_add_u32 s11, s5, s9
	v_mad_u32_u24 v5, 0x90, v1, v3
	s_addc_u32 s17, s4, s8
	s_lshl_b32 s4, s13, 5
	v_dual_mov_b32 v59, 0 :: v_dual_lshlrev_b32 v40, 2, v31
	v_dual_mov_b32 v93, 0xfeffffff :: v_dual_add_nc_u32 v2, s4, v0
	v_dual_mov_b32 v55, 0 :: v_dual_add_nc_u32 v36, 0x8000, v5
	;; [unrolled: 1-line block ×5, first 2 shown]
	v_mul_lo_u32 v5, s10, v4
	v_dual_mov_b32 v35, 32 :: v_dual_add_nc_u32 v8, s4, v2
	s_load_b32 s18, s[0:1], 0x54
	v_dual_mov_b32 v58, 0 :: v_dual_add_nc_u32 v13, v7, v40
	s_delay_alu instid0(VALU_DEP_2) | instskip(NEXT) | instid1(VALU_DEP_4)
	v_dual_mov_b32 v53, 0 :: v_dual_add_nc_u32 v10, s4, v8
	v_lshl_add_u32 v12, s10, 3, v5
	v_ashrrev_i32_e32 v1, 31, v0
	v_ashrrev_i32_e32 v3, 31, v2
	;; [unrolled: 1-line block ×4, first 2 shown]
	v_mad_u64_u32 v[18:19], null, v6, s27, v[17:18]
	v_dual_mov_b32 v65, 0 :: v_dual_add_nc_u32 v44, 0x8000, v13
	v_ashrrev_i32_e32 v6, 31, v5
	v_dual_mov_b32 v64, 0 :: v_dual_add_nc_u32 v45, 0x8200, v13
	v_ashrrev_i32_e32 v13, 31, v12
	v_dual_mov_b32 v63, 0 :: v_dual_lshlrev_b32 v42, 12, v4
	v_lshl_add_u32 v4, v4, 10, v40
	v_lshlrev_b64 v[19:20], 2, v[0:1]
	v_lshlrev_b64 v[21:22], 2, v[2:3]
	;; [unrolled: 1-line block ×6, first 2 shown]
	v_mul_u32_u24_e32 v41, 0x90, v17
	v_dual_mov_b32 v60, 0 :: v_dual_add_nc_u32 v43, 0xc800, v7
	v_dual_mov_b32 v61, 0 :: v_dual_add_nc_u32 v46, 0xa000, v4
	;; [unrolled: 1-line block ×3, first 2 shown]
	v_dual_mov_b32 v67, 0 :: v_dual_lshlrev_b32 v48, 2, v14
	v_dual_mov_b32 v68, 0 :: v_dual_mov_b32 v73, 0
	v_dual_mov_b32 v72, 0 :: v_dual_mov_b32 v71, 0
	;; [unrolled: 1-line block ×11, first 2 shown]
	s_add_u32 s4, s0, 0xd0
	s_addc_u32 s5, s1, 0
	s_mov_b32 s9, 0
	s_mov_b32 s19, 0xbbbac73d
.LBB26_9:                               ; =>This Loop Header: Depth=1
                                        ;     Child Loop BB26_11 Depth 2
	s_mul_hi_i32 s21, s3, s13
	s_mul_i32 s20, s3, s13
	v_dual_mov_b32 v51, 0 :: v_dual_mov_b32 v100, 0
	s_lshl_b64 s[20:21], s[20:21], 2
	v_dual_mov_b32 v94, 0 :: v_dual_mov_b32 v101, 0
	v_dual_mov_b32 v84, 0 :: v_dual_mov_b32 v103, 0
	;; [unrolled: 1-line block ×6, first 2 shown]
	v_mov_b32_e32 v104, 0
	v_mov_b32_e32 v82, 0
	s_add_u32 s20, s15, s20
	s_addc_u32 s21, s16, s21
	s_mov_b32 s22, s9
	s_branch .LBB26_11
.LBB26_10:                              ;   in Loop: Header=BB26_11 Depth=2
	s_and_b32 vcc_lo, exec_lo, s8
	s_addk_i32 s22, 0x100
	s_cbranch_vccnz .LBB26_13
.LBB26_11:                              ;   Parent Loop BB26_9 Depth=1
                                        ; =>  This Inner Loop Header: Depth=2
	s_lshr_b32 s8, s22, 1
	s_delay_alu instid0(SALU_CYCLE_1) | instskip(NEXT) | instid1(SALU_CYCLE_1)
	s_lshl_b64 s[26:27], s[8:9], 2
	s_add_u32 s8, s20, s26
	s_addc_u32 s23, s21, s27
	v_add_co_u32 v0, vcc_lo, s8, v19
	v_add_co_ci_u32_e32 v1, vcc_lo, s23, v20, vcc_lo
	v_add_co_u32 v2, vcc_lo, s8, v21
	v_add_co_ci_u32_e32 v3, vcc_lo, s23, v22, vcc_lo
	s_delay_alu instid0(VALU_DEP_4) | instskip(NEXT) | instid1(VALU_DEP_4)
	v_add_co_u32 v0, vcc_lo, v0, v48
	v_add_co_ci_u32_e32 v1, vcc_lo, 0, v1, vcc_lo
	s_delay_alu instid0(VALU_DEP_4) | instskip(NEXT) | instid1(VALU_DEP_4)
	v_add_co_u32 v2, vcc_lo, v2, v48
	v_add_co_ci_u32_e32 v3, vcc_lo, 0, v3, vcc_lo
	v_add_co_u32 v4, vcc_lo, s8, v23
	v_add_co_ci_u32_e32 v5, vcc_lo, s23, v24, vcc_lo
	;; [unrolled: 2-line block ×3, first 2 shown]
	s_delay_alu instid0(VALU_DEP_4) | instskip(NEXT) | instid1(VALU_DEP_4)
	v_add_co_u32 v4, vcc_lo, v4, v48
	v_add_co_ci_u32_e32 v5, vcc_lo, 0, v5, vcc_lo
	s_delay_alu instid0(VALU_DEP_4) | instskip(NEXT) | instid1(VALU_DEP_4)
	v_add_co_u32 v6, vcc_lo, v6, v48
	v_add_co_ci_u32_e32 v7, vcc_lo, 0, v7, vcc_lo
	s_clause 0x3
	global_load_b128 v[9:12], v[0:1], off
	global_load_b128 v[105:108], v[2:3], off
	;; [unrolled: 1-line block ×4, first 2 shown]
	s_lshl_b32 s8, s22, 1
	s_or_b32 s23, s22, 0xc0
	v_add_nc_u32_e32 v8, s8, v42
	s_waitcnt vmcnt(3)
	ds_store_b128 v36, v[9:12]
	s_waitcnt vmcnt(2)
	ds_store_b128 v37, v[105:108]
	;; [unrolled: 2-line block ×4, first 2 shown]
	s_waitcnt lgkmcnt(0)
	s_barrier
	buffer_gl0_inv
	ds_load_b128 v[9:12], v41 offset:32768
	ds_load_b128 v[105:108], v8
	ds_load_b128 v[109:112], v8 offset:1024
	ds_load_b128 v[113:116], v8 offset:2048
	;; [unrolled: 1-line block ×6, first 2 shown]
	s_waitcnt lgkmcnt(6)
	;;#ASMSTART
	v_dot2_f32_f16 v51, v9, v105, v51
	;;#ASMEND
	;;#ASMSTART
	v_dot2_f32_f16 v51, v10, v106, v51
	;;#ASMEND
	;;#ASMSTART
	v_dot2_f32_f16 v51, v11, v107, v51
	;;#ASMEND
	;;#ASMSTART
	v_dot2_f32_f16 v51, v12, v108, v51
	;;#ASMEND
	s_waitcnt lgkmcnt(5)
	;;#ASMSTART
	v_dot2_f32_f16 v100, v9, v109, v100
	;;#ASMEND
	;;#ASMSTART
	v_dot2_f32_f16 v100, v10, v110, v100
	;;#ASMEND
	;;#ASMSTART
	v_dot2_f32_f16 v100, v11, v111, v100
	;;#ASMEND
	;;#ASMSTART
	v_dot2_f32_f16 v100, v12, v112, v100
	;;#ASMEND
	;; [unrolled: 13-line block ×5, first 2 shown]
	;;#ASMSTART
	v_dot2_f32_f16 v101, v121, v109, v101
	;;#ASMEND
	;;#ASMSTART
	v_dot2_f32_f16 v101, v122, v110, v101
	;;#ASMEND
	;; [unrolled: 3-line block ×12, first 2 shown]
	s_waitcnt lgkmcnt(1)
	;;#ASMSTART
	v_dot2_f32_f16 v103, v125, v105, v103
	;;#ASMEND
	;;#ASMSTART
	v_dot2_f32_f16 v103, v126, v106, v103
	;;#ASMEND
	;; [unrolled: 3-line block ×16, first 2 shown]
	s_waitcnt lgkmcnt(0)
	;;#ASMSTART
	v_dot2_f32_f16 v104, v129, v105, v104
	;;#ASMEND
	;;#ASMSTART
	v_dot2_f32_f16 v104, v130, v106, v104
	;;#ASMEND
	;; [unrolled: 3-line block ×16, first 2 shown]
	ds_load_b128 v[9:12], v41 offset:32784
	ds_load_b128 v[105:108], v8 offset:16
	;; [unrolled: 1-line block ×8, first 2 shown]
	s_waitcnt lgkmcnt(6)
	;;#ASMSTART
	v_dot2_f32_f16 v51, v9, v105, v51
	;;#ASMEND
	;;#ASMSTART
	v_dot2_f32_f16 v51, v10, v106, v51
	;;#ASMEND
	;;#ASMSTART
	v_dot2_f32_f16 v51, v11, v107, v51
	;;#ASMEND
	;;#ASMSTART
	v_dot2_f32_f16 v51, v12, v108, v51
	;;#ASMEND
	s_waitcnt lgkmcnt(5)
	;;#ASMSTART
	v_dot2_f32_f16 v100, v9, v109, v100
	;;#ASMEND
	;;#ASMSTART
	v_dot2_f32_f16 v100, v10, v110, v100
	;;#ASMEND
	;;#ASMSTART
	v_dot2_f32_f16 v100, v11, v111, v100
	;;#ASMEND
	;;#ASMSTART
	v_dot2_f32_f16 v100, v12, v112, v100
	;;#ASMEND
	;; [unrolled: 13-line block ×5, first 2 shown]
	;;#ASMSTART
	v_dot2_f32_f16 v101, v121, v109, v101
	;;#ASMEND
	;;#ASMSTART
	v_dot2_f32_f16 v101, v122, v110, v101
	;;#ASMEND
	;; [unrolled: 3-line block ×12, first 2 shown]
	s_waitcnt lgkmcnt(1)
	;;#ASMSTART
	v_dot2_f32_f16 v103, v125, v105, v103
	;;#ASMEND
	;;#ASMSTART
	v_dot2_f32_f16 v103, v126, v106, v103
	;;#ASMEND
	;;#ASMSTART
	v_dot2_f32_f16 v103, v127, v107, v103
	;;#ASMEND
	;;#ASMSTART
	v_dot2_f32_f16 v103, v128, v108, v103
	;;#ASMEND
	;;#ASMSTART
	v_dot2_f32_f16 v98, v125, v109, v98
	;;#ASMEND
	;;#ASMSTART
	v_dot2_f32_f16 v98, v126, v110, v98
	;;#ASMEND
	;;#ASMSTART
	v_dot2_f32_f16 v98, v127, v111, v98
	;;#ASMEND
	;;#ASMSTART
	v_dot2_f32_f16 v98, v128, v112, v98
	;;#ASMEND
	;;#ASMSTART
	v_dot2_f32_f16 v97, v125, v113, v97
	;;#ASMEND
	;;#ASMSTART
	v_dot2_f32_f16 v97, v126, v114, v97
	;;#ASMEND
	;;#ASMSTART
	v_dot2_f32_f16 v97, v127, v115, v97
	;;#ASMEND
	;;#ASMSTART
	v_dot2_f32_f16 v97, v128, v116, v97
	;;#ASMEND
	;;#ASMSTART
	v_dot2_f32_f16 v83, v125, v117, v83
	;;#ASMEND
	;;#ASMSTART
	v_dot2_f32_f16 v83, v126, v118, v83
	;;#ASMEND
	;;#ASMSTART
	v_dot2_f32_f16 v83, v127, v119, v83
	;;#ASMEND
	;;#ASMSTART
	v_dot2_f32_f16 v83, v128, v120, v83
	;;#ASMEND
	s_waitcnt lgkmcnt(0)
	;;#ASMSTART
	v_dot2_f32_f16 v104, v129, v105, v104
	;;#ASMEND
	;;#ASMSTART
	v_dot2_f32_f16 v104, v130, v106, v104
	;;#ASMEND
	;; [unrolled: 3-line block ×16, first 2 shown]
	ds_load_b128 v[9:12], v41 offset:32800
	ds_load_b128 v[105:108], v8 offset:32
	;; [unrolled: 1-line block ×8, first 2 shown]
	s_waitcnt lgkmcnt(6)
	;;#ASMSTART
	v_dot2_f32_f16 v51, v9, v105, v51
	;;#ASMEND
	;;#ASMSTART
	v_dot2_f32_f16 v51, v10, v106, v51
	;;#ASMEND
	;;#ASMSTART
	v_dot2_f32_f16 v51, v11, v107, v51
	;;#ASMEND
	;;#ASMSTART
	v_dot2_f32_f16 v51, v12, v108, v51
	;;#ASMEND
	s_waitcnt lgkmcnt(5)
	;;#ASMSTART
	v_dot2_f32_f16 v100, v9, v109, v100
	;;#ASMEND
	;;#ASMSTART
	v_dot2_f32_f16 v100, v10, v110, v100
	;;#ASMEND
	;;#ASMSTART
	v_dot2_f32_f16 v100, v11, v111, v100
	;;#ASMEND
	;;#ASMSTART
	v_dot2_f32_f16 v100, v12, v112, v100
	;;#ASMEND
	;; [unrolled: 13-line block ×5, first 2 shown]
	;;#ASMSTART
	v_dot2_f32_f16 v101, v121, v109, v101
	;;#ASMEND
	;;#ASMSTART
	v_dot2_f32_f16 v101, v122, v110, v101
	;;#ASMEND
	;; [unrolled: 3-line block ×12, first 2 shown]
	s_waitcnt lgkmcnt(1)
	;;#ASMSTART
	v_dot2_f32_f16 v103, v125, v105, v103
	;;#ASMEND
	;;#ASMSTART
	v_dot2_f32_f16 v103, v126, v106, v103
	;;#ASMEND
	;; [unrolled: 3-line block ×16, first 2 shown]
	s_waitcnt lgkmcnt(0)
	;;#ASMSTART
	v_dot2_f32_f16 v104, v129, v105, v104
	;;#ASMEND
	;;#ASMSTART
	v_dot2_f32_f16 v104, v130, v106, v104
	;;#ASMEND
	;; [unrolled: 3-line block ×16, first 2 shown]
	ds_load_b128 v[9:12], v41 offset:32816
	ds_load_b128 v[105:108], v8 offset:48
	;; [unrolled: 1-line block ×8, first 2 shown]
	s_waitcnt lgkmcnt(6)
	;;#ASMSTART
	v_dot2_f32_f16 v51, v9, v105, v51
	;;#ASMEND
	;;#ASMSTART
	v_dot2_f32_f16 v51, v10, v106, v51
	;;#ASMEND
	;;#ASMSTART
	v_dot2_f32_f16 v51, v11, v107, v51
	;;#ASMEND
	;;#ASMSTART
	v_dot2_f32_f16 v51, v12, v108, v51
	;;#ASMEND
	s_waitcnt lgkmcnt(5)
	;;#ASMSTART
	v_dot2_f32_f16 v100, v9, v109, v100
	;;#ASMEND
	;;#ASMSTART
	v_dot2_f32_f16 v100, v10, v110, v100
	;;#ASMEND
	;;#ASMSTART
	v_dot2_f32_f16 v100, v11, v111, v100
	;;#ASMEND
	;;#ASMSTART
	v_dot2_f32_f16 v100, v12, v112, v100
	;;#ASMEND
	;; [unrolled: 13-line block ×5, first 2 shown]
	;;#ASMSTART
	v_dot2_f32_f16 v101, v121, v109, v101
	;;#ASMEND
	;;#ASMSTART
	v_dot2_f32_f16 v101, v122, v110, v101
	;;#ASMEND
	;; [unrolled: 3-line block ×12, first 2 shown]
	s_waitcnt lgkmcnt(1)
	;;#ASMSTART
	v_dot2_f32_f16 v103, v125, v105, v103
	;;#ASMEND
	;;#ASMSTART
	v_dot2_f32_f16 v103, v126, v106, v103
	;;#ASMEND
	;; [unrolled: 3-line block ×16, first 2 shown]
	s_waitcnt lgkmcnt(0)
	;;#ASMSTART
	v_dot2_f32_f16 v104, v129, v105, v104
	;;#ASMEND
	;;#ASMSTART
	v_dot2_f32_f16 v104, v130, v106, v104
	;;#ASMEND
	;; [unrolled: 3-line block ×16, first 2 shown]
	ds_load_b128 v[9:12], v41 offset:32832
	ds_load_b128 v[105:108], v8 offset:64
	;; [unrolled: 1-line block ×8, first 2 shown]
	s_waitcnt lgkmcnt(6)
	;;#ASMSTART
	v_dot2_f32_f16 v51, v9, v105, v51
	;;#ASMEND
	;;#ASMSTART
	v_dot2_f32_f16 v51, v10, v106, v51
	;;#ASMEND
	;;#ASMSTART
	v_dot2_f32_f16 v51, v11, v107, v51
	;;#ASMEND
	;;#ASMSTART
	v_dot2_f32_f16 v51, v12, v108, v51
	;;#ASMEND
	s_waitcnt lgkmcnt(5)
	;;#ASMSTART
	v_dot2_f32_f16 v100, v9, v109, v100
	;;#ASMEND
	;;#ASMSTART
	v_dot2_f32_f16 v100, v10, v110, v100
	;;#ASMEND
	;;#ASMSTART
	v_dot2_f32_f16 v100, v11, v111, v100
	;;#ASMEND
	;;#ASMSTART
	v_dot2_f32_f16 v100, v12, v112, v100
	;;#ASMEND
	;; [unrolled: 13-line block ×5, first 2 shown]
	;;#ASMSTART
	v_dot2_f32_f16 v101, v121, v109, v101
	;;#ASMEND
	;;#ASMSTART
	v_dot2_f32_f16 v101, v122, v110, v101
	;;#ASMEND
	;; [unrolled: 3-line block ×12, first 2 shown]
	s_waitcnt lgkmcnt(1)
	;;#ASMSTART
	v_dot2_f32_f16 v103, v125, v105, v103
	;;#ASMEND
	;;#ASMSTART
	v_dot2_f32_f16 v103, v126, v106, v103
	;;#ASMEND
	;; [unrolled: 3-line block ×16, first 2 shown]
	s_waitcnt lgkmcnt(0)
	;;#ASMSTART
	v_dot2_f32_f16 v104, v129, v105, v104
	;;#ASMEND
	;;#ASMSTART
	v_dot2_f32_f16 v104, v130, v106, v104
	;;#ASMEND
	;; [unrolled: 3-line block ×16, first 2 shown]
	ds_load_b128 v[9:12], v41 offset:32848
	ds_load_b128 v[105:108], v8 offset:80
	;; [unrolled: 1-line block ×8, first 2 shown]
	s_waitcnt lgkmcnt(6)
	;;#ASMSTART
	v_dot2_f32_f16 v51, v9, v105, v51
	;;#ASMEND
	;;#ASMSTART
	v_dot2_f32_f16 v51, v10, v106, v51
	;;#ASMEND
	;;#ASMSTART
	v_dot2_f32_f16 v51, v11, v107, v51
	;;#ASMEND
	;;#ASMSTART
	v_dot2_f32_f16 v51, v12, v108, v51
	;;#ASMEND
	s_waitcnt lgkmcnt(5)
	;;#ASMSTART
	v_dot2_f32_f16 v100, v9, v109, v100
	;;#ASMEND
	;;#ASMSTART
	v_dot2_f32_f16 v100, v10, v110, v100
	;;#ASMEND
	;;#ASMSTART
	v_dot2_f32_f16 v100, v11, v111, v100
	;;#ASMEND
	;;#ASMSTART
	v_dot2_f32_f16 v100, v12, v112, v100
	;;#ASMEND
	;; [unrolled: 13-line block ×5, first 2 shown]
	;;#ASMSTART
	v_dot2_f32_f16 v101, v121, v109, v101
	;;#ASMEND
	;;#ASMSTART
	v_dot2_f32_f16 v101, v122, v110, v101
	;;#ASMEND
	;;#ASMSTART
	v_dot2_f32_f16 v101, v123, v111, v101
	;;#ASMEND
	;;#ASMSTART
	v_dot2_f32_f16 v101, v124, v112, v101
	;;#ASMEND
	;;#ASMSTART
	v_dot2_f32_f16 v96, v121, v113, v96
	;;#ASMEND
	;;#ASMSTART
	v_dot2_f32_f16 v96, v122, v114, v96
	;;#ASMEND
	;;#ASMSTART
	v_dot2_f32_f16 v96, v123, v115, v96
	;;#ASMEND
	;;#ASMSTART
	v_dot2_f32_f16 v96, v124, v116, v96
	;;#ASMEND
	;;#ASMSTART
	v_dot2_f32_f16 v86, v121, v117, v86
	;;#ASMEND
	;;#ASMSTART
	v_dot2_f32_f16 v86, v122, v118, v86
	;;#ASMEND
	;;#ASMSTART
	v_dot2_f32_f16 v86, v123, v119, v86
	;;#ASMEND
	;;#ASMSTART
	v_dot2_f32_f16 v86, v124, v120, v86
	;;#ASMEND
	s_waitcnt lgkmcnt(1)
	;;#ASMSTART
	v_dot2_f32_f16 v103, v125, v105, v103
	;;#ASMEND
	;;#ASMSTART
	v_dot2_f32_f16 v103, v126, v106, v103
	;;#ASMEND
	;; [unrolled: 3-line block ×16, first 2 shown]
	s_waitcnt lgkmcnt(0)
	;;#ASMSTART
	v_dot2_f32_f16 v104, v129, v105, v104
	;;#ASMEND
	;;#ASMSTART
	v_dot2_f32_f16 v104, v130, v106, v104
	;;#ASMEND
	;; [unrolled: 3-line block ×16, first 2 shown]
	ds_load_b128 v[9:12], v41 offset:32864
	ds_load_b128 v[105:108], v8 offset:96
	;; [unrolled: 1-line block ×8, first 2 shown]
	s_waitcnt lgkmcnt(6)
	;;#ASMSTART
	v_dot2_f32_f16 v51, v9, v105, v51
	;;#ASMEND
	;;#ASMSTART
	v_dot2_f32_f16 v51, v10, v106, v51
	;;#ASMEND
	;;#ASMSTART
	v_dot2_f32_f16 v51, v11, v107, v51
	;;#ASMEND
	;;#ASMSTART
	v_dot2_f32_f16 v51, v12, v108, v51
	;;#ASMEND
	s_waitcnt lgkmcnt(5)
	;;#ASMSTART
	v_dot2_f32_f16 v100, v9, v109, v100
	;;#ASMEND
	;;#ASMSTART
	v_dot2_f32_f16 v100, v10, v110, v100
	;;#ASMEND
	;;#ASMSTART
	v_dot2_f32_f16 v100, v11, v111, v100
	;;#ASMEND
	;;#ASMSTART
	v_dot2_f32_f16 v100, v12, v112, v100
	;;#ASMEND
	;; [unrolled: 13-line block ×5, first 2 shown]
	;;#ASMSTART
	v_dot2_f32_f16 v101, v121, v109, v101
	;;#ASMEND
	;;#ASMSTART
	v_dot2_f32_f16 v101, v122, v110, v101
	;;#ASMEND
	;; [unrolled: 3-line block ×12, first 2 shown]
	s_waitcnt lgkmcnt(1)
	;;#ASMSTART
	v_dot2_f32_f16 v103, v125, v105, v103
	;;#ASMEND
	;;#ASMSTART
	v_dot2_f32_f16 v103, v126, v106, v103
	;;#ASMEND
	;; [unrolled: 3-line block ×16, first 2 shown]
	s_waitcnt lgkmcnt(0)
	;;#ASMSTART
	v_dot2_f32_f16 v104, v129, v105, v104
	;;#ASMEND
	;;#ASMSTART
	v_dot2_f32_f16 v104, v130, v106, v104
	;;#ASMEND
	;; [unrolled: 3-line block ×16, first 2 shown]
	ds_load_b128 v[9:12], v41 offset:32880
	ds_load_b128 v[105:108], v8 offset:112
	;; [unrolled: 1-line block ×8, first 2 shown]
	s_waitcnt lgkmcnt(6)
	;;#ASMSTART
	v_dot2_f32_f16 v51, v9, v105, v51
	;;#ASMEND
	;;#ASMSTART
	v_dot2_f32_f16 v51, v10, v106, v51
	;;#ASMEND
	;;#ASMSTART
	v_dot2_f32_f16 v51, v11, v107, v51
	;;#ASMEND
	;;#ASMSTART
	v_dot2_f32_f16 v51, v12, v108, v51
	;;#ASMEND
	s_waitcnt lgkmcnt(5)
	;;#ASMSTART
	v_dot2_f32_f16 v100, v9, v109, v100
	;;#ASMEND
	;;#ASMSTART
	v_dot2_f32_f16 v100, v10, v110, v100
	;;#ASMEND
	;;#ASMSTART
	v_dot2_f32_f16 v100, v11, v111, v100
	;;#ASMEND
	;;#ASMSTART
	v_dot2_f32_f16 v100, v12, v112, v100
	;;#ASMEND
	;; [unrolled: 13-line block ×5, first 2 shown]
	;;#ASMSTART
	v_dot2_f32_f16 v101, v121, v109, v101
	;;#ASMEND
	;;#ASMSTART
	v_dot2_f32_f16 v101, v122, v110, v101
	;;#ASMEND
	;; [unrolled: 3-line block ×12, first 2 shown]
	s_waitcnt lgkmcnt(1)
	;;#ASMSTART
	v_dot2_f32_f16 v103, v125, v105, v103
	;;#ASMEND
	;;#ASMSTART
	v_dot2_f32_f16 v103, v126, v106, v103
	;;#ASMEND
	;;#ASMSTART
	v_dot2_f32_f16 v103, v127, v107, v103
	;;#ASMEND
	;;#ASMSTART
	v_dot2_f32_f16 v103, v128, v108, v103
	;;#ASMEND
	;;#ASMSTART
	v_dot2_f32_f16 v98, v125, v109, v98
	;;#ASMEND
	;;#ASMSTART
	v_dot2_f32_f16 v98, v126, v110, v98
	;;#ASMEND
	;;#ASMSTART
	v_dot2_f32_f16 v98, v127, v111, v98
	;;#ASMEND
	;;#ASMSTART
	v_dot2_f32_f16 v98, v128, v112, v98
	;;#ASMEND
	;;#ASMSTART
	v_dot2_f32_f16 v97, v125, v113, v97
	;;#ASMEND
	;;#ASMSTART
	v_dot2_f32_f16 v97, v126, v114, v97
	;;#ASMEND
	;;#ASMSTART
	v_dot2_f32_f16 v97, v127, v115, v97
	;;#ASMEND
	;;#ASMSTART
	v_dot2_f32_f16 v97, v128, v116, v97
	;;#ASMEND
	;;#ASMSTART
	v_dot2_f32_f16 v83, v125, v117, v83
	;;#ASMEND
	;;#ASMSTART
	v_dot2_f32_f16 v83, v126, v118, v83
	;;#ASMEND
	;;#ASMSTART
	v_dot2_f32_f16 v83, v127, v119, v83
	;;#ASMEND
	;;#ASMSTART
	v_dot2_f32_f16 v83, v128, v120, v83
	;;#ASMEND
	s_waitcnt lgkmcnt(0)
	;;#ASMSTART
	v_dot2_f32_f16 v104, v129, v105, v104
	;;#ASMEND
	;;#ASMSTART
	v_dot2_f32_f16 v104, v130, v106, v104
	;;#ASMEND
	;; [unrolled: 3-line block ×16, first 2 shown]
	s_barrier
	buffer_gl0_inv
	s_clause 0x3
	global_load_b128 v[10:13], v[0:1], off offset:128
	global_load_b128 v[105:108], v[2:3], off offset:128
	;; [unrolled: 1-line block ×4, first 2 shown]
	v_add3_u32 v9, 0x80, s8, v42
	s_waitcnt vmcnt(3)
	ds_store_b128 v36, v[10:13]
	s_waitcnt vmcnt(2)
	ds_store_b128 v37, v[105:108]
	;; [unrolled: 2-line block ×4, first 2 shown]
	s_waitcnt lgkmcnt(0)
	s_barrier
	buffer_gl0_inv
	ds_load_b128 v[10:13], v41 offset:32768
	ds_load_b128 v[105:108], v8 offset:128
	;; [unrolled: 1-line block ×8, first 2 shown]
	s_waitcnt lgkmcnt(6)
	;;#ASMSTART
	v_dot2_f32_f16 v51, v10, v105, v51
	;;#ASMEND
	;;#ASMSTART
	v_dot2_f32_f16 v51, v11, v106, v51
	;;#ASMEND
	;;#ASMSTART
	v_dot2_f32_f16 v51, v12, v107, v51
	;;#ASMEND
	;;#ASMSTART
	v_dot2_f32_f16 v51, v13, v108, v51
	;;#ASMEND
	s_waitcnt lgkmcnt(5)
	;;#ASMSTART
	v_dot2_f32_f16 v100, v10, v109, v100
	;;#ASMEND
	;;#ASMSTART
	v_dot2_f32_f16 v100, v11, v110, v100
	;;#ASMEND
	;;#ASMSTART
	v_dot2_f32_f16 v100, v12, v111, v100
	;;#ASMEND
	;;#ASMSTART
	v_dot2_f32_f16 v100, v13, v112, v100
	;;#ASMEND
	;; [unrolled: 13-line block ×5, first 2 shown]
	;;#ASMSTART
	v_dot2_f32_f16 v101, v121, v109, v101
	;;#ASMEND
	;;#ASMSTART
	v_dot2_f32_f16 v101, v122, v110, v101
	;;#ASMEND
	;; [unrolled: 3-line block ×12, first 2 shown]
	s_waitcnt lgkmcnt(1)
	;;#ASMSTART
	v_dot2_f32_f16 v103, v125, v105, v103
	;;#ASMEND
	;;#ASMSTART
	v_dot2_f32_f16 v103, v126, v106, v103
	;;#ASMEND
	;; [unrolled: 3-line block ×16, first 2 shown]
	s_waitcnt lgkmcnt(0)
	;;#ASMSTART
	v_dot2_f32_f16 v104, v129, v105, v104
	;;#ASMEND
	;;#ASMSTART
	v_dot2_f32_f16 v104, v130, v106, v104
	;;#ASMEND
	;; [unrolled: 3-line block ×16, first 2 shown]
	ds_load_b128 v[10:13], v41 offset:32784
	ds_load_b128 v[105:108], v9 offset:16
	;; [unrolled: 1-line block ×8, first 2 shown]
	s_waitcnt lgkmcnt(6)
	;;#ASMSTART
	v_dot2_f32_f16 v51, v10, v105, v51
	;;#ASMEND
	;;#ASMSTART
	v_dot2_f32_f16 v51, v11, v106, v51
	;;#ASMEND
	;;#ASMSTART
	v_dot2_f32_f16 v51, v12, v107, v51
	;;#ASMEND
	;;#ASMSTART
	v_dot2_f32_f16 v51, v13, v108, v51
	;;#ASMEND
	s_waitcnt lgkmcnt(5)
	;;#ASMSTART
	v_dot2_f32_f16 v100, v10, v109, v100
	;;#ASMEND
	;;#ASMSTART
	v_dot2_f32_f16 v100, v11, v110, v100
	;;#ASMEND
	;;#ASMSTART
	v_dot2_f32_f16 v100, v12, v111, v100
	;;#ASMEND
	;;#ASMSTART
	v_dot2_f32_f16 v100, v13, v112, v100
	;;#ASMEND
	;; [unrolled: 13-line block ×5, first 2 shown]
	;;#ASMSTART
	v_dot2_f32_f16 v101, v121, v109, v101
	;;#ASMEND
	;;#ASMSTART
	v_dot2_f32_f16 v101, v122, v110, v101
	;;#ASMEND
	;;#ASMSTART
	v_dot2_f32_f16 v101, v123, v111, v101
	;;#ASMEND
	;;#ASMSTART
	v_dot2_f32_f16 v101, v124, v112, v101
	;;#ASMEND
	;;#ASMSTART
	v_dot2_f32_f16 v96, v121, v113, v96
	;;#ASMEND
	;;#ASMSTART
	v_dot2_f32_f16 v96, v122, v114, v96
	;;#ASMEND
	;;#ASMSTART
	v_dot2_f32_f16 v96, v123, v115, v96
	;;#ASMEND
	;;#ASMSTART
	v_dot2_f32_f16 v96, v124, v116, v96
	;;#ASMEND
	;;#ASMSTART
	v_dot2_f32_f16 v86, v121, v117, v86
	;;#ASMEND
	;;#ASMSTART
	v_dot2_f32_f16 v86, v122, v118, v86
	;;#ASMEND
	;;#ASMSTART
	v_dot2_f32_f16 v86, v123, v119, v86
	;;#ASMEND
	;;#ASMSTART
	v_dot2_f32_f16 v86, v124, v120, v86
	;;#ASMEND
	s_waitcnt lgkmcnt(1)
	;;#ASMSTART
	v_dot2_f32_f16 v103, v125, v105, v103
	;;#ASMEND
	;;#ASMSTART
	v_dot2_f32_f16 v103, v126, v106, v103
	;;#ASMEND
	;;#ASMSTART
	v_dot2_f32_f16 v103, v127, v107, v103
	;;#ASMEND
	;;#ASMSTART
	v_dot2_f32_f16 v103, v128, v108, v103
	;;#ASMEND
	;;#ASMSTART
	v_dot2_f32_f16 v98, v125, v109, v98
	;;#ASMEND
	;;#ASMSTART
	v_dot2_f32_f16 v98, v126, v110, v98
	;;#ASMEND
	;;#ASMSTART
	v_dot2_f32_f16 v98, v127, v111, v98
	;;#ASMEND
	;;#ASMSTART
	v_dot2_f32_f16 v98, v128, v112, v98
	;;#ASMEND
	;;#ASMSTART
	v_dot2_f32_f16 v97, v125, v113, v97
	;;#ASMEND
	;;#ASMSTART
	v_dot2_f32_f16 v97, v126, v114, v97
	;;#ASMEND
	;;#ASMSTART
	v_dot2_f32_f16 v97, v127, v115, v97
	;;#ASMEND
	;;#ASMSTART
	v_dot2_f32_f16 v97, v128, v116, v97
	;;#ASMEND
	;;#ASMSTART
	v_dot2_f32_f16 v83, v125, v117, v83
	;;#ASMEND
	;;#ASMSTART
	v_dot2_f32_f16 v83, v126, v118, v83
	;;#ASMEND
	;;#ASMSTART
	v_dot2_f32_f16 v83, v127, v119, v83
	;;#ASMEND
	;;#ASMSTART
	v_dot2_f32_f16 v83, v128, v120, v83
	;;#ASMEND
	s_waitcnt lgkmcnt(0)
	;;#ASMSTART
	v_dot2_f32_f16 v104, v129, v105, v104
	;;#ASMEND
	;;#ASMSTART
	v_dot2_f32_f16 v104, v130, v106, v104
	;;#ASMEND
	;; [unrolled: 3-line block ×16, first 2 shown]
	ds_load_b128 v[10:13], v41 offset:32800
	ds_load_b128 v[105:108], v9 offset:32
	ds_load_b128 v[109:112], v9 offset:1056
	ds_load_b128 v[113:116], v9 offset:2080
	ds_load_b128 v[117:120], v9 offset:3104
	ds_load_b128 v[121:124], v41 offset:37408
	ds_load_b128 v[125:128], v41 offset:42016
	ds_load_b128 v[129:132], v41 offset:46624
	s_waitcnt lgkmcnt(6)
	;;#ASMSTART
	v_dot2_f32_f16 v51, v10, v105, v51
	;;#ASMEND
	;;#ASMSTART
	v_dot2_f32_f16 v51, v11, v106, v51
	;;#ASMEND
	;;#ASMSTART
	v_dot2_f32_f16 v51, v12, v107, v51
	;;#ASMEND
	;;#ASMSTART
	v_dot2_f32_f16 v51, v13, v108, v51
	;;#ASMEND
	s_waitcnt lgkmcnt(5)
	;;#ASMSTART
	v_dot2_f32_f16 v100, v10, v109, v100
	;;#ASMEND
	;;#ASMSTART
	v_dot2_f32_f16 v100, v11, v110, v100
	;;#ASMEND
	;;#ASMSTART
	v_dot2_f32_f16 v100, v12, v111, v100
	;;#ASMEND
	;;#ASMSTART
	v_dot2_f32_f16 v100, v13, v112, v100
	;;#ASMEND
	;; [unrolled: 13-line block ×5, first 2 shown]
	;;#ASMSTART
	v_dot2_f32_f16 v101, v121, v109, v101
	;;#ASMEND
	;;#ASMSTART
	v_dot2_f32_f16 v101, v122, v110, v101
	;;#ASMEND
	;; [unrolled: 3-line block ×12, first 2 shown]
	s_waitcnt lgkmcnt(1)
	;;#ASMSTART
	v_dot2_f32_f16 v103, v125, v105, v103
	;;#ASMEND
	;;#ASMSTART
	v_dot2_f32_f16 v103, v126, v106, v103
	;;#ASMEND
	;; [unrolled: 3-line block ×16, first 2 shown]
	s_waitcnt lgkmcnt(0)
	;;#ASMSTART
	v_dot2_f32_f16 v104, v129, v105, v104
	;;#ASMEND
	;;#ASMSTART
	v_dot2_f32_f16 v104, v130, v106, v104
	;;#ASMEND
	;; [unrolled: 3-line block ×16, first 2 shown]
	ds_load_b128 v[10:13], v41 offset:32816
	ds_load_b128 v[105:108], v9 offset:48
	;; [unrolled: 1-line block ×8, first 2 shown]
	s_waitcnt lgkmcnt(6)
	;;#ASMSTART
	v_dot2_f32_f16 v51, v10, v105, v51
	;;#ASMEND
	;;#ASMSTART
	v_dot2_f32_f16 v51, v11, v106, v51
	;;#ASMEND
	;;#ASMSTART
	v_dot2_f32_f16 v51, v12, v107, v51
	;;#ASMEND
	;;#ASMSTART
	v_dot2_f32_f16 v51, v13, v108, v51
	;;#ASMEND
	s_waitcnt lgkmcnt(5)
	;;#ASMSTART
	v_dot2_f32_f16 v100, v10, v109, v100
	;;#ASMEND
	;;#ASMSTART
	v_dot2_f32_f16 v100, v11, v110, v100
	;;#ASMEND
	;;#ASMSTART
	v_dot2_f32_f16 v100, v12, v111, v100
	;;#ASMEND
	;;#ASMSTART
	v_dot2_f32_f16 v100, v13, v112, v100
	;;#ASMEND
	;; [unrolled: 13-line block ×5, first 2 shown]
	;;#ASMSTART
	v_dot2_f32_f16 v101, v121, v109, v101
	;;#ASMEND
	;;#ASMSTART
	v_dot2_f32_f16 v101, v122, v110, v101
	;;#ASMEND
	;;#ASMSTART
	v_dot2_f32_f16 v101, v123, v111, v101
	;;#ASMEND
	;;#ASMSTART
	v_dot2_f32_f16 v101, v124, v112, v101
	;;#ASMEND
	;;#ASMSTART
	v_dot2_f32_f16 v96, v121, v113, v96
	;;#ASMEND
	;;#ASMSTART
	v_dot2_f32_f16 v96, v122, v114, v96
	;;#ASMEND
	;;#ASMSTART
	v_dot2_f32_f16 v96, v123, v115, v96
	;;#ASMEND
	;;#ASMSTART
	v_dot2_f32_f16 v96, v124, v116, v96
	;;#ASMEND
	;;#ASMSTART
	v_dot2_f32_f16 v86, v121, v117, v86
	;;#ASMEND
	;;#ASMSTART
	v_dot2_f32_f16 v86, v122, v118, v86
	;;#ASMEND
	;;#ASMSTART
	v_dot2_f32_f16 v86, v123, v119, v86
	;;#ASMEND
	;;#ASMSTART
	v_dot2_f32_f16 v86, v124, v120, v86
	;;#ASMEND
	s_waitcnt lgkmcnt(1)
	;;#ASMSTART
	v_dot2_f32_f16 v103, v125, v105, v103
	;;#ASMEND
	;;#ASMSTART
	v_dot2_f32_f16 v103, v126, v106, v103
	;;#ASMEND
	;;#ASMSTART
	v_dot2_f32_f16 v103, v127, v107, v103
	;;#ASMEND
	;;#ASMSTART
	v_dot2_f32_f16 v103, v128, v108, v103
	;;#ASMEND
	;;#ASMSTART
	v_dot2_f32_f16 v98, v125, v109, v98
	;;#ASMEND
	;;#ASMSTART
	v_dot2_f32_f16 v98, v126, v110, v98
	;;#ASMEND
	;;#ASMSTART
	v_dot2_f32_f16 v98, v127, v111, v98
	;;#ASMEND
	;;#ASMSTART
	v_dot2_f32_f16 v98, v128, v112, v98
	;;#ASMEND
	;;#ASMSTART
	v_dot2_f32_f16 v97, v125, v113, v97
	;;#ASMEND
	;;#ASMSTART
	v_dot2_f32_f16 v97, v126, v114, v97
	;;#ASMEND
	;;#ASMSTART
	v_dot2_f32_f16 v97, v127, v115, v97
	;;#ASMEND
	;;#ASMSTART
	v_dot2_f32_f16 v97, v128, v116, v97
	;;#ASMEND
	;;#ASMSTART
	v_dot2_f32_f16 v83, v125, v117, v83
	;;#ASMEND
	;;#ASMSTART
	v_dot2_f32_f16 v83, v126, v118, v83
	;;#ASMEND
	;;#ASMSTART
	v_dot2_f32_f16 v83, v127, v119, v83
	;;#ASMEND
	;;#ASMSTART
	v_dot2_f32_f16 v83, v128, v120, v83
	;;#ASMEND
	s_waitcnt lgkmcnt(0)
	;;#ASMSTART
	v_dot2_f32_f16 v104, v129, v105, v104
	;;#ASMEND
	;;#ASMSTART
	v_dot2_f32_f16 v104, v130, v106, v104
	;;#ASMEND
	;; [unrolled: 3-line block ×16, first 2 shown]
	ds_load_b128 v[10:13], v41 offset:32832
	ds_load_b128 v[105:108], v9 offset:64
	;; [unrolled: 1-line block ×8, first 2 shown]
	s_waitcnt lgkmcnt(6)
	;;#ASMSTART
	v_dot2_f32_f16 v51, v10, v105, v51
	;;#ASMEND
	;;#ASMSTART
	v_dot2_f32_f16 v51, v11, v106, v51
	;;#ASMEND
	;;#ASMSTART
	v_dot2_f32_f16 v51, v12, v107, v51
	;;#ASMEND
	;;#ASMSTART
	v_dot2_f32_f16 v51, v13, v108, v51
	;;#ASMEND
	s_waitcnt lgkmcnt(5)
	;;#ASMSTART
	v_dot2_f32_f16 v100, v10, v109, v100
	;;#ASMEND
	;;#ASMSTART
	v_dot2_f32_f16 v100, v11, v110, v100
	;;#ASMEND
	;;#ASMSTART
	v_dot2_f32_f16 v100, v12, v111, v100
	;;#ASMEND
	;;#ASMSTART
	v_dot2_f32_f16 v100, v13, v112, v100
	;;#ASMEND
	;; [unrolled: 13-line block ×5, first 2 shown]
	;;#ASMSTART
	v_dot2_f32_f16 v101, v121, v109, v101
	;;#ASMEND
	;;#ASMSTART
	v_dot2_f32_f16 v101, v122, v110, v101
	;;#ASMEND
	;; [unrolled: 3-line block ×12, first 2 shown]
	s_waitcnt lgkmcnt(1)
	;;#ASMSTART
	v_dot2_f32_f16 v103, v125, v105, v103
	;;#ASMEND
	;;#ASMSTART
	v_dot2_f32_f16 v103, v126, v106, v103
	;;#ASMEND
	;; [unrolled: 3-line block ×16, first 2 shown]
	s_waitcnt lgkmcnt(0)
	;;#ASMSTART
	v_dot2_f32_f16 v104, v129, v105, v104
	;;#ASMEND
	;;#ASMSTART
	v_dot2_f32_f16 v104, v130, v106, v104
	;;#ASMEND
	;; [unrolled: 3-line block ×16, first 2 shown]
	ds_load_b128 v[10:13], v41 offset:32848
	ds_load_b128 v[105:108], v9 offset:80
	ds_load_b128 v[109:112], v9 offset:1104
	ds_load_b128 v[113:116], v9 offset:2128
	ds_load_b128 v[117:120], v9 offset:3152
	ds_load_b128 v[121:124], v41 offset:37456
	ds_load_b128 v[125:128], v41 offset:42064
	ds_load_b128 v[129:132], v41 offset:46672
	s_waitcnt lgkmcnt(6)
	;;#ASMSTART
	v_dot2_f32_f16 v51, v10, v105, v51
	;;#ASMEND
	;;#ASMSTART
	v_dot2_f32_f16 v51, v11, v106, v51
	;;#ASMEND
	;;#ASMSTART
	v_dot2_f32_f16 v51, v12, v107, v51
	;;#ASMEND
	;;#ASMSTART
	v_dot2_f32_f16 v51, v13, v108, v51
	;;#ASMEND
	s_waitcnt lgkmcnt(5)
	;;#ASMSTART
	v_dot2_f32_f16 v100, v10, v109, v100
	;;#ASMEND
	;;#ASMSTART
	v_dot2_f32_f16 v100, v11, v110, v100
	;;#ASMEND
	;;#ASMSTART
	v_dot2_f32_f16 v100, v12, v111, v100
	;;#ASMEND
	;;#ASMSTART
	v_dot2_f32_f16 v100, v13, v112, v100
	;;#ASMEND
	;; [unrolled: 13-line block ×5, first 2 shown]
	;;#ASMSTART
	v_dot2_f32_f16 v101, v121, v109, v101
	;;#ASMEND
	;;#ASMSTART
	v_dot2_f32_f16 v101, v122, v110, v101
	;;#ASMEND
	;;#ASMSTART
	v_dot2_f32_f16 v101, v123, v111, v101
	;;#ASMEND
	;;#ASMSTART
	v_dot2_f32_f16 v101, v124, v112, v101
	;;#ASMEND
	;;#ASMSTART
	v_dot2_f32_f16 v96, v121, v113, v96
	;;#ASMEND
	;;#ASMSTART
	v_dot2_f32_f16 v96, v122, v114, v96
	;;#ASMEND
	;;#ASMSTART
	v_dot2_f32_f16 v96, v123, v115, v96
	;;#ASMEND
	;;#ASMSTART
	v_dot2_f32_f16 v96, v124, v116, v96
	;;#ASMEND
	;;#ASMSTART
	v_dot2_f32_f16 v86, v121, v117, v86
	;;#ASMEND
	;;#ASMSTART
	v_dot2_f32_f16 v86, v122, v118, v86
	;;#ASMEND
	;;#ASMSTART
	v_dot2_f32_f16 v86, v123, v119, v86
	;;#ASMEND
	;;#ASMSTART
	v_dot2_f32_f16 v86, v124, v120, v86
	;;#ASMEND
	s_waitcnt lgkmcnt(1)
	;;#ASMSTART
	v_dot2_f32_f16 v103, v125, v105, v103
	;;#ASMEND
	;;#ASMSTART
	v_dot2_f32_f16 v103, v126, v106, v103
	;;#ASMEND
	;;#ASMSTART
	v_dot2_f32_f16 v103, v127, v107, v103
	;;#ASMEND
	;;#ASMSTART
	v_dot2_f32_f16 v103, v128, v108, v103
	;;#ASMEND
	;;#ASMSTART
	v_dot2_f32_f16 v98, v125, v109, v98
	;;#ASMEND
	;;#ASMSTART
	v_dot2_f32_f16 v98, v126, v110, v98
	;;#ASMEND
	;;#ASMSTART
	v_dot2_f32_f16 v98, v127, v111, v98
	;;#ASMEND
	;;#ASMSTART
	v_dot2_f32_f16 v98, v128, v112, v98
	;;#ASMEND
	;;#ASMSTART
	v_dot2_f32_f16 v97, v125, v113, v97
	;;#ASMEND
	;;#ASMSTART
	v_dot2_f32_f16 v97, v126, v114, v97
	;;#ASMEND
	;;#ASMSTART
	v_dot2_f32_f16 v97, v127, v115, v97
	;;#ASMEND
	;;#ASMSTART
	v_dot2_f32_f16 v97, v128, v116, v97
	;;#ASMEND
	;;#ASMSTART
	v_dot2_f32_f16 v83, v125, v117, v83
	;;#ASMEND
	;;#ASMSTART
	v_dot2_f32_f16 v83, v126, v118, v83
	;;#ASMEND
	;;#ASMSTART
	v_dot2_f32_f16 v83, v127, v119, v83
	;;#ASMEND
	;;#ASMSTART
	v_dot2_f32_f16 v83, v128, v120, v83
	;;#ASMEND
	s_waitcnt lgkmcnt(0)
	;;#ASMSTART
	v_dot2_f32_f16 v104, v129, v105, v104
	;;#ASMEND
	;;#ASMSTART
	v_dot2_f32_f16 v104, v130, v106, v104
	;;#ASMEND
	;; [unrolled: 3-line block ×16, first 2 shown]
	ds_load_b128 v[10:13], v41 offset:32864
	ds_load_b128 v[105:108], v9 offset:96
	;; [unrolled: 1-line block ×8, first 2 shown]
	s_waitcnt lgkmcnt(6)
	;;#ASMSTART
	v_dot2_f32_f16 v51, v10, v105, v51
	;;#ASMEND
	;;#ASMSTART
	v_dot2_f32_f16 v51, v11, v106, v51
	;;#ASMEND
	;;#ASMSTART
	v_dot2_f32_f16 v51, v12, v107, v51
	;;#ASMEND
	;;#ASMSTART
	v_dot2_f32_f16 v51, v13, v108, v51
	;;#ASMEND
	s_waitcnt lgkmcnt(5)
	;;#ASMSTART
	v_dot2_f32_f16 v100, v10, v109, v100
	;;#ASMEND
	;;#ASMSTART
	v_dot2_f32_f16 v100, v11, v110, v100
	;;#ASMEND
	;;#ASMSTART
	v_dot2_f32_f16 v100, v12, v111, v100
	;;#ASMEND
	;;#ASMSTART
	v_dot2_f32_f16 v100, v13, v112, v100
	;;#ASMEND
	;; [unrolled: 13-line block ×5, first 2 shown]
	;;#ASMSTART
	v_dot2_f32_f16 v101, v121, v109, v101
	;;#ASMEND
	;;#ASMSTART
	v_dot2_f32_f16 v101, v122, v110, v101
	;;#ASMEND
	;;#ASMSTART
	v_dot2_f32_f16 v101, v123, v111, v101
	;;#ASMEND
	;;#ASMSTART
	v_dot2_f32_f16 v101, v124, v112, v101
	;;#ASMEND
	;;#ASMSTART
	v_dot2_f32_f16 v96, v121, v113, v96
	;;#ASMEND
	;;#ASMSTART
	v_dot2_f32_f16 v96, v122, v114, v96
	;;#ASMEND
	;;#ASMSTART
	v_dot2_f32_f16 v96, v123, v115, v96
	;;#ASMEND
	;;#ASMSTART
	v_dot2_f32_f16 v96, v124, v116, v96
	;;#ASMEND
	;;#ASMSTART
	v_dot2_f32_f16 v86, v121, v117, v86
	;;#ASMEND
	;;#ASMSTART
	v_dot2_f32_f16 v86, v122, v118, v86
	;;#ASMEND
	;;#ASMSTART
	v_dot2_f32_f16 v86, v123, v119, v86
	;;#ASMEND
	;;#ASMSTART
	v_dot2_f32_f16 v86, v124, v120, v86
	;;#ASMEND
	s_waitcnt lgkmcnt(1)
	;;#ASMSTART
	v_dot2_f32_f16 v103, v125, v105, v103
	;;#ASMEND
	;;#ASMSTART
	v_dot2_f32_f16 v103, v126, v106, v103
	;;#ASMEND
	;; [unrolled: 3-line block ×16, first 2 shown]
	s_waitcnt lgkmcnt(0)
	;;#ASMSTART
	v_dot2_f32_f16 v104, v129, v105, v104
	;;#ASMEND
	;;#ASMSTART
	v_dot2_f32_f16 v104, v130, v106, v104
	;;#ASMEND
	;; [unrolled: 3-line block ×16, first 2 shown]
	ds_load_b128 v[10:13], v41 offset:32880
	ds_load_b128 v[105:108], v9 offset:112
	;; [unrolled: 1-line block ×8, first 2 shown]
	s_waitcnt lgkmcnt(6)
	;;#ASMSTART
	v_dot2_f32_f16 v51, v10, v105, v51
	;;#ASMEND
	;;#ASMSTART
	v_dot2_f32_f16 v51, v11, v106, v51
	;;#ASMEND
	;;#ASMSTART
	v_dot2_f32_f16 v51, v12, v107, v51
	;;#ASMEND
	;;#ASMSTART
	v_dot2_f32_f16 v51, v13, v108, v51
	;;#ASMEND
	s_waitcnt lgkmcnt(5)
	;;#ASMSTART
	v_dot2_f32_f16 v100, v10, v109, v100
	;;#ASMEND
	;;#ASMSTART
	v_dot2_f32_f16 v100, v11, v110, v100
	;;#ASMEND
	;;#ASMSTART
	v_dot2_f32_f16 v100, v12, v111, v100
	;;#ASMEND
	;;#ASMSTART
	v_dot2_f32_f16 v100, v13, v112, v100
	;;#ASMEND
	;; [unrolled: 13-line block ×5, first 2 shown]
	;;#ASMSTART
	v_dot2_f32_f16 v101, v121, v109, v101
	;;#ASMEND
	;;#ASMSTART
	v_dot2_f32_f16 v101, v122, v110, v101
	;;#ASMEND
	;; [unrolled: 3-line block ×12, first 2 shown]
	s_waitcnt lgkmcnt(1)
	;;#ASMSTART
	v_dot2_f32_f16 v103, v125, v105, v103
	;;#ASMEND
	;;#ASMSTART
	v_dot2_f32_f16 v103, v126, v106, v103
	;;#ASMEND
	;;#ASMSTART
	v_dot2_f32_f16 v103, v127, v107, v103
	;;#ASMEND
	;;#ASMSTART
	v_dot2_f32_f16 v103, v128, v108, v103
	;;#ASMEND
	;;#ASMSTART
	v_dot2_f32_f16 v98, v125, v109, v98
	;;#ASMEND
	;;#ASMSTART
	v_dot2_f32_f16 v98, v126, v110, v98
	;;#ASMEND
	;;#ASMSTART
	v_dot2_f32_f16 v98, v127, v111, v98
	;;#ASMEND
	;;#ASMSTART
	v_dot2_f32_f16 v98, v128, v112, v98
	;;#ASMEND
	;;#ASMSTART
	v_dot2_f32_f16 v97, v125, v113, v97
	;;#ASMEND
	;;#ASMSTART
	v_dot2_f32_f16 v97, v126, v114, v97
	;;#ASMEND
	;;#ASMSTART
	v_dot2_f32_f16 v97, v127, v115, v97
	;;#ASMEND
	;;#ASMSTART
	v_dot2_f32_f16 v97, v128, v116, v97
	;;#ASMEND
	;;#ASMSTART
	v_dot2_f32_f16 v83, v125, v117, v83
	;;#ASMEND
	;;#ASMSTART
	v_dot2_f32_f16 v83, v126, v118, v83
	;;#ASMEND
	;;#ASMSTART
	v_dot2_f32_f16 v83, v127, v119, v83
	;;#ASMEND
	;;#ASMSTART
	v_dot2_f32_f16 v83, v128, v120, v83
	;;#ASMEND
	s_waitcnt lgkmcnt(0)
	;;#ASMSTART
	v_dot2_f32_f16 v104, v129, v105, v104
	;;#ASMEND
	;;#ASMSTART
	v_dot2_f32_f16 v104, v130, v106, v104
	;;#ASMEND
	;; [unrolled: 3-line block ×16, first 2 shown]
	s_barrier
	buffer_gl0_inv
	s_clause 0x3
	global_load_b128 v[9:12], v[0:1], off offset:256
	global_load_b128 v[0:3], v[2:3], off offset:256
	;; [unrolled: 1-line block ×4, first 2 shown]
	v_add3_u32 v105, 0x100, s8, v42
	s_lshr_b32 s8, s23, 1
	s_waitcnt vmcnt(3)
	ds_store_b128 v36, v[9:12]
	s_waitcnt vmcnt(2)
	ds_store_b128 v37, v[0:3]
	;; [unrolled: 2-line block ×4, first 2 shown]
	s_waitcnt lgkmcnt(0)
	s_barrier
	buffer_gl0_inv
	ds_load_b128 v[0:3], v41 offset:32768
	ds_load_b128 v[4:7], v8 offset:256
	;; [unrolled: 1-line block ×8, first 2 shown]
	s_waitcnt lgkmcnt(6)
	;;#ASMSTART
	v_dot2_f32_f16 v51, v0, v4, v51
	;;#ASMEND
	;;#ASMSTART
	v_dot2_f32_f16 v51, v1, v5, v51
	;;#ASMEND
	;;#ASMSTART
	v_dot2_f32_f16 v51, v2, v6, v51
	;;#ASMEND
	;;#ASMSTART
	v_dot2_f32_f16 v51, v3, v7, v51
	;;#ASMEND
	s_waitcnt lgkmcnt(5)
	;;#ASMSTART
	v_dot2_f32_f16 v100, v0, v8, v100
	;;#ASMEND
	;;#ASMSTART
	v_dot2_f32_f16 v100, v1, v9, v100
	;;#ASMEND
	;;#ASMSTART
	v_dot2_f32_f16 v100, v2, v10, v100
	;;#ASMEND
	;;#ASMSTART
	v_dot2_f32_f16 v100, v3, v11, v100
	;;#ASMEND
	;; [unrolled: 13-line block ×5, first 2 shown]
	;;#ASMSTART
	v_dot2_f32_f16 v101, v110, v8, v101
	;;#ASMEND
	;;#ASMSTART
	v_dot2_f32_f16 v101, v111, v9, v101
	;;#ASMEND
	;; [unrolled: 3-line block ×12, first 2 shown]
	s_waitcnt lgkmcnt(1)
	;;#ASMSTART
	v_dot2_f32_f16 v103, v114, v4, v103
	;;#ASMEND
	;;#ASMSTART
	v_dot2_f32_f16 v103, v115, v5, v103
	;;#ASMEND
	;; [unrolled: 3-line block ×16, first 2 shown]
	s_waitcnt lgkmcnt(0)
	;;#ASMSTART
	v_dot2_f32_f16 v104, v118, v4, v104
	;;#ASMEND
	;;#ASMSTART
	v_dot2_f32_f16 v104, v119, v5, v104
	;;#ASMEND
	;; [unrolled: 3-line block ×16, first 2 shown]
	ds_load_b128 v[0:3], v41 offset:32784
	ds_load_b128 v[4:7], v105 offset:16
	;; [unrolled: 1-line block ×8, first 2 shown]
	s_waitcnt lgkmcnt(6)
	;;#ASMSTART
	v_dot2_f32_f16 v51, v0, v4, v51
	;;#ASMEND
	;;#ASMSTART
	v_dot2_f32_f16 v51, v1, v5, v51
	;;#ASMEND
	;;#ASMSTART
	v_dot2_f32_f16 v51, v2, v6, v51
	;;#ASMEND
	;;#ASMSTART
	v_dot2_f32_f16 v51, v3, v7, v51
	;;#ASMEND
	s_waitcnt lgkmcnt(5)
	;;#ASMSTART
	v_dot2_f32_f16 v100, v0, v8, v100
	;;#ASMEND
	;;#ASMSTART
	v_dot2_f32_f16 v100, v1, v9, v100
	;;#ASMEND
	;;#ASMSTART
	v_dot2_f32_f16 v100, v2, v10, v100
	;;#ASMEND
	;;#ASMSTART
	v_dot2_f32_f16 v100, v3, v11, v100
	;;#ASMEND
	;; [unrolled: 13-line block ×5, first 2 shown]
	;;#ASMSTART
	v_dot2_f32_f16 v101, v110, v8, v101
	;;#ASMEND
	;;#ASMSTART
	v_dot2_f32_f16 v101, v111, v9, v101
	;;#ASMEND
	;; [unrolled: 3-line block ×12, first 2 shown]
	s_waitcnt lgkmcnt(1)
	;;#ASMSTART
	v_dot2_f32_f16 v103, v114, v4, v103
	;;#ASMEND
	;;#ASMSTART
	v_dot2_f32_f16 v103, v115, v5, v103
	;;#ASMEND
	;; [unrolled: 3-line block ×16, first 2 shown]
	s_waitcnt lgkmcnt(0)
	;;#ASMSTART
	v_dot2_f32_f16 v104, v118, v4, v104
	;;#ASMEND
	;;#ASMSTART
	v_dot2_f32_f16 v104, v119, v5, v104
	;;#ASMEND
	;; [unrolled: 3-line block ×16, first 2 shown]
	ds_load_b128 v[0:3], v41 offset:32800
	ds_load_b128 v[4:7], v105 offset:32
	;; [unrolled: 1-line block ×8, first 2 shown]
	s_waitcnt lgkmcnt(6)
	;;#ASMSTART
	v_dot2_f32_f16 v51, v0, v4, v51
	;;#ASMEND
	;;#ASMSTART
	v_dot2_f32_f16 v51, v1, v5, v51
	;;#ASMEND
	;;#ASMSTART
	v_dot2_f32_f16 v51, v2, v6, v51
	;;#ASMEND
	;;#ASMSTART
	v_dot2_f32_f16 v51, v3, v7, v51
	;;#ASMEND
	s_waitcnt lgkmcnt(5)
	;;#ASMSTART
	v_dot2_f32_f16 v100, v0, v8, v100
	;;#ASMEND
	;;#ASMSTART
	v_dot2_f32_f16 v100, v1, v9, v100
	;;#ASMEND
	;;#ASMSTART
	v_dot2_f32_f16 v100, v2, v10, v100
	;;#ASMEND
	;;#ASMSTART
	v_dot2_f32_f16 v100, v3, v11, v100
	;;#ASMEND
	;; [unrolled: 13-line block ×5, first 2 shown]
	;;#ASMSTART
	v_dot2_f32_f16 v101, v110, v8, v101
	;;#ASMEND
	;;#ASMSTART
	v_dot2_f32_f16 v101, v111, v9, v101
	;;#ASMEND
	;;#ASMSTART
	v_dot2_f32_f16 v101, v112, v10, v101
	;;#ASMEND
	;;#ASMSTART
	v_dot2_f32_f16 v101, v113, v11, v101
	;;#ASMEND
	;;#ASMSTART
	v_dot2_f32_f16 v96, v110, v12, v96
	;;#ASMEND
	;;#ASMSTART
	v_dot2_f32_f16 v96, v111, v13, v96
	;;#ASMEND
	;;#ASMSTART
	v_dot2_f32_f16 v96, v112, v14, v96
	;;#ASMEND
	;;#ASMSTART
	v_dot2_f32_f16 v96, v113, v15, v96
	;;#ASMEND
	;;#ASMSTART
	v_dot2_f32_f16 v86, v110, v106, v86
	;;#ASMEND
	;;#ASMSTART
	v_dot2_f32_f16 v86, v111, v107, v86
	;;#ASMEND
	;;#ASMSTART
	v_dot2_f32_f16 v86, v112, v108, v86
	;;#ASMEND
	;;#ASMSTART
	v_dot2_f32_f16 v86, v113, v109, v86
	;;#ASMEND
	s_waitcnt lgkmcnt(1)
	;;#ASMSTART
	v_dot2_f32_f16 v103, v114, v4, v103
	;;#ASMEND
	;;#ASMSTART
	v_dot2_f32_f16 v103, v115, v5, v103
	;;#ASMEND
	;; [unrolled: 3-line block ×16, first 2 shown]
	s_waitcnt lgkmcnt(0)
	;;#ASMSTART
	v_dot2_f32_f16 v104, v118, v4, v104
	;;#ASMEND
	;;#ASMSTART
	v_dot2_f32_f16 v104, v119, v5, v104
	;;#ASMEND
	;; [unrolled: 3-line block ×16, first 2 shown]
	ds_load_b128 v[0:3], v41 offset:32816
	ds_load_b128 v[4:7], v105 offset:48
	;; [unrolled: 1-line block ×8, first 2 shown]
	s_waitcnt lgkmcnt(6)
	;;#ASMSTART
	v_dot2_f32_f16 v51, v0, v4, v51
	;;#ASMEND
	;;#ASMSTART
	v_dot2_f32_f16 v51, v1, v5, v51
	;;#ASMEND
	;;#ASMSTART
	v_dot2_f32_f16 v51, v2, v6, v51
	;;#ASMEND
	;;#ASMSTART
	v_dot2_f32_f16 v51, v3, v7, v51
	;;#ASMEND
	s_waitcnt lgkmcnt(5)
	;;#ASMSTART
	v_dot2_f32_f16 v100, v0, v8, v100
	;;#ASMEND
	;;#ASMSTART
	v_dot2_f32_f16 v100, v1, v9, v100
	;;#ASMEND
	;;#ASMSTART
	v_dot2_f32_f16 v100, v2, v10, v100
	;;#ASMEND
	;;#ASMSTART
	v_dot2_f32_f16 v100, v3, v11, v100
	;;#ASMEND
	;; [unrolled: 13-line block ×5, first 2 shown]
	;;#ASMSTART
	v_dot2_f32_f16 v101, v110, v8, v101
	;;#ASMEND
	;;#ASMSTART
	v_dot2_f32_f16 v101, v111, v9, v101
	;;#ASMEND
	;; [unrolled: 3-line block ×12, first 2 shown]
	s_waitcnt lgkmcnt(1)
	;;#ASMSTART
	v_dot2_f32_f16 v103, v114, v4, v103
	;;#ASMEND
	;;#ASMSTART
	v_dot2_f32_f16 v103, v115, v5, v103
	;;#ASMEND
	;; [unrolled: 3-line block ×16, first 2 shown]
	s_waitcnt lgkmcnt(0)
	;;#ASMSTART
	v_dot2_f32_f16 v104, v118, v4, v104
	;;#ASMEND
	;;#ASMSTART
	v_dot2_f32_f16 v104, v119, v5, v104
	;;#ASMEND
	;; [unrolled: 3-line block ×16, first 2 shown]
	ds_load_b128 v[0:3], v41 offset:32832
	ds_load_b128 v[4:7], v105 offset:64
	;; [unrolled: 1-line block ×8, first 2 shown]
	s_waitcnt lgkmcnt(6)
	;;#ASMSTART
	v_dot2_f32_f16 v51, v0, v4, v51
	;;#ASMEND
	;;#ASMSTART
	v_dot2_f32_f16 v51, v1, v5, v51
	;;#ASMEND
	;;#ASMSTART
	v_dot2_f32_f16 v51, v2, v6, v51
	;;#ASMEND
	;;#ASMSTART
	v_dot2_f32_f16 v51, v3, v7, v51
	;;#ASMEND
	s_waitcnt lgkmcnt(5)
	;;#ASMSTART
	v_dot2_f32_f16 v100, v0, v8, v100
	;;#ASMEND
	;;#ASMSTART
	v_dot2_f32_f16 v100, v1, v9, v100
	;;#ASMEND
	;;#ASMSTART
	v_dot2_f32_f16 v100, v2, v10, v100
	;;#ASMEND
	;;#ASMSTART
	v_dot2_f32_f16 v100, v3, v11, v100
	;;#ASMEND
	;; [unrolled: 13-line block ×5, first 2 shown]
	;;#ASMSTART
	v_dot2_f32_f16 v101, v110, v8, v101
	;;#ASMEND
	;;#ASMSTART
	v_dot2_f32_f16 v101, v111, v9, v101
	;;#ASMEND
	;; [unrolled: 3-line block ×12, first 2 shown]
	s_waitcnt lgkmcnt(1)
	;;#ASMSTART
	v_dot2_f32_f16 v103, v114, v4, v103
	;;#ASMEND
	;;#ASMSTART
	v_dot2_f32_f16 v103, v115, v5, v103
	;;#ASMEND
	;; [unrolled: 3-line block ×16, first 2 shown]
	s_waitcnt lgkmcnt(0)
	;;#ASMSTART
	v_dot2_f32_f16 v104, v118, v4, v104
	;;#ASMEND
	;;#ASMSTART
	v_dot2_f32_f16 v104, v119, v5, v104
	;;#ASMEND
	;;#ASMSTART
	v_dot2_f32_f16 v104, v120, v6, v104
	;;#ASMEND
	;;#ASMSTART
	v_dot2_f32_f16 v104, v121, v7, v104
	;;#ASMEND
	;;#ASMSTART
	v_dot2_f32_f16 v99, v118, v8, v99
	;;#ASMEND
	;;#ASMSTART
	v_dot2_f32_f16 v99, v119, v9, v99
	;;#ASMEND
	;;#ASMSTART
	v_dot2_f32_f16 v99, v120, v10, v99
	;;#ASMEND
	;;#ASMSTART
	v_dot2_f32_f16 v99, v121, v11, v99
	;;#ASMEND
	;;#ASMSTART
	v_dot2_f32_f16 v95, v118, v12, v95
	;;#ASMEND
	;;#ASMSTART
	v_dot2_f32_f16 v95, v119, v13, v95
	;;#ASMEND
	;;#ASMSTART
	v_dot2_f32_f16 v95, v120, v14, v95
	;;#ASMEND
	;;#ASMSTART
	v_dot2_f32_f16 v95, v121, v15, v95
	;;#ASMEND
	;;#ASMSTART
	v_dot2_f32_f16 v82, v118, v106, v82
	;;#ASMEND
	;;#ASMSTART
	v_dot2_f32_f16 v82, v119, v107, v82
	;;#ASMEND
	;;#ASMSTART
	v_dot2_f32_f16 v82, v120, v108, v82
	;;#ASMEND
	;;#ASMSTART
	v_dot2_f32_f16 v82, v121, v109, v82
	;;#ASMEND
	ds_load_b128 v[12:15], v41 offset:32848
	ds_load_b128 v[0:3], v105 offset:80
	ds_load_b128 v[4:7], v105 offset:1104
	ds_load_b128 v[8:11], v105 offset:2128
	ds_load_b128 v[106:109], v105 offset:3152
	ds_load_b128 v[110:113], v41 offset:37456
	ds_load_b128 v[114:117], v41 offset:42064
	ds_load_b128 v[118:121], v41 offset:46672
	s_waitcnt lgkmcnt(6)
	;;#ASMSTART
	v_dot2_f32_f16 v51, v12, v0, v51
	;;#ASMEND
	;;#ASMSTART
	v_dot2_f32_f16 v51, v13, v1, v51
	;;#ASMEND
	;;#ASMSTART
	v_dot2_f32_f16 v51, v14, v2, v51
	;;#ASMEND
	;;#ASMSTART
	v_dot2_f32_f16 v51, v15, v3, v51
	;;#ASMEND
	s_waitcnt lgkmcnt(5)
	;;#ASMSTART
	v_dot2_f32_f16 v100, v12, v4, v100
	;;#ASMEND
	;;#ASMSTART
	v_dot2_f32_f16 v100, v13, v5, v100
	;;#ASMEND
	;;#ASMSTART
	v_dot2_f32_f16 v100, v14, v6, v100
	;;#ASMEND
	;;#ASMSTART
	v_dot2_f32_f16 v100, v15, v7, v100
	;;#ASMEND
	;; [unrolled: 13-line block ×5, first 2 shown]
	;;#ASMSTART
	v_dot2_f32_f16 v101, v110, v4, v101
	;;#ASMEND
	;;#ASMSTART
	v_dot2_f32_f16 v101, v111, v5, v101
	;;#ASMEND
	;; [unrolled: 3-line block ×12, first 2 shown]
	s_waitcnt lgkmcnt(1)
	;;#ASMSTART
	v_dot2_f32_f16 v103, v114, v0, v103
	;;#ASMEND
	;;#ASMSTART
	v_dot2_f32_f16 v103, v115, v1, v103
	;;#ASMEND
	;;#ASMSTART
	v_dot2_f32_f16 v103, v116, v2, v103
	;;#ASMEND
	;;#ASMSTART
	v_dot2_f32_f16 v103, v117, v3, v103
	;;#ASMEND
	;;#ASMSTART
	v_dot2_f32_f16 v98, v114, v4, v98
	;;#ASMEND
	;;#ASMSTART
	v_dot2_f32_f16 v98, v115, v5, v98
	;;#ASMEND
	;;#ASMSTART
	v_dot2_f32_f16 v98, v116, v6, v98
	;;#ASMEND
	;;#ASMSTART
	v_dot2_f32_f16 v98, v117, v7, v98
	;;#ASMEND
	;;#ASMSTART
	v_dot2_f32_f16 v97, v114, v8, v97
	;;#ASMEND
	;;#ASMSTART
	v_dot2_f32_f16 v97, v115, v9, v97
	;;#ASMEND
	;;#ASMSTART
	v_dot2_f32_f16 v97, v116, v10, v97
	;;#ASMEND
	;;#ASMSTART
	v_dot2_f32_f16 v97, v117, v11, v97
	;;#ASMEND
	;;#ASMSTART
	v_dot2_f32_f16 v83, v114, v106, v83
	;;#ASMEND
	;;#ASMSTART
	v_dot2_f32_f16 v83, v115, v107, v83
	;;#ASMEND
	;;#ASMSTART
	v_dot2_f32_f16 v83, v116, v108, v83
	;;#ASMEND
	;;#ASMSTART
	v_dot2_f32_f16 v83, v117, v109, v83
	;;#ASMEND
	s_waitcnt lgkmcnt(0)
	;;#ASMSTART
	v_dot2_f32_f16 v104, v118, v0, v104
	;;#ASMEND
	;;#ASMSTART
	v_dot2_f32_f16 v104, v119, v1, v104
	;;#ASMEND
	;; [unrolled: 3-line block ×16, first 2 shown]
	ds_load_b128 v[0:3], v41 offset:32864
	ds_load_b128 v[4:7], v105 offset:96
	;; [unrolled: 1-line block ×8, first 2 shown]
	s_waitcnt lgkmcnt(6)
	;;#ASMSTART
	v_dot2_f32_f16 v51, v0, v4, v51
	;;#ASMEND
	;;#ASMSTART
	v_dot2_f32_f16 v51, v1, v5, v51
	;;#ASMEND
	;;#ASMSTART
	v_dot2_f32_f16 v51, v2, v6, v51
	;;#ASMEND
	;;#ASMSTART
	v_dot2_f32_f16 v51, v3, v7, v51
	;;#ASMEND
	s_waitcnt lgkmcnt(5)
	;;#ASMSTART
	v_dot2_f32_f16 v100, v0, v8, v100
	;;#ASMEND
	;;#ASMSTART
	v_dot2_f32_f16 v100, v1, v9, v100
	;;#ASMEND
	;;#ASMSTART
	v_dot2_f32_f16 v100, v2, v10, v100
	;;#ASMEND
	;;#ASMSTART
	v_dot2_f32_f16 v100, v3, v11, v100
	;;#ASMEND
	;; [unrolled: 13-line block ×5, first 2 shown]
	;;#ASMSTART
	v_dot2_f32_f16 v101, v110, v8, v101
	;;#ASMEND
	;;#ASMSTART
	v_dot2_f32_f16 v101, v111, v9, v101
	;;#ASMEND
	;; [unrolled: 3-line block ×12, first 2 shown]
	s_waitcnt lgkmcnt(1)
	;;#ASMSTART
	v_dot2_f32_f16 v103, v114, v4, v103
	;;#ASMEND
	;;#ASMSTART
	v_dot2_f32_f16 v103, v115, v5, v103
	;;#ASMEND
	;; [unrolled: 3-line block ×16, first 2 shown]
	s_waitcnt lgkmcnt(0)
	;;#ASMSTART
	v_dot2_f32_f16 v104, v118, v4, v104
	;;#ASMEND
	;;#ASMSTART
	v_dot2_f32_f16 v104, v119, v5, v104
	;;#ASMEND
	;; [unrolled: 3-line block ×16, first 2 shown]
	ds_load_b128 v[0:3], v41 offset:32880
	ds_load_b128 v[4:7], v105 offset:112
	;; [unrolled: 1-line block ×8, first 2 shown]
	s_waitcnt lgkmcnt(6)
	;;#ASMSTART
	v_dot2_f32_f16 v51, v0, v4, v51
	;;#ASMEND
	;;#ASMSTART
	v_dot2_f32_f16 v51, v1, v5, v51
	;;#ASMEND
	;;#ASMSTART
	v_dot2_f32_f16 v51, v2, v6, v51
	;;#ASMEND
	;;#ASMSTART
	v_dot2_f32_f16 v51, v3, v7, v51
	;;#ASMEND
	s_waitcnt lgkmcnt(5)
	;;#ASMSTART
	v_dot2_f32_f16 v100, v0, v8, v100
	;;#ASMEND
	;;#ASMSTART
	v_dot2_f32_f16 v100, v1, v9, v100
	;;#ASMEND
	;;#ASMSTART
	v_dot2_f32_f16 v100, v2, v10, v100
	;;#ASMEND
	;;#ASMSTART
	v_dot2_f32_f16 v100, v3, v11, v100
	;;#ASMEND
	s_waitcnt lgkmcnt(4)
	;;#ASMSTART
	v_dot2_f32_f16 v94, v0, v12, v94
	;;#ASMEND
	;;#ASMSTART
	v_dot2_f32_f16 v94, v1, v13, v94
	;;#ASMEND
	;;#ASMSTART
	v_dot2_f32_f16 v94, v2, v14, v94
	;;#ASMEND
	;;#ASMSTART
	v_dot2_f32_f16 v94, v3, v15, v94
	;;#ASMEND
	s_waitcnt lgkmcnt(3)
	;;#ASMSTART
	v_dot2_f32_f16 v84, v0, v105, v84
	;;#ASMEND
	;;#ASMSTART
	v_dot2_f32_f16 v84, v1, v106, v84
	;;#ASMEND
	;;#ASMSTART
	v_dot2_f32_f16 v84, v2, v107, v84
	;;#ASMEND
	;;#ASMSTART
	v_dot2_f32_f16 v84, v3, v108, v84
	;;#ASMEND
	s_waitcnt lgkmcnt(2)
	;;#ASMSTART
	v_dot2_f32_f16 v102, v109, v4, v102
	;;#ASMEND
	;;#ASMSTART
	v_dot2_f32_f16 v102, v110, v5, v102
	;;#ASMEND
	;;#ASMSTART
	v_dot2_f32_f16 v102, v111, v6, v102
	;;#ASMEND
	;;#ASMSTART
	v_dot2_f32_f16 v102, v112, v7, v102
	;;#ASMEND
	;;#ASMSTART
	v_dot2_f32_f16 v101, v109, v8, v101
	;;#ASMEND
	;;#ASMSTART
	v_dot2_f32_f16 v101, v110, v9, v101
	;;#ASMEND
	;; [unrolled: 3-line block ×5, first 2 shown]
	s_lshl_b64 s[26:27], s[8:9], 2
	;;#ASMSTART
	v_dot2_f32_f16 v96, v110, v13, v96
	;;#ASMEND
	;;#ASMSTART
	v_dot2_f32_f16 v96, v111, v14, v96
	;;#ASMEND
	s_add_u32 s8, s20, s26
	;;#ASMSTART
	v_dot2_f32_f16 v96, v112, v15, v96
	;;#ASMEND
	;;#ASMSTART
	v_dot2_f32_f16 v86, v109, v105, v86
	;;#ASMEND
	;; [unrolled: 3-line block ×3, first 2 shown]
	s_addc_u32 s26, s21, s27
	v_add_co_u32 v122, vcc_lo, s8, v19
	;;#ASMSTART
	v_dot2_f32_f16 v86, v111, v107, v86
	;;#ASMEND
	;;#ASMSTART
	v_dot2_f32_f16 v86, v112, v108, v86
	;;#ASMEND
	s_waitcnt lgkmcnt(1)
	;;#ASMSTART
	v_dot2_f32_f16 v103, v113, v4, v103
	;;#ASMEND
	v_add_co_ci_u32_e32 v123, vcc_lo, s26, v20, vcc_lo
	;;#ASMSTART
	v_dot2_f32_f16 v103, v114, v5, v103
	;;#ASMEND
	v_add_co_u32 v124, vcc_lo, s8, v21
	;;#ASMSTART
	v_dot2_f32_f16 v103, v115, v6, v103
	;;#ASMEND
	;;#ASMSTART
	v_dot2_f32_f16 v103, v116, v7, v103
	;;#ASMEND
	;;#ASMSTART
	v_dot2_f32_f16 v98, v113, v8, v98
	;;#ASMEND
	v_add_co_ci_u32_e32 v125, vcc_lo, s26, v22, vcc_lo
	;;#ASMSTART
	v_dot2_f32_f16 v98, v114, v9, v98
	;;#ASMEND
	v_add_co_u32 v126, vcc_lo, s8, v23
	;;#ASMSTART
	v_dot2_f32_f16 v98, v115, v10, v98
	;;#ASMEND
	;;#ASMSTART
	v_dot2_f32_f16 v98, v116, v11, v98
	;;#ASMEND
	;; [unrolled: 14-line block ×4, first 2 shown]
	s_waitcnt lgkmcnt(0)
	;;#ASMSTART
	v_dot2_f32_f16 v104, v117, v4, v104
	;;#ASMEND
	v_add_co_ci_u32_e32 v122, vcc_lo, 0, v123, vcc_lo
	;;#ASMSTART
	v_dot2_f32_f16 v104, v118, v5, v104
	;;#ASMEND
	v_add_co_u32 v123, vcc_lo, v124, v48
	;;#ASMSTART
	v_dot2_f32_f16 v104, v119, v6, v104
	;;#ASMEND
	;;#ASMSTART
	v_dot2_f32_f16 v104, v120, v7, v104
	;;#ASMEND
	;;#ASMSTART
	v_dot2_f32_f16 v99, v117, v8, v99
	;;#ASMEND
	v_add_co_ci_u32_e32 v124, vcc_lo, 0, v125, vcc_lo
	;;#ASMSTART
	v_dot2_f32_f16 v99, v118, v9, v99
	;;#ASMEND
	v_add_co_u32 v125, vcc_lo, v126, v48
	;;#ASMSTART
	v_dot2_f32_f16 v99, v119, v10, v99
	;;#ASMEND
	;;#ASMSTART
	v_dot2_f32_f16 v99, v120, v11, v99
	;;#ASMEND
	;; [unrolled: 14-line block ×3, first 2 shown]
	;;#ASMSTART
	v_dot2_f32_f16 v82, v117, v105, v82
	;;#ASMEND
	v_add_co_ci_u32_e32 v128, vcc_lo, 0, v129, vcc_lo
	;;#ASMSTART
	v_dot2_f32_f16 v82, v118, v106, v82
	;;#ASMEND
	;;#ASMSTART
	v_dot2_f32_f16 v82, v119, v107, v82
	;;#ASMEND
	;; [unrolled: 3-line block ×3, first 2 shown]
	s_barrier
	buffer_gl0_inv
	s_clause 0x3
	global_load_b128 v[1:4], v[121:122], off
	global_load_b128 v[5:8], v[123:124], off
	;; [unrolled: 1-line block ×4, first 2 shown]
	v_lshl_add_u32 v0, s23, 1, v42
	s_waitcnt vmcnt(3)
	ds_store_b128 v36, v[1:4]
	s_waitcnt vmcnt(2)
	ds_store_b128 v37, v[5:8]
	;; [unrolled: 2-line block ×4, first 2 shown]
	s_waitcnt lgkmcnt(0)
	s_barrier
	buffer_gl0_inv
	ds_load_b128 v[1:4], v41 offset:32768
	ds_load_b128 v[5:8], v0
	ds_load_b128 v[9:12], v0 offset:1024
	ds_load_b128 v[105:108], v0 offset:2048
	;; [unrolled: 1-line block ×6, first 2 shown]
	s_waitcnt lgkmcnt(6)
	;;#ASMSTART
	v_dot2_f32_f16 v51, v1, v5, v51
	;;#ASMEND
	;;#ASMSTART
	v_dot2_f32_f16 v51, v2, v6, v51
	;;#ASMEND
	;;#ASMSTART
	v_dot2_f32_f16 v51, v3, v7, v51
	;;#ASMEND
	;;#ASMSTART
	v_dot2_f32_f16 v51, v4, v8, v51
	;;#ASMEND
	s_waitcnt lgkmcnt(5)
	;;#ASMSTART
	v_dot2_f32_f16 v100, v1, v9, v100
	;;#ASMEND
	;;#ASMSTART
	v_dot2_f32_f16 v100, v2, v10, v100
	;;#ASMEND
	;;#ASMSTART
	v_dot2_f32_f16 v100, v3, v11, v100
	;;#ASMEND
	;;#ASMSTART
	v_dot2_f32_f16 v100, v4, v12, v100
	;;#ASMEND
	;; [unrolled: 13-line block ×5, first 2 shown]
	;;#ASMSTART
	v_dot2_f32_f16 v101, v113, v9, v101
	;;#ASMEND
	;;#ASMSTART
	v_dot2_f32_f16 v101, v114, v10, v101
	;;#ASMEND
	;; [unrolled: 3-line block ×12, first 2 shown]
	s_waitcnt lgkmcnt(1)
	;;#ASMSTART
	v_dot2_f32_f16 v103, v117, v5, v103
	;;#ASMEND
	;;#ASMSTART
	v_dot2_f32_f16 v103, v118, v6, v103
	;;#ASMEND
	;; [unrolled: 3-line block ×16, first 2 shown]
	s_waitcnt lgkmcnt(0)
	;;#ASMSTART
	v_dot2_f32_f16 v104, v121, v5, v104
	;;#ASMEND
	;;#ASMSTART
	v_dot2_f32_f16 v104, v122, v6, v104
	;;#ASMEND
	;;#ASMSTART
	v_dot2_f32_f16 v104, v123, v7, v104
	;;#ASMEND
	;;#ASMSTART
	v_dot2_f32_f16 v104, v124, v8, v104
	;;#ASMEND
	;;#ASMSTART
	v_dot2_f32_f16 v99, v121, v9, v99
	;;#ASMEND
	;;#ASMSTART
	v_dot2_f32_f16 v99, v122, v10, v99
	;;#ASMEND
	;;#ASMSTART
	v_dot2_f32_f16 v99, v123, v11, v99
	;;#ASMEND
	;;#ASMSTART
	v_dot2_f32_f16 v99, v124, v12, v99
	;;#ASMEND
	;;#ASMSTART
	v_dot2_f32_f16 v95, v121, v105, v95
	;;#ASMEND
	;;#ASMSTART
	v_dot2_f32_f16 v95, v122, v106, v95
	;;#ASMEND
	;;#ASMSTART
	v_dot2_f32_f16 v95, v123, v107, v95
	;;#ASMEND
	;;#ASMSTART
	v_dot2_f32_f16 v95, v124, v108, v95
	;;#ASMEND
	;;#ASMSTART
	v_dot2_f32_f16 v82, v121, v109, v82
	;;#ASMEND
	;;#ASMSTART
	v_dot2_f32_f16 v82, v122, v110, v82
	;;#ASMEND
	;;#ASMSTART
	v_dot2_f32_f16 v82, v123, v111, v82
	;;#ASMEND
	;;#ASMSTART
	v_dot2_f32_f16 v82, v124, v112, v82
	;;#ASMEND
	ds_load_b128 v[1:4], v41 offset:32784
	ds_load_b128 v[5:8], v0 offset:16
	;; [unrolled: 1-line block ×8, first 2 shown]
	s_waitcnt lgkmcnt(6)
	;;#ASMSTART
	v_dot2_f32_f16 v51, v1, v5, v51
	;;#ASMEND
	;;#ASMSTART
	v_dot2_f32_f16 v51, v2, v6, v51
	;;#ASMEND
	;;#ASMSTART
	v_dot2_f32_f16 v51, v3, v7, v51
	;;#ASMEND
	;;#ASMSTART
	v_dot2_f32_f16 v51, v4, v8, v51
	;;#ASMEND
	s_waitcnt lgkmcnt(5)
	;;#ASMSTART
	v_dot2_f32_f16 v100, v1, v9, v100
	;;#ASMEND
	;;#ASMSTART
	v_dot2_f32_f16 v100, v2, v10, v100
	;;#ASMEND
	;;#ASMSTART
	v_dot2_f32_f16 v100, v3, v11, v100
	;;#ASMEND
	;;#ASMSTART
	v_dot2_f32_f16 v100, v4, v12, v100
	;;#ASMEND
	s_waitcnt lgkmcnt(4)
	;;#ASMSTART
	v_dot2_f32_f16 v94, v1, v105, v94
	;;#ASMEND
	;;#ASMSTART
	v_dot2_f32_f16 v94, v2, v106, v94
	;;#ASMEND
	;;#ASMSTART
	v_dot2_f32_f16 v94, v3, v107, v94
	;;#ASMEND
	;;#ASMSTART
	v_dot2_f32_f16 v94, v4, v108, v94
	;;#ASMEND
	s_waitcnt lgkmcnt(3)
	;;#ASMSTART
	v_dot2_f32_f16 v84, v1, v109, v84
	;;#ASMEND
	;;#ASMSTART
	v_dot2_f32_f16 v84, v2, v110, v84
	;;#ASMEND
	;;#ASMSTART
	v_dot2_f32_f16 v84, v3, v111, v84
	;;#ASMEND
	;;#ASMSTART
	v_dot2_f32_f16 v84, v4, v112, v84
	;;#ASMEND
	s_waitcnt lgkmcnt(2)
	;;#ASMSTART
	v_dot2_f32_f16 v102, v113, v5, v102
	;;#ASMEND
	;;#ASMSTART
	v_dot2_f32_f16 v102, v114, v6, v102
	;;#ASMEND
	;;#ASMSTART
	v_dot2_f32_f16 v102, v115, v7, v102
	;;#ASMEND
	;;#ASMSTART
	v_dot2_f32_f16 v102, v116, v8, v102
	;;#ASMEND
	;;#ASMSTART
	v_dot2_f32_f16 v101, v113, v9, v101
	;;#ASMEND
	;;#ASMSTART
	v_dot2_f32_f16 v101, v114, v10, v101
	;;#ASMEND
	;; [unrolled: 3-line block ×12, first 2 shown]
	s_waitcnt lgkmcnt(1)
	;;#ASMSTART
	v_dot2_f32_f16 v103, v117, v5, v103
	;;#ASMEND
	;;#ASMSTART
	v_dot2_f32_f16 v103, v118, v6, v103
	;;#ASMEND
	;; [unrolled: 3-line block ×16, first 2 shown]
	s_waitcnt lgkmcnt(0)
	;;#ASMSTART
	v_dot2_f32_f16 v104, v121, v5, v104
	;;#ASMEND
	;;#ASMSTART
	v_dot2_f32_f16 v104, v122, v6, v104
	;;#ASMEND
	;; [unrolled: 3-line block ×16, first 2 shown]
	ds_load_b128 v[1:4], v41 offset:32800
	ds_load_b128 v[5:8], v0 offset:32
	;; [unrolled: 1-line block ×8, first 2 shown]
	s_waitcnt lgkmcnt(6)
	;;#ASMSTART
	v_dot2_f32_f16 v51, v1, v5, v51
	;;#ASMEND
	;;#ASMSTART
	v_dot2_f32_f16 v51, v2, v6, v51
	;;#ASMEND
	;;#ASMSTART
	v_dot2_f32_f16 v51, v3, v7, v51
	;;#ASMEND
	;;#ASMSTART
	v_dot2_f32_f16 v51, v4, v8, v51
	;;#ASMEND
	s_waitcnt lgkmcnt(5)
	;;#ASMSTART
	v_dot2_f32_f16 v100, v1, v9, v100
	;;#ASMEND
	;;#ASMSTART
	v_dot2_f32_f16 v100, v2, v10, v100
	;;#ASMEND
	;;#ASMSTART
	v_dot2_f32_f16 v100, v3, v11, v100
	;;#ASMEND
	;;#ASMSTART
	v_dot2_f32_f16 v100, v4, v12, v100
	;;#ASMEND
	;; [unrolled: 13-line block ×5, first 2 shown]
	;;#ASMSTART
	v_dot2_f32_f16 v101, v113, v9, v101
	;;#ASMEND
	;;#ASMSTART
	v_dot2_f32_f16 v101, v114, v10, v101
	;;#ASMEND
	;; [unrolled: 3-line block ×12, first 2 shown]
	s_waitcnt lgkmcnt(1)
	;;#ASMSTART
	v_dot2_f32_f16 v103, v117, v5, v103
	;;#ASMEND
	;;#ASMSTART
	v_dot2_f32_f16 v103, v118, v6, v103
	;;#ASMEND
	;; [unrolled: 3-line block ×16, first 2 shown]
	s_waitcnt lgkmcnt(0)
	;;#ASMSTART
	v_dot2_f32_f16 v104, v121, v5, v104
	;;#ASMEND
	;;#ASMSTART
	v_dot2_f32_f16 v104, v122, v6, v104
	;;#ASMEND
	;;#ASMSTART
	v_dot2_f32_f16 v104, v123, v7, v104
	;;#ASMEND
	;;#ASMSTART
	v_dot2_f32_f16 v104, v124, v8, v104
	;;#ASMEND
	;;#ASMSTART
	v_dot2_f32_f16 v99, v121, v9, v99
	;;#ASMEND
	;;#ASMSTART
	v_dot2_f32_f16 v99, v122, v10, v99
	;;#ASMEND
	;;#ASMSTART
	v_dot2_f32_f16 v99, v123, v11, v99
	;;#ASMEND
	;;#ASMSTART
	v_dot2_f32_f16 v99, v124, v12, v99
	;;#ASMEND
	;;#ASMSTART
	v_dot2_f32_f16 v95, v121, v105, v95
	;;#ASMEND
	;;#ASMSTART
	v_dot2_f32_f16 v95, v122, v106, v95
	;;#ASMEND
	;;#ASMSTART
	v_dot2_f32_f16 v95, v123, v107, v95
	;;#ASMEND
	;;#ASMSTART
	v_dot2_f32_f16 v95, v124, v108, v95
	;;#ASMEND
	;;#ASMSTART
	v_dot2_f32_f16 v82, v121, v109, v82
	;;#ASMEND
	;;#ASMSTART
	v_dot2_f32_f16 v82, v122, v110, v82
	;;#ASMEND
	;;#ASMSTART
	v_dot2_f32_f16 v82, v123, v111, v82
	;;#ASMEND
	;;#ASMSTART
	v_dot2_f32_f16 v82, v124, v112, v82
	;;#ASMEND
	ds_load_b128 v[1:4], v41 offset:32816
	ds_load_b128 v[5:8], v0 offset:48
	;; [unrolled: 1-line block ×8, first 2 shown]
	s_waitcnt lgkmcnt(6)
	;;#ASMSTART
	v_dot2_f32_f16 v51, v1, v5, v51
	;;#ASMEND
	;;#ASMSTART
	v_dot2_f32_f16 v51, v2, v6, v51
	;;#ASMEND
	;;#ASMSTART
	v_dot2_f32_f16 v51, v3, v7, v51
	;;#ASMEND
	;;#ASMSTART
	v_dot2_f32_f16 v51, v4, v8, v51
	;;#ASMEND
	s_waitcnt lgkmcnt(5)
	;;#ASMSTART
	v_dot2_f32_f16 v100, v1, v9, v100
	;;#ASMEND
	;;#ASMSTART
	v_dot2_f32_f16 v100, v2, v10, v100
	;;#ASMEND
	;;#ASMSTART
	v_dot2_f32_f16 v100, v3, v11, v100
	;;#ASMEND
	;;#ASMSTART
	v_dot2_f32_f16 v100, v4, v12, v100
	;;#ASMEND
	;; [unrolled: 13-line block ×5, first 2 shown]
	;;#ASMSTART
	v_dot2_f32_f16 v101, v113, v9, v101
	;;#ASMEND
	;;#ASMSTART
	v_dot2_f32_f16 v101, v114, v10, v101
	;;#ASMEND
	;; [unrolled: 3-line block ×12, first 2 shown]
	s_waitcnt lgkmcnt(1)
	;;#ASMSTART
	v_dot2_f32_f16 v103, v117, v5, v103
	;;#ASMEND
	;;#ASMSTART
	v_dot2_f32_f16 v103, v118, v6, v103
	;;#ASMEND
	;; [unrolled: 3-line block ×16, first 2 shown]
	s_waitcnt lgkmcnt(0)
	;;#ASMSTART
	v_dot2_f32_f16 v104, v121, v5, v104
	;;#ASMEND
	;;#ASMSTART
	v_dot2_f32_f16 v104, v122, v6, v104
	;;#ASMEND
	;; [unrolled: 3-line block ×16, first 2 shown]
	ds_load_b128 v[1:4], v41 offset:32832
	ds_load_b128 v[5:8], v0 offset:64
	;; [unrolled: 1-line block ×8, first 2 shown]
	s_waitcnt lgkmcnt(6)
	;;#ASMSTART
	v_dot2_f32_f16 v51, v1, v5, v51
	;;#ASMEND
	;;#ASMSTART
	v_dot2_f32_f16 v51, v2, v6, v51
	;;#ASMEND
	;;#ASMSTART
	v_dot2_f32_f16 v51, v3, v7, v51
	;;#ASMEND
	;;#ASMSTART
	v_dot2_f32_f16 v51, v4, v8, v51
	;;#ASMEND
	s_waitcnt lgkmcnt(5)
	;;#ASMSTART
	v_dot2_f32_f16 v100, v1, v9, v100
	;;#ASMEND
	;;#ASMSTART
	v_dot2_f32_f16 v100, v2, v10, v100
	;;#ASMEND
	;;#ASMSTART
	v_dot2_f32_f16 v100, v3, v11, v100
	;;#ASMEND
	;;#ASMSTART
	v_dot2_f32_f16 v100, v4, v12, v100
	;;#ASMEND
	;; [unrolled: 13-line block ×5, first 2 shown]
	;;#ASMSTART
	v_dot2_f32_f16 v101, v113, v9, v101
	;;#ASMEND
	;;#ASMSTART
	v_dot2_f32_f16 v101, v114, v10, v101
	;;#ASMEND
	;; [unrolled: 3-line block ×12, first 2 shown]
	s_waitcnt lgkmcnt(1)
	;;#ASMSTART
	v_dot2_f32_f16 v103, v117, v5, v103
	;;#ASMEND
	;;#ASMSTART
	v_dot2_f32_f16 v103, v118, v6, v103
	;;#ASMEND
	;; [unrolled: 3-line block ×16, first 2 shown]
	s_waitcnt lgkmcnt(0)
	;;#ASMSTART
	v_dot2_f32_f16 v104, v121, v5, v104
	;;#ASMEND
	;;#ASMSTART
	v_dot2_f32_f16 v104, v122, v6, v104
	;;#ASMEND
	;; [unrolled: 3-line block ×16, first 2 shown]
	ds_load_b128 v[1:4], v41 offset:32848
	ds_load_b128 v[5:8], v0 offset:80
	;; [unrolled: 1-line block ×8, first 2 shown]
	s_waitcnt lgkmcnt(6)
	;;#ASMSTART
	v_dot2_f32_f16 v51, v1, v5, v51
	;;#ASMEND
	;;#ASMSTART
	v_dot2_f32_f16 v51, v2, v6, v51
	;;#ASMEND
	;;#ASMSTART
	v_dot2_f32_f16 v51, v3, v7, v51
	;;#ASMEND
	;;#ASMSTART
	v_dot2_f32_f16 v51, v4, v8, v51
	;;#ASMEND
	s_waitcnt lgkmcnt(5)
	;;#ASMSTART
	v_dot2_f32_f16 v100, v1, v9, v100
	;;#ASMEND
	;;#ASMSTART
	v_dot2_f32_f16 v100, v2, v10, v100
	;;#ASMEND
	;;#ASMSTART
	v_dot2_f32_f16 v100, v3, v11, v100
	;;#ASMEND
	;;#ASMSTART
	v_dot2_f32_f16 v100, v4, v12, v100
	;;#ASMEND
	;; [unrolled: 13-line block ×5, first 2 shown]
	;;#ASMSTART
	v_dot2_f32_f16 v101, v113, v9, v101
	;;#ASMEND
	;;#ASMSTART
	v_dot2_f32_f16 v101, v114, v10, v101
	;;#ASMEND
	;; [unrolled: 3-line block ×12, first 2 shown]
	s_waitcnt lgkmcnt(1)
	;;#ASMSTART
	v_dot2_f32_f16 v103, v117, v5, v103
	;;#ASMEND
	;;#ASMSTART
	v_dot2_f32_f16 v103, v118, v6, v103
	;;#ASMEND
	;; [unrolled: 3-line block ×16, first 2 shown]
	s_waitcnt lgkmcnt(0)
	;;#ASMSTART
	v_dot2_f32_f16 v104, v121, v5, v104
	;;#ASMEND
	;;#ASMSTART
	v_dot2_f32_f16 v104, v122, v6, v104
	;;#ASMEND
	;; [unrolled: 3-line block ×16, first 2 shown]
	ds_load_b128 v[1:4], v41 offset:32864
	ds_load_b128 v[5:8], v0 offset:96
	;; [unrolled: 1-line block ×8, first 2 shown]
	s_waitcnt lgkmcnt(6)
	;;#ASMSTART
	v_dot2_f32_f16 v51, v1, v5, v51
	;;#ASMEND
	;;#ASMSTART
	v_dot2_f32_f16 v51, v2, v6, v51
	;;#ASMEND
	;;#ASMSTART
	v_dot2_f32_f16 v51, v3, v7, v51
	;;#ASMEND
	;;#ASMSTART
	v_dot2_f32_f16 v51, v4, v8, v51
	;;#ASMEND
	s_waitcnt lgkmcnt(5)
	;;#ASMSTART
	v_dot2_f32_f16 v100, v1, v9, v100
	;;#ASMEND
	;;#ASMSTART
	v_dot2_f32_f16 v100, v2, v10, v100
	;;#ASMEND
	;;#ASMSTART
	v_dot2_f32_f16 v100, v3, v11, v100
	;;#ASMEND
	;;#ASMSTART
	v_dot2_f32_f16 v100, v4, v12, v100
	;;#ASMEND
	;; [unrolled: 13-line block ×5, first 2 shown]
	;;#ASMSTART
	v_dot2_f32_f16 v101, v113, v9, v101
	;;#ASMEND
	;;#ASMSTART
	v_dot2_f32_f16 v101, v114, v10, v101
	;;#ASMEND
	;;#ASMSTART
	v_dot2_f32_f16 v101, v115, v11, v101
	;;#ASMEND
	;;#ASMSTART
	v_dot2_f32_f16 v101, v116, v12, v101
	;;#ASMEND
	;;#ASMSTART
	v_dot2_f32_f16 v96, v113, v105, v96
	;;#ASMEND
	;;#ASMSTART
	v_dot2_f32_f16 v96, v114, v106, v96
	;;#ASMEND
	;;#ASMSTART
	v_dot2_f32_f16 v96, v115, v107, v96
	;;#ASMEND
	;;#ASMSTART
	v_dot2_f32_f16 v96, v116, v108, v96
	;;#ASMEND
	;;#ASMSTART
	v_dot2_f32_f16 v86, v113, v109, v86
	;;#ASMEND
	;;#ASMSTART
	v_dot2_f32_f16 v86, v114, v110, v86
	;;#ASMEND
	;;#ASMSTART
	v_dot2_f32_f16 v86, v115, v111, v86
	;;#ASMEND
	;;#ASMSTART
	v_dot2_f32_f16 v86, v116, v112, v86
	;;#ASMEND
	s_waitcnt lgkmcnt(1)
	;;#ASMSTART
	v_dot2_f32_f16 v103, v117, v5, v103
	;;#ASMEND
	;;#ASMSTART
	v_dot2_f32_f16 v103, v118, v6, v103
	;;#ASMEND
	;; [unrolled: 3-line block ×16, first 2 shown]
	s_waitcnt lgkmcnt(0)
	;;#ASMSTART
	v_dot2_f32_f16 v104, v121, v5, v104
	;;#ASMEND
	;;#ASMSTART
	v_dot2_f32_f16 v104, v122, v6, v104
	;;#ASMEND
	;; [unrolled: 3-line block ×16, first 2 shown]
	ds_load_b128 v[1:4], v41 offset:32880
	ds_load_b128 v[5:8], v0 offset:112
	;; [unrolled: 1-line block ×8, first 2 shown]
	s_waitcnt lgkmcnt(6)
	;;#ASMSTART
	v_dot2_f32_f16 v51, v1, v5, v51
	;;#ASMEND
	;;#ASMSTART
	v_dot2_f32_f16 v51, v2, v6, v51
	;;#ASMEND
	;;#ASMSTART
	v_dot2_f32_f16 v51, v3, v7, v51
	;;#ASMEND
	;;#ASMSTART
	v_dot2_f32_f16 v51, v4, v8, v51
	;;#ASMEND
	s_waitcnt lgkmcnt(5)
	;;#ASMSTART
	v_dot2_f32_f16 v100, v1, v9, v100
	;;#ASMEND
	;;#ASMSTART
	v_dot2_f32_f16 v100, v2, v10, v100
	;;#ASMEND
	;;#ASMSTART
	v_dot2_f32_f16 v100, v3, v11, v100
	;;#ASMEND
	;;#ASMSTART
	v_dot2_f32_f16 v100, v4, v12, v100
	;;#ASMEND
	;; [unrolled: 13-line block ×5, first 2 shown]
	;;#ASMSTART
	v_dot2_f32_f16 v101, v113, v9, v101
	;;#ASMEND
	;;#ASMSTART
	v_dot2_f32_f16 v101, v114, v10, v101
	;;#ASMEND
	;; [unrolled: 3-line block ×12, first 2 shown]
	s_waitcnt lgkmcnt(1)
	;;#ASMSTART
	v_dot2_f32_f16 v103, v117, v5, v103
	;;#ASMEND
	;;#ASMSTART
	v_dot2_f32_f16 v103, v118, v6, v103
	;;#ASMEND
	;; [unrolled: 3-line block ×16, first 2 shown]
	s_waitcnt lgkmcnt(0)
	;;#ASMSTART
	v_dot2_f32_f16 v104, v121, v5, v104
	;;#ASMEND
	;;#ASMSTART
	v_dot2_f32_f16 v104, v122, v6, v104
	;;#ASMEND
	;; [unrolled: 3-line block ×7, first 2 shown]
	s_cmpk_gt_u32 s23, 0x1bf
	;;#ASMSTART
	v_dot2_f32_f16 v99, v124, v12, v99
	;;#ASMEND
	;;#ASMSTART
	v_dot2_f32_f16 v95, v121, v105, v95
	;;#ASMEND
	;; [unrolled: 3-line block ×3, first 2 shown]
	s_cselect_b32 s8, -1, 0
	;;#ASMSTART
	v_dot2_f32_f16 v95, v123, v107, v95
	;;#ASMEND
	;;#ASMSTART
	v_dot2_f32_f16 v95, v124, v108, v95
	;;#ASMEND
	;; [unrolled: 3-line block ×3, first 2 shown]
	s_and_b32 vcc_lo, exec_lo, s8
	;;#ASMSTART
	v_dot2_f32_f16 v82, v122, v110, v82
	;;#ASMEND
	;;#ASMSTART
	v_dot2_f32_f16 v82, v123, v111, v82
	;;#ASMEND
	;; [unrolled: 3-line block ×3, first 2 shown]
	s_cbranch_vccnz .LBB26_10
; %bb.12:                               ;   in Loop: Header=BB26_11 Depth=2
	s_barrier
	buffer_gl0_inv
	s_branch .LBB26_10
.LBB26_13:                              ;   in Loop: Header=BB26_9 Depth=1
	v_cmp_ngt_f32_e64 s8, 0x3f200000, |v51|
                                        ; implicit-def: $vgpr2
	s_delay_alu instid0(VALU_DEP_1) | instskip(NEXT) | instid1(SALU_CYCLE_1)
	s_and_saveexec_b32 s20, s8
	s_xor_b32 s8, exec_lo, s20
	s_cbranch_execz .LBB26_15
; %bb.14:                               ;   in Loop: Header=BB26_9 Depth=1
	v_add_f32_e64 v0, |v51|, |v51|
	s_delay_alu instid0(VALU_DEP_1) | instskip(SKIP_1) | instid1(VALU_DEP_2)
	v_mul_f32_e32 v1, 0x3fb8aa3b, v0
	v_cmp_ngt_f32_e32 vcc_lo, 0xc2ce8ed0, v0
	v_rndne_f32_e32 v2, v1
	v_fma_f32 v3, 0x3fb8aa3b, v0, -v1
	s_delay_alu instid0(VALU_DEP_2) | instskip(NEXT) | instid1(VALU_DEP_2)
	v_sub_f32_e32 v1, v1, v2
	v_fmac_f32_e32 v3, 0x32a5705f, v0
	v_cvt_i32_f32_e32 v2, v2
	s_delay_alu instid0(VALU_DEP_2) | instskip(NEXT) | instid1(VALU_DEP_1)
	v_add_f32_e32 v1, v1, v3
	v_exp_f32_e32 v1, v1
	s_waitcnt_depctr 0xfff
	v_ldexp_f32 v1, v1, v2
	s_delay_alu instid0(VALU_DEP_1) | instskip(SKIP_1) | instid1(VALU_DEP_2)
	v_cndmask_b32_e32 v1, 0, v1, vcc_lo
	v_cmp_nlt_f32_e32 vcc_lo, 0x42b17218, v0
	v_cndmask_b32_e32 v0, 0x7f800000, v1, vcc_lo
	s_delay_alu instid0(VALU_DEP_1) | instskip(NEXT) | instid1(VALU_DEP_1)
	v_add_f32_e32 v0, 1.0, v0
	v_rcp_f32_e32 v0, v0
	s_waitcnt_depctr 0xfff
	v_fma_f32 v2, v0, -2.0, 1.0
.LBB26_15:                              ;   in Loop: Header=BB26_9 Depth=1
	s_and_not1_saveexec_b32 s8, s8
; %bb.16:                               ;   in Loop: Header=BB26_9 Depth=1
	v_mul_f32_e32 v0, v51, v51
	s_delay_alu instid0(VALU_DEP_1) | instskip(NEXT) | instid1(VALU_DEP_1)
	v_fmaak_f32 v1, s19, v0, 0x3ca908c9
	v_fmaak_f32 v1, v0, v1, 0xbd5c1c4e
	s_delay_alu instid0(VALU_DEP_1) | instskip(NEXT) | instid1(VALU_DEP_1)
	v_fmaak_f32 v1, v0, v1, 0x3e088382
	v_fmaak_f32 v1, v0, v1, 0xbeaaaa99
	s_delay_alu instid0(VALU_DEP_1) | instskip(NEXT) | instid1(VALU_DEP_1)
	v_mul_f32_e64 v1, |v51|, v1
	v_fma_f32 v2, v0, v1, |v51|
; %bb.17:                               ;   in Loop: Header=BB26_9 Depth=1
	s_or_b32 exec_lo, exec_lo, s8
	v_add_nc_u32_e32 v0, s3, v18
	v_cmp_ngt_f32_e64 s8, 0x3f200000, |v102|
                                        ; implicit-def: $vgpr3
	s_delay_alu instid0(VALU_DEP_2) | instskip(NEXT) | instid1(VALU_DEP_1)
	v_ashrrev_i32_e32 v1, 31, v0
	v_lshlrev_b64 v[0:1], 1, v[0:1]
	s_delay_alu instid0(VALU_DEP_1) | instskip(NEXT) | instid1(VALU_DEP_2)
	v_add_co_u32 v0, vcc_lo, s34, v0
	v_add_co_ci_u32_e32 v1, vcc_lo, s35, v1, vcc_lo
	flat_load_u16 v4, v[0:1]
	s_and_saveexec_b32 s20, s8
	s_delay_alu instid0(SALU_CYCLE_1)
	s_xor_b32 s8, exec_lo, s20
	s_cbranch_execz .LBB26_19
; %bb.18:                               ;   in Loop: Header=BB26_9 Depth=1
	v_add_f32_e64 v3, |v102|, |v102|
	s_delay_alu instid0(VALU_DEP_1) | instskip(SKIP_1) | instid1(VALU_DEP_2)
	v_mul_f32_e32 v5, 0x3fb8aa3b, v3
	v_cmp_ngt_f32_e32 vcc_lo, 0xc2ce8ed0, v3
	v_rndne_f32_e32 v6, v5
	v_fma_f32 v7, 0x3fb8aa3b, v3, -v5
	s_delay_alu instid0(VALU_DEP_2) | instskip(NEXT) | instid1(VALU_DEP_2)
	v_sub_f32_e32 v5, v5, v6
	v_fmac_f32_e32 v7, 0x32a5705f, v3
	v_cvt_i32_f32_e32 v6, v6
	s_delay_alu instid0(VALU_DEP_2) | instskip(NEXT) | instid1(VALU_DEP_1)
	v_add_f32_e32 v5, v5, v7
	v_exp_f32_e32 v5, v5
	s_waitcnt_depctr 0xfff
	v_ldexp_f32 v5, v5, v6
	s_delay_alu instid0(VALU_DEP_1) | instskip(SKIP_1) | instid1(VALU_DEP_2)
	v_cndmask_b32_e32 v5, 0, v5, vcc_lo
	v_cmp_nlt_f32_e32 vcc_lo, 0x42b17218, v3
	v_cndmask_b32_e32 v3, 0x7f800000, v5, vcc_lo
	s_delay_alu instid0(VALU_DEP_1) | instskip(NEXT) | instid1(VALU_DEP_1)
	v_add_f32_e32 v3, 1.0, v3
	v_rcp_f32_e32 v3, v3
	s_waitcnt_depctr 0xfff
	v_fma_f32 v3, v3, -2.0, 1.0
.LBB26_19:                              ;   in Loop: Header=BB26_9 Depth=1
	s_and_not1_saveexec_b32 s8, s8
; %bb.20:                               ;   in Loop: Header=BB26_9 Depth=1
	v_mul_f32_e32 v3, v102, v102
	s_delay_alu instid0(VALU_DEP_1) | instskip(NEXT) | instid1(VALU_DEP_1)
	v_fmaak_f32 v5, s19, v3, 0x3ca908c9
	v_fmaak_f32 v5, v3, v5, 0xbd5c1c4e
	s_delay_alu instid0(VALU_DEP_1) | instskip(NEXT) | instid1(VALU_DEP_1)
	v_fmaak_f32 v5, v3, v5, 0x3e088382
	v_fmaak_f32 v5, v3, v5, 0xbeaaaa99
	s_delay_alu instid0(VALU_DEP_1) | instskip(NEXT) | instid1(VALU_DEP_1)
	v_mul_f32_e64 v5, |v102|, v5
	v_fma_f32 v3, v3, v5, |v102|
; %bb.21:                               ;   in Loop: Header=BB26_9 Depth=1
	s_or_b32 exec_lo, exec_lo, s8
	flat_load_u16 v5, v[0:1] offset:64
	v_cmp_ngt_f32_e64 s8, 0x3f200000, |v103|
                                        ; implicit-def: $vgpr6
	s_delay_alu instid0(VALU_DEP_1) | instskip(NEXT) | instid1(SALU_CYCLE_1)
	s_and_saveexec_b32 s20, s8
	s_xor_b32 s8, exec_lo, s20
	s_cbranch_execz .LBB26_23
; %bb.22:                               ;   in Loop: Header=BB26_9 Depth=1
	v_add_f32_e64 v6, |v103|, |v103|
	s_delay_alu instid0(VALU_DEP_1) | instskip(SKIP_1) | instid1(VALU_DEP_2)
	v_mul_f32_e32 v7, 0x3fb8aa3b, v6
	v_cmp_ngt_f32_e32 vcc_lo, 0xc2ce8ed0, v6
	v_rndne_f32_e32 v8, v7
	v_fma_f32 v9, 0x3fb8aa3b, v6, -v7
	s_delay_alu instid0(VALU_DEP_2) | instskip(NEXT) | instid1(VALU_DEP_2)
	v_sub_f32_e32 v7, v7, v8
	v_fmac_f32_e32 v9, 0x32a5705f, v6
	v_cvt_i32_f32_e32 v8, v8
	s_delay_alu instid0(VALU_DEP_2) | instskip(NEXT) | instid1(VALU_DEP_1)
	v_add_f32_e32 v7, v7, v9
	v_exp_f32_e32 v7, v7
	s_waitcnt_depctr 0xfff
	v_ldexp_f32 v7, v7, v8
	s_delay_alu instid0(VALU_DEP_1) | instskip(SKIP_1) | instid1(VALU_DEP_2)
	v_cndmask_b32_e32 v7, 0, v7, vcc_lo
	v_cmp_nlt_f32_e32 vcc_lo, 0x42b17218, v6
	v_cndmask_b32_e32 v6, 0x7f800000, v7, vcc_lo
	s_delay_alu instid0(VALU_DEP_1) | instskip(NEXT) | instid1(VALU_DEP_1)
	v_add_f32_e32 v6, 1.0, v6
	v_rcp_f32_e32 v6, v6
	s_waitcnt_depctr 0xfff
	v_fma_f32 v6, v6, -2.0, 1.0
.LBB26_23:                              ;   in Loop: Header=BB26_9 Depth=1
	s_and_not1_saveexec_b32 s8, s8
; %bb.24:                               ;   in Loop: Header=BB26_9 Depth=1
	v_mul_f32_e32 v6, v103, v103
	s_delay_alu instid0(VALU_DEP_1) | instskip(NEXT) | instid1(VALU_DEP_1)
	v_fmaak_f32 v7, s19, v6, 0x3ca908c9
	v_fmaak_f32 v7, v6, v7, 0xbd5c1c4e
	s_delay_alu instid0(VALU_DEP_1) | instskip(NEXT) | instid1(VALU_DEP_1)
	v_fmaak_f32 v7, v6, v7, 0x3e088382
	v_fmaak_f32 v7, v6, v7, 0xbeaaaa99
	s_delay_alu instid0(VALU_DEP_1) | instskip(NEXT) | instid1(VALU_DEP_1)
	v_mul_f32_e64 v7, |v103|, v7
	v_fma_f32 v6, v6, v7, |v103|
; %bb.25:                               ;   in Loop: Header=BB26_9 Depth=1
	s_or_b32 exec_lo, exec_lo, s8
	flat_load_u16 v105, v[0:1] offset:128
	v_cmp_ngt_f32_e64 s8, 0x3f200000, |v104|
                                        ; implicit-def: $vgpr7
	s_delay_alu instid0(VALU_DEP_1) | instskip(NEXT) | instid1(SALU_CYCLE_1)
	s_and_saveexec_b32 s20, s8
	s_xor_b32 s8, exec_lo, s20
	s_cbranch_execz .LBB26_27
; %bb.26:                               ;   in Loop: Header=BB26_9 Depth=1
	v_add_f32_e64 v7, |v104|, |v104|
	s_delay_alu instid0(VALU_DEP_1) | instskip(SKIP_1) | instid1(VALU_DEP_2)
	v_mul_f32_e32 v8, 0x3fb8aa3b, v7
	v_cmp_ngt_f32_e32 vcc_lo, 0xc2ce8ed0, v7
	v_rndne_f32_e32 v9, v8
	v_fma_f32 v10, 0x3fb8aa3b, v7, -v8
	s_delay_alu instid0(VALU_DEP_2) | instskip(NEXT) | instid1(VALU_DEP_2)
	v_sub_f32_e32 v8, v8, v9
	v_fmac_f32_e32 v10, 0x32a5705f, v7
	v_cvt_i32_f32_e32 v9, v9
	s_delay_alu instid0(VALU_DEP_2) | instskip(NEXT) | instid1(VALU_DEP_1)
	v_add_f32_e32 v8, v8, v10
	v_exp_f32_e32 v8, v8
	s_waitcnt_depctr 0xfff
	v_ldexp_f32 v8, v8, v9
	s_delay_alu instid0(VALU_DEP_1) | instskip(SKIP_1) | instid1(VALU_DEP_2)
	v_cndmask_b32_e32 v8, 0, v8, vcc_lo
	v_cmp_nlt_f32_e32 vcc_lo, 0x42b17218, v7
	v_cndmask_b32_e32 v7, 0x7f800000, v8, vcc_lo
	s_delay_alu instid0(VALU_DEP_1) | instskip(NEXT) | instid1(VALU_DEP_1)
	v_add_f32_e32 v7, 1.0, v7
	v_rcp_f32_e32 v7, v7
	s_waitcnt_depctr 0xfff
	v_fma_f32 v7, v7, -2.0, 1.0
.LBB26_27:                              ;   in Loop: Header=BB26_9 Depth=1
	s_and_not1_saveexec_b32 s8, s8
; %bb.28:                               ;   in Loop: Header=BB26_9 Depth=1
	v_mul_f32_e32 v7, v104, v104
	s_delay_alu instid0(VALU_DEP_1) | instskip(NEXT) | instid1(VALU_DEP_1)
	v_fmaak_f32 v8, s19, v7, 0x3ca908c9
	v_fmaak_f32 v8, v7, v8, 0xbd5c1c4e
	s_delay_alu instid0(VALU_DEP_1) | instskip(NEXT) | instid1(VALU_DEP_1)
	v_fmaak_f32 v8, v7, v8, 0x3e088382
	v_fmaak_f32 v8, v7, v8, 0xbeaaaa99
	s_delay_alu instid0(VALU_DEP_1) | instskip(NEXT) | instid1(VALU_DEP_1)
	v_mul_f32_e64 v8, |v104|, v8
	v_fma_f32 v7, v7, v8, |v104|
; %bb.29:                               ;   in Loop: Header=BB26_9 Depth=1
	s_or_b32 exec_lo, exec_lo, s8
	flat_load_u16 v106, v[0:1] offset:192
	v_bfi_b32 v0, 0x7fffffff, v2, v51
	v_bfi_b32 v1, 0x7fffffff, v3, v102
	;; [unrolled: 1-line block ×3, first 2 shown]
	v_xor_b32_e32 v51, 16, v34
	v_xor_b32_e32 v15, 8, v34
	s_waitcnt vmcnt(3) lgkmcnt(3)
	v_fma_mix_f32 v10, v0, s18, v4 op_sel_hi:[0,0,1]
	s_waitcnt vmcnt(2) lgkmcnt(2)
	v_fma_mix_f32 v11, v1, s18, v5 op_sel_hi:[0,0,1]
	v_bfi_b32 v0, 0x7fffffff, v6, v103
	v_cmp_gt_i32_e32 vcc_lo, 32, v51
	v_xor_b32_e32 v14, 4, v34
	v_add_f32_e32 v1, 0x40051340, v10
	v_xor_b32_e32 v13, 2, v34
	s_waitcnt vmcnt(1) lgkmcnt(1)
	v_fma_mix_f32 v102, v0, s18, v105 op_sel_hi:[0,0,1]
	v_cndmask_b32_e32 v0, v34, v51, vcc_lo
	v_add_f32_e32 v3, 0x40051340, v11
	v_cmp_gt_i32_e32 vcc_lo, 32, v15
	v_xor_b32_e32 v12, 1, v34
	v_cmp_ngt_f32_e64 s8, 0x3f200000, |v100|
                                        ; implicit-def: $vgpr7
	v_lshlrev_b32_e32 v0, 2, v0
	s_waitcnt vmcnt(0) lgkmcnt(0)
	v_fma_mix_f32 v103, v2, s18, v106 op_sel_hi:[0,0,1]
	v_add_f32_e32 v2, 0x40051340, v102
	v_max3_f32 v1, v93, v1, v3
	s_delay_alu instid0(VALU_DEP_3) | instskip(NEXT) | instid1(VALU_DEP_1)
	v_add_f32_e32 v3, 0x40051340, v103
	v_max3_f32 v1, v1, v2, v3
	v_cndmask_b32_e32 v3, v34, v15, vcc_lo
	v_cmp_gt_i32_e32 vcc_lo, 32, v14
	ds_bpermute_b32 v2, v0, v1
	v_dual_cndmask_b32 v3, v34, v14 :: v_dual_lshlrev_b32 v104, 2, v3
	v_cmp_gt_i32_e32 vcc_lo, 32, v13
	s_delay_alu instid0(VALU_DEP_2) | instskip(SKIP_1) | instid1(VALU_DEP_2)
	v_dual_cndmask_b32 v3, v34, v13 :: v_dual_lshlrev_b32 v8, 2, v3
	v_cmp_gt_i32_e32 vcc_lo, 32, v12
	v_dual_cndmask_b32 v3, v34, v12 :: v_dual_lshlrev_b32 v6, 2, v3
	s_waitcnt lgkmcnt(0)
	s_delay_alu instid0(VALU_DEP_1) | instskip(NEXT) | instid1(VALU_DEP_1)
	v_dual_max_f32 v2, v2, v2 :: v_dual_lshlrev_b32 v3, 2, v3
	v_max_f32_e32 v1, v1, v2
	ds_bpermute_b32 v2, v104, v1
	s_waitcnt lgkmcnt(0)
	v_max_f32_e32 v2, v2, v2
	s_delay_alu instid0(VALU_DEP_1) | instskip(SKIP_3) | instid1(VALU_DEP_1)
	v_max_f32_e32 v1, v1, v2
	ds_bpermute_b32 v2, v8, v1
	s_waitcnt lgkmcnt(0)
	v_max_f32_e32 v2, v2, v2
	v_max_f32_e32 v1, v1, v2
	ds_bpermute_b32 v2, v6, v1
	s_waitcnt lgkmcnt(0)
	v_max_f32_e32 v2, v2, v2
	s_delay_alu instid0(VALU_DEP_1) | instskip(SKIP_2) | instid1(SALU_CYCLE_1)
	v_max_f32_e32 v1, v1, v2
	ds_bpermute_b32 v2, v3, v1
	s_and_saveexec_b32 s20, s8
	s_xor_b32 s8, exec_lo, s20
	s_cbranch_execz .LBB26_31
; %bb.30:                               ;   in Loop: Header=BB26_9 Depth=1
	v_add_f32_e64 v7, |v100|, |v100|
	s_delay_alu instid0(VALU_DEP_1) | instskip(SKIP_1) | instid1(VALU_DEP_2)
	v_mul_f32_e32 v9, 0x3fb8aa3b, v7
	v_cmp_ngt_f32_e32 vcc_lo, 0xc2ce8ed0, v7
	v_rndne_f32_e32 v107, v9
	v_fma_f32 v108, 0x3fb8aa3b, v7, -v9
	s_delay_alu instid0(VALU_DEP_2) | instskip(NEXT) | instid1(VALU_DEP_2)
	v_sub_f32_e32 v9, v9, v107
	v_fmac_f32_e32 v108, 0x32a5705f, v7
	v_cvt_i32_f32_e32 v107, v107
	s_delay_alu instid0(VALU_DEP_2) | instskip(NEXT) | instid1(VALU_DEP_1)
	v_add_f32_e32 v9, v9, v108
	v_exp_f32_e32 v9, v9
	s_waitcnt_depctr 0xfff
	v_ldexp_f32 v9, v9, v107
	s_delay_alu instid0(VALU_DEP_1) | instskip(SKIP_1) | instid1(VALU_DEP_2)
	v_cndmask_b32_e32 v9, 0, v9, vcc_lo
	v_cmp_nlt_f32_e32 vcc_lo, 0x42b17218, v7
	v_cndmask_b32_e32 v7, 0x7f800000, v9, vcc_lo
	s_delay_alu instid0(VALU_DEP_1) | instskip(NEXT) | instid1(VALU_DEP_1)
	v_add_f32_e32 v7, 1.0, v7
	v_rcp_f32_e32 v7, v7
	s_waitcnt_depctr 0xfff
	v_fma_f32 v7, v7, -2.0, 1.0
.LBB26_31:                              ;   in Loop: Header=BB26_9 Depth=1
	s_and_not1_saveexec_b32 s8, s8
; %bb.32:                               ;   in Loop: Header=BB26_9 Depth=1
	v_mul_f32_e32 v7, v100, v100
	s_delay_alu instid0(VALU_DEP_1) | instskip(NEXT) | instid1(VALU_DEP_1)
	v_fmaak_f32 v9, s19, v7, 0x3ca908c9
	v_fmaak_f32 v9, v7, v9, 0xbd5c1c4e
	s_delay_alu instid0(VALU_DEP_1) | instskip(NEXT) | instid1(VALU_DEP_1)
	v_fmaak_f32 v9, v7, v9, 0x3e088382
	v_fmaak_f32 v9, v7, v9, 0xbeaaaa99
	s_delay_alu instid0(VALU_DEP_1) | instskip(NEXT) | instid1(VALU_DEP_1)
	v_mul_f32_e64 v9, |v100|, v9
	v_fma_f32 v7, v7, v9, |v100|
; %bb.33:                               ;   in Loop: Header=BB26_9 Depth=1
	s_or_b32 exec_lo, exec_lo, s8
	v_cmp_ngt_f32_e64 s8, 0x3f200000, |v101|
                                        ; implicit-def: $vgpr107
	s_delay_alu instid0(VALU_DEP_1) | instskip(NEXT) | instid1(SALU_CYCLE_1)
	s_and_saveexec_b32 s20, s8
	s_xor_b32 s8, exec_lo, s20
	s_cbranch_execz .LBB26_35
; %bb.34:                               ;   in Loop: Header=BB26_9 Depth=1
	v_add_f32_e64 v9, |v101|, |v101|
	s_delay_alu instid0(VALU_DEP_1) | instskip(SKIP_1) | instid1(VALU_DEP_2)
	v_mul_f32_e32 v107, 0x3fb8aa3b, v9
	v_cmp_ngt_f32_e32 vcc_lo, 0xc2ce8ed0, v9
	v_rndne_f32_e32 v108, v107
	v_fma_f32 v109, 0x3fb8aa3b, v9, -v107
	s_delay_alu instid0(VALU_DEP_2) | instskip(NEXT) | instid1(VALU_DEP_2)
	v_sub_f32_e32 v107, v107, v108
	v_fmac_f32_e32 v109, 0x32a5705f, v9
	v_cvt_i32_f32_e32 v108, v108
	s_delay_alu instid0(VALU_DEP_2) | instskip(NEXT) | instid1(VALU_DEP_1)
	v_add_f32_e32 v107, v107, v109
	v_exp_f32_e32 v107, v107
	s_waitcnt_depctr 0xfff
	v_ldexp_f32 v107, v107, v108
	s_delay_alu instid0(VALU_DEP_1) | instskip(SKIP_1) | instid1(VALU_DEP_2)
	v_cndmask_b32_e32 v107, 0, v107, vcc_lo
	v_cmp_nlt_f32_e32 vcc_lo, 0x42b17218, v9
	v_cndmask_b32_e32 v9, 0x7f800000, v107, vcc_lo
	s_delay_alu instid0(VALU_DEP_1) | instskip(NEXT) | instid1(VALU_DEP_1)
	v_add_f32_e32 v9, 1.0, v9
	v_rcp_f32_e32 v9, v9
	s_waitcnt_depctr 0xfff
	v_fma_f32 v107, v9, -2.0, 1.0
.LBB26_35:                              ;   in Loop: Header=BB26_9 Depth=1
	s_and_not1_saveexec_b32 s8, s8
; %bb.36:                               ;   in Loop: Header=BB26_9 Depth=1
	v_mul_f32_e32 v9, v101, v101
	s_delay_alu instid0(VALU_DEP_1) | instskip(NEXT) | instid1(VALU_DEP_1)
	v_fmaak_f32 v107, s19, v9, 0x3ca908c9
	v_fmaak_f32 v107, v9, v107, 0xbd5c1c4e
	s_delay_alu instid0(VALU_DEP_1) | instskip(NEXT) | instid1(VALU_DEP_1)
	v_fmaak_f32 v107, v9, v107, 0x3e088382
	v_fmaak_f32 v107, v9, v107, 0xbeaaaa99
	s_delay_alu instid0(VALU_DEP_1) | instskip(NEXT) | instid1(VALU_DEP_1)
	v_mul_f32_e64 v107, |v101|, v107
	v_fma_f32 v107, v9, v107, |v101|
; %bb.37:                               ;   in Loop: Header=BB26_9 Depth=1
	s_or_b32 exec_lo, exec_lo, s8
	v_cmp_ngt_f32_e64 s8, 0x3f200000, |v98|
                                        ; implicit-def: $vgpr108
	s_delay_alu instid0(VALU_DEP_1) | instskip(NEXT) | instid1(SALU_CYCLE_1)
	s_and_saveexec_b32 s20, s8
	s_xor_b32 s8, exec_lo, s20
	s_cbranch_execz .LBB26_39
; %bb.38:                               ;   in Loop: Header=BB26_9 Depth=1
	v_add_f32_e64 v9, |v98|, |v98|
	s_delay_alu instid0(VALU_DEP_1) | instskip(SKIP_1) | instid1(VALU_DEP_2)
	v_mul_f32_e32 v108, 0x3fb8aa3b, v9
	v_cmp_ngt_f32_e32 vcc_lo, 0xc2ce8ed0, v9
	v_rndne_f32_e32 v109, v108
	v_fma_f32 v110, 0x3fb8aa3b, v9, -v108
	s_delay_alu instid0(VALU_DEP_2) | instskip(NEXT) | instid1(VALU_DEP_2)
	v_sub_f32_e32 v108, v108, v109
	v_fmac_f32_e32 v110, 0x32a5705f, v9
	v_cvt_i32_f32_e32 v109, v109
	s_delay_alu instid0(VALU_DEP_2) | instskip(NEXT) | instid1(VALU_DEP_1)
	v_add_f32_e32 v108, v108, v110
	v_exp_f32_e32 v108, v108
	s_waitcnt_depctr 0xfff
	v_ldexp_f32 v108, v108, v109
	s_delay_alu instid0(VALU_DEP_1) | instskip(SKIP_1) | instid1(VALU_DEP_2)
	v_cndmask_b32_e32 v108, 0, v108, vcc_lo
	v_cmp_nlt_f32_e32 vcc_lo, 0x42b17218, v9
	v_cndmask_b32_e32 v9, 0x7f800000, v108, vcc_lo
	s_delay_alu instid0(VALU_DEP_1) | instskip(NEXT) | instid1(VALU_DEP_1)
	v_add_f32_e32 v9, 1.0, v9
	v_rcp_f32_e32 v9, v9
	s_waitcnt_depctr 0xfff
	v_fma_f32 v108, v9, -2.0, 1.0
.LBB26_39:                              ;   in Loop: Header=BB26_9 Depth=1
	s_and_not1_saveexec_b32 s8, s8
; %bb.40:                               ;   in Loop: Header=BB26_9 Depth=1
	v_mul_f32_e32 v9, v98, v98
	s_delay_alu instid0(VALU_DEP_1) | instskip(NEXT) | instid1(VALU_DEP_1)
	v_fmaak_f32 v108, s19, v9, 0x3ca908c9
	v_fmaak_f32 v108, v9, v108, 0xbd5c1c4e
	s_delay_alu instid0(VALU_DEP_1) | instskip(NEXT) | instid1(VALU_DEP_1)
	v_fmaak_f32 v108, v9, v108, 0x3e088382
	v_fmaak_f32 v108, v9, v108, 0xbeaaaa99
	s_delay_alu instid0(VALU_DEP_1) | instskip(NEXT) | instid1(VALU_DEP_1)
	v_mul_f32_e64 v108, |v98|, v108
	v_fma_f32 v108, v9, v108, |v98|
; %bb.41:                               ;   in Loop: Header=BB26_9 Depth=1
	s_or_b32 exec_lo, exec_lo, s8
	v_cmp_ngt_f32_e64 s8, 0x3f200000, |v99|
                                        ; implicit-def: $vgpr109
	s_delay_alu instid0(VALU_DEP_1) | instskip(NEXT) | instid1(SALU_CYCLE_1)
	s_and_saveexec_b32 s20, s8
	s_xor_b32 s8, exec_lo, s20
	s_cbranch_execz .LBB26_43
; %bb.42:                               ;   in Loop: Header=BB26_9 Depth=1
	v_add_f32_e64 v9, |v99|, |v99|
	s_delay_alu instid0(VALU_DEP_1) | instskip(SKIP_1) | instid1(VALU_DEP_2)
	v_mul_f32_e32 v109, 0x3fb8aa3b, v9
	v_cmp_ngt_f32_e32 vcc_lo, 0xc2ce8ed0, v9
	v_rndne_f32_e32 v110, v109
	v_fma_f32 v111, 0x3fb8aa3b, v9, -v109
	s_delay_alu instid0(VALU_DEP_2) | instskip(NEXT) | instid1(VALU_DEP_2)
	v_sub_f32_e32 v109, v109, v110
	v_fmac_f32_e32 v111, 0x32a5705f, v9
	v_cvt_i32_f32_e32 v110, v110
	s_delay_alu instid0(VALU_DEP_2) | instskip(NEXT) | instid1(VALU_DEP_1)
	v_add_f32_e32 v109, v109, v111
	v_exp_f32_e32 v109, v109
	s_waitcnt_depctr 0xfff
	v_ldexp_f32 v109, v109, v110
	s_delay_alu instid0(VALU_DEP_1) | instskip(SKIP_1) | instid1(VALU_DEP_2)
	v_cndmask_b32_e32 v109, 0, v109, vcc_lo
	v_cmp_nlt_f32_e32 vcc_lo, 0x42b17218, v9
	v_cndmask_b32_e32 v9, 0x7f800000, v109, vcc_lo
	s_delay_alu instid0(VALU_DEP_1) | instskip(NEXT) | instid1(VALU_DEP_1)
	v_add_f32_e32 v9, 1.0, v9
	v_rcp_f32_e32 v9, v9
	s_waitcnt_depctr 0xfff
	v_fma_f32 v109, v9, -2.0, 1.0
.LBB26_43:                              ;   in Loop: Header=BB26_9 Depth=1
	s_and_not1_saveexec_b32 s8, s8
; %bb.44:                               ;   in Loop: Header=BB26_9 Depth=1
	v_mul_f32_e32 v9, v99, v99
	s_delay_alu instid0(VALU_DEP_1) | instskip(NEXT) | instid1(VALU_DEP_1)
	v_fmaak_f32 v109, s19, v9, 0x3ca908c9
	v_fmaak_f32 v109, v9, v109, 0xbd5c1c4e
	s_delay_alu instid0(VALU_DEP_1) | instskip(NEXT) | instid1(VALU_DEP_1)
	v_fmaak_f32 v109, v9, v109, 0x3e088382
	v_fmaak_f32 v109, v9, v109, 0xbeaaaa99
	s_delay_alu instid0(VALU_DEP_1) | instskip(NEXT) | instid1(VALU_DEP_1)
	v_mul_f32_e64 v109, |v99|, v109
	v_fma_f32 v109, v9, v109, |v99|
; %bb.45:                               ;   in Loop: Header=BB26_9 Depth=1
	s_or_b32 exec_lo, exec_lo, s8
	v_cvt_f32_f16_e32 v9, v4
	v_bfi_b32 v100, 0x7fffffff, v7, v100
	v_cvt_f32_f16_e32 v7, v5
	v_bfi_b32 v101, 0x7fffffff, v107, v101
	v_cvt_f32_f16_e32 v4, v105
	v_cvt_f32_f16_e32 v5, v106
	v_fma_f32 v100, s18, v100, v9
	v_bfi_b32 v105, 0x7fffffff, v108, v98
	v_fma_f32 v98, s18, v101, v7
	v_bfi_b32 v101, 0x7fffffff, v109, v99
	v_cmp_ngt_f32_e64 s8, 0x3f200000, |v94|
	v_add_f32_e32 v106, 0x40051340, v100
	v_fma_f32 v99, s18, v105, v4
	v_add_f32_e32 v105, 0x40051340, v98
	v_fma_f32 v101, s18, v101, v5
	s_delay_alu instid0(VALU_DEP_3) | instskip(NEXT) | instid1(VALU_DEP_3)
	v_add_f32_e32 v107, 0x40051340, v99
	v_max3_f32 v105, v91, v106, v105
	s_delay_alu instid0(VALU_DEP_3) | instskip(NEXT) | instid1(VALU_DEP_1)
	v_add_f32_e32 v106, 0x40051340, v101
	v_max3_f32 v105, v105, v107, v106
                                        ; implicit-def: $vgpr107
	ds_bpermute_b32 v106, v0, v105
	s_waitcnt lgkmcnt(0)
	v_max_f32_e32 v106, v106, v106
	s_delay_alu instid0(VALU_DEP_1) | instskip(SKIP_3) | instid1(VALU_DEP_1)
	v_max_f32_e32 v105, v105, v106
	ds_bpermute_b32 v106, v104, v105
	s_waitcnt lgkmcnt(0)
	v_max_f32_e32 v106, v106, v106
	v_max_f32_e32 v105, v105, v106
	ds_bpermute_b32 v106, v8, v105
	s_waitcnt lgkmcnt(0)
	v_max_f32_e32 v106, v106, v106
	s_delay_alu instid0(VALU_DEP_1) | instskip(SKIP_3) | instid1(VALU_DEP_1)
	v_max_f32_e32 v105, v105, v106
	ds_bpermute_b32 v106, v6, v105
	s_waitcnt lgkmcnt(0)
	v_max_f32_e32 v106, v106, v106
	v_max_f32_e32 v105, v105, v106
	ds_bpermute_b32 v106, v3, v105
	s_and_saveexec_b32 s20, s8
	s_delay_alu instid0(SALU_CYCLE_1)
	s_xor_b32 s8, exec_lo, s20
	s_cbranch_execz .LBB26_47
; %bb.46:                               ;   in Loop: Header=BB26_9 Depth=1
	v_add_f32_e64 v107, |v94|, |v94|
	s_delay_alu instid0(VALU_DEP_1) | instskip(SKIP_1) | instid1(VALU_DEP_2)
	v_mul_f32_e32 v108, 0x3fb8aa3b, v107
	v_cmp_ngt_f32_e32 vcc_lo, 0xc2ce8ed0, v107
	v_rndne_f32_e32 v109, v108
	v_fma_f32 v110, 0x3fb8aa3b, v107, -v108
	s_delay_alu instid0(VALU_DEP_2) | instskip(NEXT) | instid1(VALU_DEP_2)
	v_sub_f32_e32 v108, v108, v109
	v_fmac_f32_e32 v110, 0x32a5705f, v107
	v_cvt_i32_f32_e32 v109, v109
	s_delay_alu instid0(VALU_DEP_2) | instskip(NEXT) | instid1(VALU_DEP_1)
	v_add_f32_e32 v108, v108, v110
	v_exp_f32_e32 v108, v108
	s_waitcnt_depctr 0xfff
	v_ldexp_f32 v108, v108, v109
	s_delay_alu instid0(VALU_DEP_1) | instskip(SKIP_1) | instid1(VALU_DEP_2)
	v_cndmask_b32_e32 v108, 0, v108, vcc_lo
	v_cmp_nlt_f32_e32 vcc_lo, 0x42b17218, v107
	v_cndmask_b32_e32 v107, 0x7f800000, v108, vcc_lo
	s_delay_alu instid0(VALU_DEP_1) | instskip(NEXT) | instid1(VALU_DEP_1)
	v_add_f32_e32 v107, 1.0, v107
	v_rcp_f32_e32 v107, v107
	s_waitcnt_depctr 0xfff
	v_fma_f32 v107, v107, -2.0, 1.0
.LBB26_47:                              ;   in Loop: Header=BB26_9 Depth=1
	s_and_not1_saveexec_b32 s8, s8
; %bb.48:                               ;   in Loop: Header=BB26_9 Depth=1
	v_mul_f32_e32 v107, v94, v94
	s_delay_alu instid0(VALU_DEP_1) | instskip(NEXT) | instid1(VALU_DEP_1)
	v_fmaak_f32 v108, s19, v107, 0x3ca908c9
	v_fmaak_f32 v108, v107, v108, 0xbd5c1c4e
	s_delay_alu instid0(VALU_DEP_1) | instskip(NEXT) | instid1(VALU_DEP_1)
	v_fmaak_f32 v108, v107, v108, 0x3e088382
	v_fmaak_f32 v108, v107, v108, 0xbeaaaa99
	s_delay_alu instid0(VALU_DEP_1) | instskip(NEXT) | instid1(VALU_DEP_1)
	v_mul_f32_e64 v108, |v94|, v108
	v_fma_f32 v107, v107, v108, |v94|
; %bb.49:                               ;   in Loop: Header=BB26_9 Depth=1
	s_or_b32 exec_lo, exec_lo, s8
	v_cmp_ngt_f32_e64 s8, 0x3f200000, |v96|
                                        ; implicit-def: $vgpr108
	s_delay_alu instid0(VALU_DEP_1) | instskip(NEXT) | instid1(SALU_CYCLE_1)
	s_and_saveexec_b32 s20, s8
	s_xor_b32 s8, exec_lo, s20
	s_cbranch_execz .LBB26_51
; %bb.50:                               ;   in Loop: Header=BB26_9 Depth=1
	v_add_f32_e64 v108, |v96|, |v96|
	s_delay_alu instid0(VALU_DEP_1) | instskip(SKIP_1) | instid1(VALU_DEP_2)
	v_mul_f32_e32 v109, 0x3fb8aa3b, v108
	v_cmp_ngt_f32_e32 vcc_lo, 0xc2ce8ed0, v108
	v_rndne_f32_e32 v110, v109
	v_fma_f32 v111, 0x3fb8aa3b, v108, -v109
	s_delay_alu instid0(VALU_DEP_2) | instskip(NEXT) | instid1(VALU_DEP_2)
	v_sub_f32_e32 v109, v109, v110
	v_fmac_f32_e32 v111, 0x32a5705f, v108
	v_cvt_i32_f32_e32 v110, v110
	s_delay_alu instid0(VALU_DEP_2) | instskip(NEXT) | instid1(VALU_DEP_1)
	v_add_f32_e32 v109, v109, v111
	v_exp_f32_e32 v109, v109
	s_waitcnt_depctr 0xfff
	v_ldexp_f32 v109, v109, v110
	s_delay_alu instid0(VALU_DEP_1) | instskip(SKIP_1) | instid1(VALU_DEP_2)
	v_cndmask_b32_e32 v109, 0, v109, vcc_lo
	v_cmp_nlt_f32_e32 vcc_lo, 0x42b17218, v108
	v_cndmask_b32_e32 v108, 0x7f800000, v109, vcc_lo
	s_delay_alu instid0(VALU_DEP_1) | instskip(NEXT) | instid1(VALU_DEP_1)
	v_add_f32_e32 v108, 1.0, v108
	v_rcp_f32_e32 v108, v108
	s_waitcnt_depctr 0xfff
	v_fma_f32 v108, v108, -2.0, 1.0
.LBB26_51:                              ;   in Loop: Header=BB26_9 Depth=1
	s_and_not1_saveexec_b32 s8, s8
; %bb.52:                               ;   in Loop: Header=BB26_9 Depth=1
	v_mul_f32_e32 v108, v96, v96
	s_delay_alu instid0(VALU_DEP_1) | instskip(NEXT) | instid1(VALU_DEP_1)
	v_fmaak_f32 v109, s19, v108, 0x3ca908c9
	v_fmaak_f32 v109, v108, v109, 0xbd5c1c4e
	s_delay_alu instid0(VALU_DEP_1) | instskip(NEXT) | instid1(VALU_DEP_1)
	v_fmaak_f32 v109, v108, v109, 0x3e088382
	v_fmaak_f32 v109, v108, v109, 0xbeaaaa99
	s_delay_alu instid0(VALU_DEP_1) | instskip(NEXT) | instid1(VALU_DEP_1)
	v_mul_f32_e64 v109, |v96|, v109
	v_fma_f32 v108, v108, v109, |v96|
; %bb.53:                               ;   in Loop: Header=BB26_9 Depth=1
	s_or_b32 exec_lo, exec_lo, s8
	v_cmp_ngt_f32_e64 s8, 0x3f200000, |v97|
                                        ; implicit-def: $vgpr109
	s_delay_alu instid0(VALU_DEP_1) | instskip(NEXT) | instid1(SALU_CYCLE_1)
	s_and_saveexec_b32 s20, s8
	s_xor_b32 s8, exec_lo, s20
	s_cbranch_execz .LBB26_55
; %bb.54:                               ;   in Loop: Header=BB26_9 Depth=1
	v_add_f32_e64 v109, |v97|, |v97|
	s_delay_alu instid0(VALU_DEP_1) | instskip(SKIP_1) | instid1(VALU_DEP_2)
	v_mul_f32_e32 v110, 0x3fb8aa3b, v109
	v_cmp_ngt_f32_e32 vcc_lo, 0xc2ce8ed0, v109
	v_rndne_f32_e32 v111, v110
	v_fma_f32 v112, 0x3fb8aa3b, v109, -v110
	s_delay_alu instid0(VALU_DEP_2) | instskip(NEXT) | instid1(VALU_DEP_2)
	v_sub_f32_e32 v110, v110, v111
	v_fmac_f32_e32 v112, 0x32a5705f, v109
	v_cvt_i32_f32_e32 v111, v111
	s_delay_alu instid0(VALU_DEP_2) | instskip(NEXT) | instid1(VALU_DEP_1)
	v_add_f32_e32 v110, v110, v112
	v_exp_f32_e32 v110, v110
	s_waitcnt_depctr 0xfff
	v_ldexp_f32 v110, v110, v111
	s_delay_alu instid0(VALU_DEP_1) | instskip(SKIP_1) | instid1(VALU_DEP_2)
	v_cndmask_b32_e32 v110, 0, v110, vcc_lo
	v_cmp_nlt_f32_e32 vcc_lo, 0x42b17218, v109
	v_cndmask_b32_e32 v109, 0x7f800000, v110, vcc_lo
	s_delay_alu instid0(VALU_DEP_1) | instskip(NEXT) | instid1(VALU_DEP_1)
	v_add_f32_e32 v109, 1.0, v109
	v_rcp_f32_e32 v109, v109
	s_waitcnt_depctr 0xfff
	v_fma_f32 v109, v109, -2.0, 1.0
.LBB26_55:                              ;   in Loop: Header=BB26_9 Depth=1
	s_and_not1_saveexec_b32 s8, s8
; %bb.56:                               ;   in Loop: Header=BB26_9 Depth=1
	v_mul_f32_e32 v109, v97, v97
	s_delay_alu instid0(VALU_DEP_1) | instskip(NEXT) | instid1(VALU_DEP_1)
	v_fmaak_f32 v110, s19, v109, 0x3ca908c9
	v_fmaak_f32 v110, v109, v110, 0xbd5c1c4e
	s_delay_alu instid0(VALU_DEP_1) | instskip(NEXT) | instid1(VALU_DEP_1)
	v_fmaak_f32 v110, v109, v110, 0x3e088382
	v_fmaak_f32 v110, v109, v110, 0xbeaaaa99
	s_delay_alu instid0(VALU_DEP_1) | instskip(NEXT) | instid1(VALU_DEP_1)
	v_mul_f32_e64 v110, |v97|, v110
	v_fma_f32 v109, v109, v110, |v97|
; %bb.57:                               ;   in Loop: Header=BB26_9 Depth=1
	s_or_b32 exec_lo, exec_lo, s8
	v_cmp_ngt_f32_e64 s8, 0x3f200000, |v95|
                                        ; implicit-def: $vgpr110
	s_delay_alu instid0(VALU_DEP_1) | instskip(NEXT) | instid1(SALU_CYCLE_1)
	s_and_saveexec_b32 s20, s8
	s_xor_b32 s8, exec_lo, s20
	s_cbranch_execz .LBB26_59
; %bb.58:                               ;   in Loop: Header=BB26_9 Depth=1
	v_add_f32_e64 v110, |v95|, |v95|
	s_delay_alu instid0(VALU_DEP_1) | instskip(SKIP_1) | instid1(VALU_DEP_2)
	v_mul_f32_e32 v111, 0x3fb8aa3b, v110
	v_cmp_ngt_f32_e32 vcc_lo, 0xc2ce8ed0, v110
	v_rndne_f32_e32 v112, v111
	v_fma_f32 v113, 0x3fb8aa3b, v110, -v111
	s_delay_alu instid0(VALU_DEP_2) | instskip(NEXT) | instid1(VALU_DEP_2)
	v_sub_f32_e32 v111, v111, v112
	v_fmac_f32_e32 v113, 0x32a5705f, v110
	v_cvt_i32_f32_e32 v112, v112
	s_delay_alu instid0(VALU_DEP_2) | instskip(NEXT) | instid1(VALU_DEP_1)
	v_add_f32_e32 v111, v111, v113
	v_exp_f32_e32 v111, v111
	s_waitcnt_depctr 0xfff
	v_ldexp_f32 v111, v111, v112
	s_delay_alu instid0(VALU_DEP_1) | instskip(SKIP_1) | instid1(VALU_DEP_2)
	v_cndmask_b32_e32 v111, 0, v111, vcc_lo
	v_cmp_nlt_f32_e32 vcc_lo, 0x42b17218, v110
	v_cndmask_b32_e32 v110, 0x7f800000, v111, vcc_lo
	s_delay_alu instid0(VALU_DEP_1) | instskip(NEXT) | instid1(VALU_DEP_1)
	v_add_f32_e32 v110, 1.0, v110
	v_rcp_f32_e32 v110, v110
	s_waitcnt_depctr 0xfff
	v_fma_f32 v110, v110, -2.0, 1.0
.LBB26_59:                              ;   in Loop: Header=BB26_9 Depth=1
	s_and_not1_saveexec_b32 s8, s8
; %bb.60:                               ;   in Loop: Header=BB26_9 Depth=1
	v_mul_f32_e32 v110, v95, v95
	s_delay_alu instid0(VALU_DEP_1) | instskip(NEXT) | instid1(VALU_DEP_1)
	v_fmaak_f32 v111, s19, v110, 0x3ca908c9
	v_fmaak_f32 v111, v110, v111, 0xbd5c1c4e
	s_delay_alu instid0(VALU_DEP_1) | instskip(NEXT) | instid1(VALU_DEP_1)
	v_fmaak_f32 v111, v110, v111, 0x3e088382
	v_fmaak_f32 v111, v110, v111, 0xbeaaaa99
	s_delay_alu instid0(VALU_DEP_1) | instskip(NEXT) | instid1(VALU_DEP_1)
	v_mul_f32_e64 v111, |v95|, v111
	v_fma_f32 v110, v110, v111, |v95|
; %bb.61:                               ;   in Loop: Header=BB26_9 Depth=1
	s_or_b32 exec_lo, exec_lo, s8
	v_bfi_b32 v94, 0x7fffffff, v107, v94
	v_bfi_b32 v96, 0x7fffffff, v108, v96
	;; [unrolled: 1-line block ×3, first 2 shown]
	v_cmp_ngt_f32_e64 s8, 0x3f200000, |v84|
	s_delay_alu instid0(VALU_DEP_4) | instskip(NEXT) | instid1(VALU_DEP_4)
	v_fma_f32 v97, s18, v94, v9
	v_fma_f32 v96, s18, v96, v7
	v_bfi_b32 v94, 0x7fffffff, v110, v95
	v_fma_f32 v95, s18, v107, v4
	s_delay_alu instid0(VALU_DEP_3) | instskip(NEXT) | instid1(VALU_DEP_3)
	v_dual_add_f32 v107, 0x40051340, v97 :: v_dual_add_f32 v108, 0x40051340, v96
	v_fma_f32 v94, s18, v94, v5
	s_delay_alu instid0(VALU_DEP_3) | instskip(NEXT) | instid1(VALU_DEP_3)
	v_add_f32_e32 v109, 0x40051340, v95
	v_max3_f32 v107, v89, v107, v108
	s_delay_alu instid0(VALU_DEP_3) | instskip(NEXT) | instid1(VALU_DEP_1)
	v_add_f32_e32 v108, 0x40051340, v94
	v_max3_f32 v107, v107, v109, v108
                                        ; implicit-def: $vgpr109
	ds_bpermute_b32 v108, v0, v107
	s_waitcnt lgkmcnt(0)
	v_max_f32_e32 v108, v108, v108
	s_delay_alu instid0(VALU_DEP_1) | instskip(SKIP_3) | instid1(VALU_DEP_1)
	v_max_f32_e32 v107, v107, v108
	ds_bpermute_b32 v108, v104, v107
	s_waitcnt lgkmcnt(0)
	v_max_f32_e32 v108, v108, v108
	v_max_f32_e32 v107, v107, v108
	ds_bpermute_b32 v108, v8, v107
	s_waitcnt lgkmcnt(0)
	v_max_f32_e32 v108, v108, v108
	s_delay_alu instid0(VALU_DEP_1) | instskip(SKIP_3) | instid1(VALU_DEP_1)
	v_max_f32_e32 v107, v107, v108
	ds_bpermute_b32 v108, v6, v107
	s_waitcnt lgkmcnt(0)
	v_max_f32_e32 v108, v108, v108
	v_max_f32_e32 v107, v107, v108
	ds_bpermute_b32 v108, v3, v107
	s_and_saveexec_b32 s20, s8
	s_delay_alu instid0(SALU_CYCLE_1)
	s_xor_b32 s8, exec_lo, s20
	s_cbranch_execz .LBB26_63
; %bb.62:                               ;   in Loop: Header=BB26_9 Depth=1
	v_add_f32_e64 v109, |v84|, |v84|
	s_delay_alu instid0(VALU_DEP_1) | instskip(SKIP_1) | instid1(VALU_DEP_2)
	v_mul_f32_e32 v110, 0x3fb8aa3b, v109
	v_cmp_ngt_f32_e32 vcc_lo, 0xc2ce8ed0, v109
	v_rndne_f32_e32 v111, v110
	v_fma_f32 v112, 0x3fb8aa3b, v109, -v110
	s_delay_alu instid0(VALU_DEP_2) | instskip(NEXT) | instid1(VALU_DEP_2)
	v_sub_f32_e32 v110, v110, v111
	v_fmac_f32_e32 v112, 0x32a5705f, v109
	v_cvt_i32_f32_e32 v111, v111
	s_delay_alu instid0(VALU_DEP_2) | instskip(NEXT) | instid1(VALU_DEP_1)
	v_add_f32_e32 v110, v110, v112
	v_exp_f32_e32 v110, v110
	s_waitcnt_depctr 0xfff
	v_ldexp_f32 v110, v110, v111
	s_delay_alu instid0(VALU_DEP_1) | instskip(SKIP_1) | instid1(VALU_DEP_2)
	v_cndmask_b32_e32 v110, 0, v110, vcc_lo
	v_cmp_nlt_f32_e32 vcc_lo, 0x42b17218, v109
	v_cndmask_b32_e32 v109, 0x7f800000, v110, vcc_lo
	s_delay_alu instid0(VALU_DEP_1) | instskip(NEXT) | instid1(VALU_DEP_1)
	v_add_f32_e32 v109, 1.0, v109
	v_rcp_f32_e32 v109, v109
	s_waitcnt_depctr 0xfff
	v_fma_f32 v109, v109, -2.0, 1.0
.LBB26_63:                              ;   in Loop: Header=BB26_9 Depth=1
	s_and_not1_saveexec_b32 s8, s8
; %bb.64:                               ;   in Loop: Header=BB26_9 Depth=1
	v_mul_f32_e32 v109, v84, v84
	s_delay_alu instid0(VALU_DEP_1) | instskip(NEXT) | instid1(VALU_DEP_1)
	v_fmaak_f32 v110, s19, v109, 0x3ca908c9
	v_fmaak_f32 v110, v109, v110, 0xbd5c1c4e
	s_delay_alu instid0(VALU_DEP_1) | instskip(NEXT) | instid1(VALU_DEP_1)
	v_fmaak_f32 v110, v109, v110, 0x3e088382
	v_fmaak_f32 v110, v109, v110, 0xbeaaaa99
	s_delay_alu instid0(VALU_DEP_1) | instskip(NEXT) | instid1(VALU_DEP_1)
	v_mul_f32_e64 v110, |v84|, v110
	v_fma_f32 v109, v109, v110, |v84|
; %bb.65:                               ;   in Loop: Header=BB26_9 Depth=1
	s_or_b32 exec_lo, exec_lo, s8
	v_cmp_ngt_f32_e64 s8, 0x3f200000, |v86|
                                        ; implicit-def: $vgpr110
	s_delay_alu instid0(VALU_DEP_1) | instskip(NEXT) | instid1(SALU_CYCLE_1)
	s_and_saveexec_b32 s20, s8
	s_xor_b32 s8, exec_lo, s20
	s_cbranch_execz .LBB26_67
; %bb.66:                               ;   in Loop: Header=BB26_9 Depth=1
	v_add_f32_e64 v110, |v86|, |v86|
	s_delay_alu instid0(VALU_DEP_1) | instskip(SKIP_1) | instid1(VALU_DEP_2)
	v_mul_f32_e32 v111, 0x3fb8aa3b, v110
	v_cmp_ngt_f32_e32 vcc_lo, 0xc2ce8ed0, v110
	v_rndne_f32_e32 v112, v111
	v_fma_f32 v113, 0x3fb8aa3b, v110, -v111
	s_delay_alu instid0(VALU_DEP_2) | instskip(NEXT) | instid1(VALU_DEP_2)
	v_sub_f32_e32 v111, v111, v112
	v_fmac_f32_e32 v113, 0x32a5705f, v110
	v_cvt_i32_f32_e32 v112, v112
	s_delay_alu instid0(VALU_DEP_2) | instskip(NEXT) | instid1(VALU_DEP_1)
	v_add_f32_e32 v111, v111, v113
	v_exp_f32_e32 v111, v111
	s_waitcnt_depctr 0xfff
	v_ldexp_f32 v111, v111, v112
	s_delay_alu instid0(VALU_DEP_1) | instskip(SKIP_1) | instid1(VALU_DEP_2)
	v_cndmask_b32_e32 v111, 0, v111, vcc_lo
	v_cmp_nlt_f32_e32 vcc_lo, 0x42b17218, v110
	v_cndmask_b32_e32 v110, 0x7f800000, v111, vcc_lo
	s_delay_alu instid0(VALU_DEP_1) | instskip(NEXT) | instid1(VALU_DEP_1)
	v_add_f32_e32 v110, 1.0, v110
	v_rcp_f32_e32 v110, v110
	s_waitcnt_depctr 0xfff
	v_fma_f32 v110, v110, -2.0, 1.0
.LBB26_67:                              ;   in Loop: Header=BB26_9 Depth=1
	s_and_not1_saveexec_b32 s8, s8
; %bb.68:                               ;   in Loop: Header=BB26_9 Depth=1
	v_mul_f32_e32 v110, v86, v86
	s_delay_alu instid0(VALU_DEP_1) | instskip(NEXT) | instid1(VALU_DEP_1)
	v_fmaak_f32 v111, s19, v110, 0x3ca908c9
	v_fmaak_f32 v111, v110, v111, 0xbd5c1c4e
	s_delay_alu instid0(VALU_DEP_1) | instskip(NEXT) | instid1(VALU_DEP_1)
	v_fmaak_f32 v111, v110, v111, 0x3e088382
	v_fmaak_f32 v111, v110, v111, 0xbeaaaa99
	s_delay_alu instid0(VALU_DEP_1) | instskip(NEXT) | instid1(VALU_DEP_1)
	v_mul_f32_e64 v111, |v86|, v111
	v_fma_f32 v110, v110, v111, |v86|
; %bb.69:                               ;   in Loop: Header=BB26_9 Depth=1
	s_or_b32 exec_lo, exec_lo, s8
	v_cmp_ngt_f32_e64 s8, 0x3f200000, |v83|
                                        ; implicit-def: $vgpr111
	s_delay_alu instid0(VALU_DEP_1) | instskip(NEXT) | instid1(SALU_CYCLE_1)
	s_and_saveexec_b32 s20, s8
	s_xor_b32 s8, exec_lo, s20
	s_cbranch_execz .LBB26_71
; %bb.70:                               ;   in Loop: Header=BB26_9 Depth=1
	v_add_f32_e64 v111, |v83|, |v83|
	s_delay_alu instid0(VALU_DEP_1) | instskip(SKIP_1) | instid1(VALU_DEP_2)
	v_mul_f32_e32 v112, 0x3fb8aa3b, v111
	v_cmp_ngt_f32_e32 vcc_lo, 0xc2ce8ed0, v111
	v_rndne_f32_e32 v113, v112
	v_fma_f32 v114, 0x3fb8aa3b, v111, -v112
	s_delay_alu instid0(VALU_DEP_2) | instskip(NEXT) | instid1(VALU_DEP_2)
	v_sub_f32_e32 v112, v112, v113
	v_fmac_f32_e32 v114, 0x32a5705f, v111
	v_cvt_i32_f32_e32 v113, v113
	s_delay_alu instid0(VALU_DEP_2) | instskip(NEXT) | instid1(VALU_DEP_1)
	v_add_f32_e32 v112, v112, v114
	v_exp_f32_e32 v112, v112
	s_waitcnt_depctr 0xfff
	v_ldexp_f32 v112, v112, v113
	s_delay_alu instid0(VALU_DEP_1) | instskip(SKIP_1) | instid1(VALU_DEP_2)
	v_cndmask_b32_e32 v112, 0, v112, vcc_lo
	v_cmp_nlt_f32_e32 vcc_lo, 0x42b17218, v111
	v_cndmask_b32_e32 v111, 0x7f800000, v112, vcc_lo
	s_delay_alu instid0(VALU_DEP_1) | instskip(NEXT) | instid1(VALU_DEP_1)
	v_add_f32_e32 v111, 1.0, v111
	v_rcp_f32_e32 v111, v111
	s_waitcnt_depctr 0xfff
	v_fma_f32 v111, v111, -2.0, 1.0
.LBB26_71:                              ;   in Loop: Header=BB26_9 Depth=1
	s_and_not1_saveexec_b32 s8, s8
; %bb.72:                               ;   in Loop: Header=BB26_9 Depth=1
	v_mul_f32_e32 v111, v83, v83
	s_delay_alu instid0(VALU_DEP_1) | instskip(NEXT) | instid1(VALU_DEP_1)
	v_fmaak_f32 v112, s19, v111, 0x3ca908c9
	v_fmaak_f32 v112, v111, v112, 0xbd5c1c4e
	s_delay_alu instid0(VALU_DEP_1) | instskip(NEXT) | instid1(VALU_DEP_1)
	v_fmaak_f32 v112, v111, v112, 0x3e088382
	v_fmaak_f32 v112, v111, v112, 0xbeaaaa99
	s_delay_alu instid0(VALU_DEP_1) | instskip(NEXT) | instid1(VALU_DEP_1)
	v_mul_f32_e64 v112, |v83|, v112
	v_fma_f32 v111, v111, v112, |v83|
; %bb.73:                               ;   in Loop: Header=BB26_9 Depth=1
	s_or_b32 exec_lo, exec_lo, s8
	v_cmp_ngt_f32_e64 s8, 0x3f200000, |v82|
                                        ; implicit-def: $vgpr112
	s_delay_alu instid0(VALU_DEP_1) | instskip(NEXT) | instid1(SALU_CYCLE_1)
	s_and_saveexec_b32 s20, s8
	s_xor_b32 s8, exec_lo, s20
	s_cbranch_execz .LBB26_75
; %bb.74:                               ;   in Loop: Header=BB26_9 Depth=1
	v_add_f32_e64 v112, |v82|, |v82|
	s_delay_alu instid0(VALU_DEP_1) | instskip(SKIP_1) | instid1(VALU_DEP_2)
	v_mul_f32_e32 v113, 0x3fb8aa3b, v112
	v_cmp_ngt_f32_e32 vcc_lo, 0xc2ce8ed0, v112
	v_rndne_f32_e32 v114, v113
	v_fma_f32 v115, 0x3fb8aa3b, v112, -v113
	s_delay_alu instid0(VALU_DEP_2) | instskip(NEXT) | instid1(VALU_DEP_2)
	v_sub_f32_e32 v113, v113, v114
	v_fmac_f32_e32 v115, 0x32a5705f, v112
	v_cvt_i32_f32_e32 v114, v114
	s_delay_alu instid0(VALU_DEP_2) | instskip(NEXT) | instid1(VALU_DEP_1)
	v_add_f32_e32 v113, v113, v115
	v_exp_f32_e32 v113, v113
	s_waitcnt_depctr 0xfff
	v_ldexp_f32 v113, v113, v114
	s_delay_alu instid0(VALU_DEP_1) | instskip(SKIP_1) | instid1(VALU_DEP_2)
	v_cndmask_b32_e32 v113, 0, v113, vcc_lo
	v_cmp_nlt_f32_e32 vcc_lo, 0x42b17218, v112
	v_cndmask_b32_e32 v112, 0x7f800000, v113, vcc_lo
	s_delay_alu instid0(VALU_DEP_1) | instskip(NEXT) | instid1(VALU_DEP_1)
	v_add_f32_e32 v112, 1.0, v112
	v_rcp_f32_e32 v112, v112
	s_waitcnt_depctr 0xfff
	v_fma_f32 v112, v112, -2.0, 1.0
.LBB26_75:                              ;   in Loop: Header=BB26_9 Depth=1
	s_and_not1_saveexec_b32 s8, s8
; %bb.76:                               ;   in Loop: Header=BB26_9 Depth=1
	v_mul_f32_e32 v112, v82, v82
	s_delay_alu instid0(VALU_DEP_1) | instskip(NEXT) | instid1(VALU_DEP_1)
	v_fmaak_f32 v113, s19, v112, 0x3ca908c9
	v_fmaak_f32 v113, v112, v113, 0xbd5c1c4e
	s_delay_alu instid0(VALU_DEP_1) | instskip(NEXT) | instid1(VALU_DEP_1)
	v_fmaak_f32 v113, v112, v113, 0x3e088382
	v_fmaak_f32 v113, v112, v113, 0xbeaaaa99
	s_delay_alu instid0(VALU_DEP_1) | instskip(NEXT) | instid1(VALU_DEP_1)
	v_mul_f32_e64 v113, |v82|, v113
	v_fma_f32 v112, v112, v113, |v82|
; %bb.77:                               ;   in Loop: Header=BB26_9 Depth=1
	s_or_b32 exec_lo, exec_lo, s8
	v_bfi_b32 v84, 0x7fffffff, v109, v84
	v_bfi_b32 v86, 0x7fffffff, v110, v86
	;; [unrolled: 1-line block ×4, first 2 shown]
	v_max_f32_e32 v107, v107, v107
	v_fmac_f32_e32 v9, s18, v84
	s_mul_hi_i32 s21, s3, s10
	v_dual_fmac_f32 v4, s18, v83 :: v_dual_fmac_f32 v7, s18, v86
	s_delay_alu instid0(VALU_DEP_2) | instskip(SKIP_1) | instid1(VALU_DEP_2)
	v_dual_fmac_f32 v5, s18, v82 :: v_dual_add_f32 v82, 0x40051340, v9
	s_mul_i32 s20, s3, s10
	v_dual_add_f32 v84, 0x40051340, v4 :: v_dual_add_f32 v83, 0x40051340, v7
	s_delay_alu instid0(VALU_DEP_2)
	v_add_f32_e32 v86, 0x40051340, v5
	v_max_f32_e32 v106, v106, v106
	s_lshl_b64 s[20:21], s[20:21], 2
	s_waitcnt lgkmcnt(0)
	v_max3_f32 v82, v87, v82, v83
	v_max_f32_e32 v83, v108, v108
	s_add_u32 s8, s11, s20
	s_addc_u32 s20, s17, s21
	s_barrier
	v_max3_f32 v82, v82, v84, v86
	v_max_f32_e32 v84, v105, v105
	v_dual_max_f32 v86, v2, v2 :: v_dual_max_f32 v105, v1, v1
	v_max_f32_e32 v2, v107, v83
	ds_bpermute_b32 v108, v0, v82
	v_max_f32_e32 v1, v84, v106
	v_add_co_u32 v83, vcc_lo, s8, v27
	v_max_f32_e32 v0, v105, v86
	v_add_co_ci_u32_e32 v84, vcc_lo, s20, v28, vcc_lo
	s_delay_alu instid0(VALU_DEP_4) | instskip(SKIP_1) | instid1(VALU_DEP_4)
	v_sub_f32_e32 v119, v100, v1
	v_add_co_u32 v86, vcc_lo, s8, v29
	v_sub_f32_e32 v116, v102, v0
	v_dual_sub_f32 v117, v103, v0 :: v_dual_sub_f32 v122, v101, v1
	s_delay_alu instid0(VALU_DEP_4) | instskip(SKIP_1) | instid1(VALU_DEP_3)
	v_mul_f32_e32 v127, 0x3fb8aa3b, v119
	v_add_co_ci_u32_e32 v105, vcc_lo, s20, v30, vcc_lo
	v_dual_sub_f32 v114, v10, v0 :: v_dual_mul_f32 v125, 0x3fb8aa3b, v117
	v_sub_f32_e32 v121, v99, v1
	v_add_co_u32 v10, vcc_lo, v83, v40
	s_waitcnt lgkmcnt(0)
	v_max_f32_e32 v106, v108, v108
	v_sub_f32_e32 v93, v93, v0
	v_dual_sub_f32 v115, v11, v0 :: v_dual_sub_f32 v120, v98, v1
	v_add_co_ci_u32_e32 v11, vcc_lo, 0, v84, vcc_lo
	s_delay_alu instid0(VALU_DEP_4)
	v_max_f32_e32 v118, v82, v106
	v_add_co_u32 v82, vcc_lo, v86, v40
	v_rndne_f32_e32 v136, v127
	v_mul_f32_e32 v126, 0x3fb8aa3b, v93
	ds_bpermute_b32 v123, v104, v118
	v_add_co_ci_u32_e32 v83, vcc_lo, 0, v105, vcc_lo
	s_waitcnt lgkmcnt(0)
	buffer_gl0_inv
	s_clause 0x3
	global_load_b128 v[98:101], v[10:11], off
	global_load_b128 v[102:105], v[10:11], off offset:512
	global_load_b128 v[106:109], v[82:83], off
	global_load_b128 v[110:113], v[82:83], off offset:512
	v_rndne_f32_e32 v132, v125
	v_mul_f32_e32 v86, 0x3fb8aa3b, v115
	v_fma_f32 v135, 0x3fb8aa3b, v119, -v127
	v_sub_f32_e32 v127, v127, v136
	v_fma_f32 v133, 0x3fb8aa3b, v93, -v126
	v_dual_mul_f32 v84, 0x3fb8aa3b, v114 :: v_dual_mul_f32 v129, 0x3fb8aa3b, v121
	s_delay_alu instid0(VALU_DEP_4)
	v_fmac_f32_e32 v135, 0x32a5705f, v119
	v_cmp_ngt_f32_e32 vcc_lo, 0xc2ce8ed0, v114
	v_rndne_f32_e32 v134, v126
	v_fmac_f32_e32 v133, 0x32a5705f, v93
	v_fma_f32 v10, 0x3fb8aa3b, v114, -v84
	v_rndne_f32_e32 v11, v84
	v_fma_f32 v139, 0x3fb8aa3b, v121, -v129
	v_sub_f32_e32 v96, v96, v2
	v_max_f32_e32 v82, v123, v123
	v_fmac_f32_e32 v10, 0x32a5705f, v114
	v_sub_f32_e32 v84, v84, v11
	v_cvt_i32_f32_e32 v11, v11
	v_rndne_f32_e32 v140, v129
	v_max_f32_e32 v82, v118, v82
	v_fma_f32 v118, 0x3fb8aa3b, v117, -v125
	v_sub_f32_e32 v125, v125, v132
	v_fma_f32 v83, 0x3fb8aa3b, v115, -v86
	v_rndne_f32_e32 v123, v86
	v_fmac_f32_e32 v139, 0x32a5705f, v121
	s_or_b32 s8, s3, 16
	s_delay_alu instid0(VALU_DEP_3)
	v_fmac_f32_e32 v83, 0x32a5705f, v115
	ds_bpermute_b32 v8, v8, v82
	v_sub_f32_e32 v86, v86, v123
	v_mul_f32_e32 v124, 0x3fb8aa3b, v116
	v_cvt_i32_f32_e32 v123, v123
	s_mul_hi_i32 s21, s8, s10
	s_mul_i32 s20, s8, s10
	v_add_f32_e32 v83, v86, v83
	v_fma_f32 v130, 0x3fb8aa3b, v116, -v124
	v_rndne_f32_e32 v131, v124
	s_lshl_b64 s[20:21], s[20:21], 2
	s_delay_alu instid0(VALU_DEP_3) | instskip(NEXT) | instid1(VALU_DEP_2)
	v_exp_f32_e32 v83, v83
	v_fmac_f32_e32 v130, 0x32a5705f, v116
	s_delay_alu instid0(VALU_DEP_2)
	v_sub_f32_e32 v124, v124, v131
	v_cvt_i32_f32_e32 v131, v131
	s_add_u32 s8, s11, s20
	s_addc_u32 s20, s17, s21
	s_waitcnt lgkmcnt(0)
	v_max_f32_e32 v8, v8, v8
	s_delay_alu instid0(VALU_DEP_1)
	v_max_f32_e32 v8, v82, v8
	v_add_f32_e32 v82, v124, v130
	v_cvt_i32_f32_e32 v124, v132
	ds_bpermute_b32 v6, v6, v8
	v_exp_f32_e32 v82, v82
	s_waitcnt_depctr 0xfff
	v_ldexp_f32 v82, v82, v131
	s_waitcnt lgkmcnt(0)
	v_max_f32_e32 v6, v6, v6
	s_delay_alu instid0(VALU_DEP_1) | instskip(SKIP_4) | instid1(VALU_DEP_2)
	v_max_f32_e32 v6, v8, v6
	ds_bpermute_b32 v3, v3, v6
	s_waitcnt lgkmcnt(0)
	v_dual_fmac_f32 v118, 0x32a5705f, v117 :: v_dual_max_f32 v3, v3, v3
	v_add_f32_e32 v10, v84, v10
	v_add_f32_e32 v84, v125, v118
	v_cvt_i32_f32_e32 v125, v134
	s_delay_alu instid0(VALU_DEP_4) | instskip(NEXT) | instid1(VALU_DEP_4)
	v_max_f32_e32 v3, v6, v3
	v_exp_f32_e32 v10, v10
	s_delay_alu instid0(VALU_DEP_3) | instskip(SKIP_1) | instid1(VALU_DEP_2)
	v_exp_f32_e32 v84, v84
	v_cvt_i32_f32_e32 v6, v136
	v_sub_f32_e32 v4, v4, v3
	v_sub_f32_e32 v9, v9, v3
	;; [unrolled: 1-line block ×4, first 2 shown]
	s_delay_alu instid0(TRANS32_DEP_2) | instskip(SKIP_1) | instid1(TRANS32_DEP_1)
	v_ldexp_f32 v10, v10, v11
	v_ldexp_f32 v11, v83, v123
	;; [unrolled: 1-line block ×3, first 2 shown]
	s_delay_alu instid0(VALU_DEP_3) | instskip(SKIP_1) | instid1(VALU_DEP_4)
	v_cndmask_b32_e32 v10, 0, v10, vcc_lo
	v_cmp_ngt_f32_e32 vcc_lo, 0xc2ce8ed0, v115
	v_dual_mul_f32 v128, 0x3fb8aa3b, v120 :: v_dual_cndmask_b32 v11, 0, v11
	v_sub_f32_e32 v126, v126, v134
	v_cmp_ngt_f32_e32 vcc_lo, 0xc2ce8ed0, v116
	s_delay_alu instid0(VALU_DEP_3) | instskip(SKIP_1) | instid1(VALU_DEP_4)
	v_fma_f32 v137, 0x3fb8aa3b, v120, -v128
	v_rndne_f32_e32 v138, v128
	v_add_f32_e32 v86, v126, v133
	v_cndmask_b32_e32 v82, 0, v82, vcc_lo
	v_cmp_ngt_f32_e32 vcc_lo, 0xc2ce8ed0, v117
	v_fmac_f32_e32 v137, 0x32a5705f, v120
	s_delay_alu instid0(VALU_DEP_4) | instskip(SKIP_4) | instid1(VALU_DEP_1)
	v_exp_f32_e32 v86, v86
	v_cndmask_b32_e32 v83, 0, v83, vcc_lo
	v_cmp_ngt_f32_e32 vcc_lo, 0xc2ce8ed0, v93
	s_waitcnt_depctr 0xfff
	v_ldexp_f32 v84, v86, v125
	v_cndmask_b32_e32 v8, 0, v84, vcc_lo
	v_cmp_nlt_f32_e32 vcc_lo, 0x42b17218, v114
	v_cvt_i32_f32_e32 v84, v138
	v_cndmask_b32_e32 v10, 0x7f800000, v10, vcc_lo
	v_cmp_nlt_f32_e32 vcc_lo, 0x42b17218, v115
	s_delay_alu instid0(VALU_DEP_2) | instskip(SKIP_2) | instid1(VALU_DEP_2)
	v_cvt_f16_f32_e32 v86, v10
	v_cndmask_b32_e32 v11, 0x7f800000, v11, vcc_lo
	v_cmp_nlt_f32_e32 vcc_lo, 0x42b17218, v116
	v_add_f32_e32 v10, v10, v11
	v_cndmask_b32_e32 v82, 0x7f800000, v82, vcc_lo
	v_cmp_nlt_f32_e32 vcc_lo, 0x42b17218, v93
	v_cvt_f16_f32_e32 v11, v11
	s_delay_alu instid0(VALU_DEP_3) | instskip(SKIP_3) | instid1(VALU_DEP_3)
	v_add_f32_e32 v10, v82, v10
	v_cndmask_b32_e32 v8, 0x7f800000, v8, vcc_lo
	v_cmp_nlt_f32_e32 vcc_lo, 0x42b17218, v117
	v_cvt_f16_f32_e32 v114, v82
	v_cvt_f16_f32_e32 v93, v8
	v_cndmask_b32_e32 v83, 0x7f800000, v83, vcc_lo
	v_cmp_ngt_f32_e32 vcc_lo, 0xc2ce8ed0, v119
	s_delay_alu instid0(VALU_DEP_3) | instskip(SKIP_1) | instid1(VALU_DEP_4)
	v_pk_mul_f16 v117, v93, v75 op_sel_hi:[0,1]
	v_mul_f32_e32 v75, 0x3fb8aa3b, v122
	v_cvt_f16_f32_e32 v115, v83
	v_pk_mul_f16 v116, v93, v77 op_sel_hi:[0,1]
	v_add_f32_e32 v82, v83, v10
	v_sub_f32_e32 v10, v129, v140
	v_fma_f32 v77, 0x3fb8aa3b, v122, -v75
	v_rndne_f32_e32 v83, v75
	v_pk_mul_f16 v123, v93, v76 op_sel_hi:[0,1]
	v_fmac_f32_e32 v82, v92, v8
	s_delay_alu instid0(VALU_DEP_4) | instskip(NEXT) | instid1(VALU_DEP_4)
	v_dual_sub_f32 v76, v91, v1 :: v_dual_fmac_f32 v77, 0x32a5705f, v122
	v_dual_sub_f32 v75, v75, v83 :: v_dual_sub_f32 v126, v128, v138
	s_delay_alu instid0(VALU_DEP_2) | instskip(SKIP_1) | instid1(VALU_DEP_3)
	v_dual_add_f32 v10, v10, v139 :: v_dual_mul_f32 v91, 0x3fb8aa3b, v76
	v_cvt_i32_f32_e32 v83, v83
	v_add_f32_e32 v75, v75, v77
	s_delay_alu instid0(VALU_DEP_4) | instskip(NEXT) | instid1(VALU_DEP_4)
	v_add_f32_e32 v8, v126, v137
	v_exp_f32_e32 v10, v10
	v_fma_f32 v77, 0x3fb8aa3b, v76, -v91
	v_rndne_f32_e32 v92, v91
	v_exp_f32_e32 v75, v75
	v_exp_f32_e32 v8, v8
	v_pk_mul_f16 v80, v93, v80 op_sel_hi:[0,1]
	v_fmac_f32_e32 v77, 0x32a5705f, v76
	v_pk_mul_f16 v78, v93, v78 op_sel_hi:[0,1]
	v_pk_mul_f16 v81, v93, v81 op_sel_hi:[0,1]
	;; [unrolled: 1-line block ×3, first 2 shown]
	s_delay_alu instid0(TRANS32_DEP_2) | instskip(NEXT) | instid1(TRANS32_DEP_1)
	v_ldexp_f32 v75, v75, v83
	v_ldexp_f32 v8, v8, v84
	v_cvt_i32_f32_e32 v84, v140
	s_delay_alu instid0(VALU_DEP_1) | instskip(SKIP_2) | instid1(VALU_DEP_2)
	v_ldexp_f32 v10, v10, v84
	v_sub_f32_e32 v84, v91, v92
	v_dual_add_f32 v118, v127, v135 :: v_dual_sub_f32 v91, v97, v2
	v_add_f32_e32 v77, v84, v77
	s_delay_alu instid0(VALU_DEP_2) | instskip(NEXT) | instid1(VALU_DEP_1)
	v_exp_f32_e32 v118, v118
	v_exp_f32_e32 v77, v77
	s_waitcnt_depctr 0xfff
	v_ldexp_f32 v6, v118, v6
	s_delay_alu instid0(VALU_DEP_1) | instskip(SKIP_1) | instid1(VALU_DEP_2)
	v_cndmask_b32_e32 v6, 0, v6, vcc_lo
	v_cmp_nlt_f32_e32 vcc_lo, 0x42b17218, v119
	v_cndmask_b32_e32 v6, 0x7f800000, v6, vcc_lo
	v_cmp_ngt_f32_e32 vcc_lo, 0xc2ce8ed0, v120
	v_cndmask_b32_e32 v8, 0, v8, vcc_lo
	v_cmp_nlt_f32_e32 vcc_lo, 0x42b17218, v120
	s_delay_alu instid0(VALU_DEP_2) | instskip(SKIP_1) | instid1(VALU_DEP_2)
	v_cndmask_b32_e32 v8, 0x7f800000, v8, vcc_lo
	v_cmp_ngt_f32_e32 vcc_lo, 0xc2ce8ed0, v121
	v_add_f32_e32 v84, v6, v8
	v_cndmask_b32_e32 v10, 0, v10, vcc_lo
	v_cmp_nlt_f32_e32 vcc_lo, 0x42b17218, v121
	v_cvt_f16_f32_e32 v6, v6
	v_cvt_f16_f32_e32 v8, v8
	s_delay_alu instid0(VALU_DEP_4) | instskip(SKIP_1) | instid1(VALU_DEP_2)
	v_cndmask_b32_e32 v10, 0x7f800000, v10, vcc_lo
	v_cmp_ngt_f32_e32 vcc_lo, 0xc2ce8ed0, v122
	v_add_f32_e32 v83, v10, v84
	v_cndmask_b32_e32 v75, 0, v75, vcc_lo
	v_cvt_i32_f32_e32 v84, v92
	v_cmp_nlt_f32_e32 vcc_lo, 0x42b17218, v122
	s_delay_alu instid0(VALU_DEP_2) | instskip(NEXT) | instid1(VALU_DEP_4)
	v_ldexp_f32 v77, v77, v84
	v_cndmask_b32_e32 v75, 0x7f800000, v75, vcc_lo
	v_mul_f32_e32 v84, 0x3fb8aa3b, v91
	v_cmp_ngt_f32_e32 vcc_lo, 0xc2ce8ed0, v76
	s_delay_alu instid0(VALU_DEP_3) | instskip(NEXT) | instid1(VALU_DEP_3)
	v_add_f32_e32 v83, v75, v83
	v_fma_f32 v92, 0x3fb8aa3b, v91, -v84
	v_cndmask_b32_e32 v77, 0, v77, vcc_lo
	v_rndne_f32_e32 v97, v84
	v_cmp_nlt_f32_e32 vcc_lo, 0x42b17218, v76
	v_cvt_f16_f32_e32 v75, v75
	v_fmac_f32_e32 v92, 0x32a5705f, v91
	v_cndmask_b32_e32 v76, 0x7f800000, v77, vcc_lo
	v_dual_sub_f32 v77, v84, v97 :: v_dual_mul_f32 v84, 0x3fb8aa3b, v96
	v_cmp_ngt_f32_e32 vcc_lo, 0xc2ce8ed0, v91
	s_delay_alu instid0(VALU_DEP_3) | instskip(SKIP_1) | instid1(VALU_DEP_4)
	v_cvt_f16_f32_e32 v118, v76
	v_fmac_f32_e32 v83, v90, v76
	v_add_f32_e32 v76, v77, v92
	v_fma_f32 v77, 0x3fb8aa3b, v96, -v84
	v_rndne_f32_e32 v90, v84
	v_pk_mul_f16 v92, v118, v74 op_sel_hi:[0,1]
	v_pk_mul_f16 v119, v118, v71 op_sel_hi:[0,1]
	v_exp_f32_e32 v71, v76
	s_delay_alu instid0(VALU_DEP_3)
	v_dual_fmac_f32 v77, 0x32a5705f, v96 :: v_dual_sub_f32 v74, v84, v90
	v_pk_mul_f16 v120, v118, v73 op_sel_hi:[0,1]
	v_pk_mul_f16 v121, v118, v70 op_sel_hi:[0,1]
	;; [unrolled: 1-line block ×3, first 2 shown]
	v_cvt_i32_f32_e32 v70, v97
	v_dual_add_f32 v72, v74, v77 :: v_dual_sub_f32 v73, v95, v2
	v_cvt_i32_f32_e32 v76, v90
	v_sub_f32_e32 v74, v89, v2
	s_delay_alu instid0(TRANS32_DEP_1) | instid1(VALU_DEP_4)
	v_ldexp_f32 v70, v71, v70
	s_delay_alu instid0(VALU_DEP_4)
	v_exp_f32_e32 v71, v72
	v_mul_f32_e32 v72, 0x3fb8aa3b, v73
	v_pk_mul_f16 v67, v118, v67 op_sel_hi:[0,1]
	v_mul_f32_e32 v90, 0x3fb8aa3b, v74
	v_cndmask_b32_e32 v70, 0, v70, vcc_lo
	v_cmp_nlt_f32_e32 vcc_lo, 0x42b17218, v91
	v_fma_f32 v77, 0x3fb8aa3b, v73, -v72
	v_rndne_f32_e32 v84, v72
	v_fma_f32 v95, 0x3fb8aa3b, v74, -v90
	v_pk_mul_f16 v68, v118, v68 op_sel_hi:[0,1]
	v_ldexp_f32 v71, v71, v76
	s_delay_alu instid0(VALU_DEP_4) | instskip(SKIP_4) | instid1(VALU_DEP_4)
	v_dual_fmac_f32 v77, 0x32a5705f, v73 :: v_dual_sub_f32 v72, v72, v84
	v_sub_f32_e32 v76, v94, v2
	v_cndmask_b32_e32 v70, 0x7f800000, v70, vcc_lo
	v_cmp_ngt_f32_e32 vcc_lo, 0xc2ce8ed0, v96
	v_cvt_i32_f32_e32 v84, v84
	v_dual_add_f32 v72, v72, v77 :: v_dual_mul_f32 v77, 0x3fb8aa3b, v76
	v_fmac_f32_e32 v95, 0x32a5705f, v74
	v_cndmask_b32_e32 v71, 0, v71, vcc_lo
	v_cmp_nlt_f32_e32 vcc_lo, 0x42b17218, v96
	s_delay_alu instid0(VALU_DEP_4)
	v_exp_f32_e32 v72, v72
	v_fma_f32 v91, 0x3fb8aa3b, v76, -v77
	v_rndne_f32_e32 v94, v77
	v_rndne_f32_e32 v96, v90
	v_cndmask_b32_e32 v71, 0x7f800000, v71, vcc_lo
	v_cmp_ngt_f32_e32 vcc_lo, 0xc2ce8ed0, v73
	v_fmac_f32_e32 v91, 0x32a5705f, v76
	s_delay_alu instid0(VALU_DEP_4) | instskip(SKIP_1) | instid1(TRANS32_DEP_1)
	v_dual_sub_f32 v77, v77, v94 :: v_dual_sub_f32 v90, v90, v96
	v_cvt_f16_f32_e32 v89, v70
	v_ldexp_f32 v72, v72, v84
	v_add_f32_e32 v70, v70, v71
	s_delay_alu instid0(VALU_DEP_4)
	v_add_f32_e32 v77, v77, v91
	v_add_f32_e32 v84, v90, v95
	v_mul_f32_e32 v90, 0x3fb8aa3b, v9
	v_cndmask_b32_e32 v72, 0, v72, vcc_lo
	v_cmp_nlt_f32_e32 vcc_lo, 0x42b17218, v73
	v_exp_f32_e32 v77, v77
	v_exp_f32_e32 v84, v84
	v_cvt_i32_f32_e32 v73, v94
	v_cvt_i32_f32_e32 v91, v96
	v_cndmask_b32_e32 v72, 0x7f800000, v72, vcc_lo
	v_fma_f32 v94, 0x3fb8aa3b, v9, -v90
	v_rndne_f32_e32 v95, v90
	v_cmp_ngt_f32_e32 vcc_lo, 0xc2ce8ed0, v76
	v_cvt_f16_f32_e32 v71, v71
	v_add_f32_e32 v70, v72, v70
	v_ldexp_f32 v73, v77, v73
	v_ldexp_f32 v77, v84, v91
	v_fmac_f32_e32 v94, 0x32a5705f, v9
	v_dual_sub_f32 v84, v90, v95 :: v_dual_mul_f32 v91, 0x3fb8aa3b, v5
	s_delay_alu instid0(VALU_DEP_4) | instskip(SKIP_2) | instid1(VALU_DEP_4)
	v_cndmask_b32_e32 v73, 0, v73, vcc_lo
	v_cmp_ngt_f32_e32 vcc_lo, 0xc2ce8ed0, v74
	v_cvt_f16_f32_e32 v72, v72
	v_add_f32_e32 v84, v84, v94
	v_fma_f32 v94, 0x3fb8aa3b, v5, -v91
	v_cndmask_b32_e32 v77, 0, v77, vcc_lo
	v_cmp_nlt_f32_e32 vcc_lo, 0x42b17218, v76
	s_delay_alu instid0(VALU_DEP_4) | instskip(NEXT) | instid1(VALU_DEP_3)
	v_exp_f32_e32 v76, v84
	v_fmac_f32_e32 v94, 0x32a5705f, v5
	v_cndmask_b32_e32 v73, 0x7f800000, v73, vcc_lo
	v_cmp_nlt_f32_e32 vcc_lo, 0x42b17218, v74
	s_delay_alu instid0(VALU_DEP_2)
	v_add_f32_e32 v84, v73, v70
	v_cndmask_b32_e32 v74, 0x7f800000, v77, vcc_lo
	v_cvt_f16_f32_e32 v70, v73
	v_cvt_i32_f32_e32 v73, v95
	v_mul_f32_e32 v77, 0x3fb8aa3b, v7
	v_cmp_ngt_f32_e32 vcc_lo, 0xc2ce8ed0, v9
	v_cvt_f16_f32_e32 v90, v74
	v_fmac_f32_e32 v84, v88, v74
	v_ldexp_f32 v73, v76, v73
	v_fma_f32 v74, 0x3fb8aa3b, v7, -v77
	v_rndne_f32_e32 v76, v77
	v_pk_mul_f16 v88, v90, v65 op_sel_hi:[0,1]
	v_sub_f32_e32 v65, v87, v3
	s_delay_alu instid0(VALU_DEP_4) | instskip(NEXT) | instid1(VALU_DEP_4)
	v_dual_cndmask_b32 v73, 0, v73 :: v_dual_fmac_f32 v74, 0x32a5705f, v7
	v_sub_f32_e32 v77, v77, v76
	v_mul_f32_e32 v87, 0x3fb8aa3b, v4
	v_cmp_nlt_f32_e32 vcc_lo, 0x42b17218, v9
	v_rndne_f32_e32 v95, v91
	v_cvt_i32_f32_e32 v76, v76
	v_mul_f32_e32 v96, 0x3fb8aa3b, v65
	v_cvt_f16_f32_e32 v10, v10
	v_cndmask_b32_e32 v9, 0x7f800000, v73, vcc_lo
	v_add_f32_e32 v73, v77, v74
	v_fma_f32 v74, 0x3fb8aa3b, v4, -v87
	v_rndne_f32_e32 v77, v87
	v_sub_f32_e32 v91, v91, v95
	v_cmp_ngt_f32_e32 vcc_lo, 0xc2ce8ed0, v7
	v_exp_f32_e32 v73, v73
	s_delay_alu instid0(VALU_DEP_3)
	v_dual_fmac_f32 v74, 0x32a5705f, v4 :: v_dual_sub_f32 v87, v87, v77
	v_cvt_i32_f32_e32 v77, v77
	v_cvt_i32_f32_e32 v95, v95
	v_cvt_f16_f32_e32 v97, v9
	v_pk_mul_f16 v62, v90, v62 op_sel_hi:[0,1]
	v_add_f32_e32 v74, v87, v74
	v_add_f32_e32 v87, v91, v94
	v_fma_f32 v91, 0x3fb8aa3b, v65, -v96
	s_delay_alu instid0(TRANS32_DEP_1)
	v_ldexp_f32 v73, v73, v76
	v_rndne_f32_e32 v94, v96
	v_exp_f32_e32 v74, v74
	v_exp_f32_e32 v76, v87
	v_fmac_f32_e32 v91, 0x32a5705f, v65
	v_cndmask_b32_e32 v73, 0, v73, vcc_lo
	v_cmp_nlt_f32_e32 vcc_lo, 0x42b17218, v7
	v_sub_f32_e32 v87, v96, v94
	v_pk_mul_f16 v64, v90, v64 op_sel_hi:[0,1]
	s_delay_alu instid0(VALU_DEP_4) | instskip(NEXT) | instid1(TRANS32_DEP_2)
	v_cndmask_b32_e32 v7, 0x7f800000, v73, vcc_lo
	v_ldexp_f32 v74, v74, v77
	v_cmp_ngt_f32_e32 vcc_lo, 0xc2ce8ed0, v4
	s_delay_alu instid0(TRANS32_DEP_1) | instskip(SKIP_4) | instid1(VALU_DEP_4)
	v_ldexp_f32 v73, v76, v95
	v_add_f32_e32 v87, v87, v91
	v_cvt_i32_f32_e32 v77, v94
	v_dual_cndmask_b32 v74, 0, v74 :: v_dual_add_nc_u32 v91, v43, v33
	v_cmp_ngt_f32_e32 vcc_lo, 0xc2ce8ed0, v5
	v_exp_f32_e32 v76, v87
	v_pk_mul_f16 v94, v90, v58 op_sel_hi:[0,1]
	v_pk_mul_f16 v95, v90, v59 op_sel_hi:[0,1]
	v_cndmask_b32_e32 v73, 0, v73, vcc_lo
	v_cmp_nlt_f32_e32 vcc_lo, 0x42b17218, v4
	v_cndmask_b32_e32 v74, 0x7f800000, v74, vcc_lo
	v_cmp_nlt_f32_e32 vcc_lo, 0x42b17218, v5
	s_delay_alu instid0(TRANS32_DEP_1)
	v_ldexp_f32 v4, v76, v77
	v_pack_b32_f16 v5, v89, v97
	v_cndmask_b32_e32 v87, 0x7f800000, v73, vcc_lo
	v_add_f32_e32 v73, v9, v7
	v_cvt_f16_f32_e32 v7, v7
	v_cmp_ngt_f32_e32 vcc_lo, 0xc2ce8ed0, v65
	v_cvt_f16_f32_e32 v9, v74
	v_cvt_f16_f32_e32 v76, v87
	s_delay_alu instid0(VALU_DEP_4)
	v_pack_b32_f16 v7, v71, v7
	v_cndmask_b32_e32 v77, 0, v4, vcc_lo
	v_pack_b32_f16 v4, v86, v6
	v_pack_b32_f16 v6, v11, v8
	v_cmp_nlt_f32_e32 vcc_lo, 0x42b17218, v65
	v_add_nc_u32_e32 v65, 0x8000, v33
	v_pack_b32_f16 v9, v72, v9
	v_pack_b32_f16 v8, v114, v10
	;; [unrolled: 1-line block ×4, first 2 shown]
	v_add_f32_e32 v86, v74, v73
	v_cndmask_b32_e32 v89, 0x7f800000, v77, vcc_lo
	ds_store_2addr_b64 v91, v[4:5], v[6:7] offset1:32
	ds_store_2addr_b64 v91, v[8:9], v[10:11] offset0:64 offset1:96
	s_waitcnt vmcnt(3)
	ds_store_b128 v44, v[98:101]
	s_waitcnt vmcnt(2)
	ds_store_b128 v45, v[102:105]
	;; [unrolled: 2-line block ×4, first 2 shown]
	s_waitcnt lgkmcnt(0)
	s_barrier
	buffer_gl0_inv
	ds_load_2addr_b64 v[70:73], v65 offset1:32
	ds_load_b128 v[74:77], v43
	v_add_f32_e32 v86, v87, v86
	v_cvt_f16_f32_e32 v4, v89
	v_pk_mul_f16 v91, v90, v60 op_sel_hi:[0,1]
	v_pk_mul_f16 v87, v90, v63 op_sel_hi:[0,1]
	s_delay_alu instid0(VALU_DEP_4) | instskip(NEXT) | instid1(VALU_DEP_4)
	v_fmac_f32_e32 v86, v85, v89
	v_pk_mul_f16 v60, v4, v56 op_sel_hi:[0,1]
	v_pk_mul_f16 v63, v4, v57 op_sel_hi:[0,1]
	;; [unrolled: 1-line block ×6, first 2 shown]
	ds_load_2addr_b64 v[52:55], v65 offset0:64 offset1:96
	ds_load_b128 v[56:59], v43 offset:16
	v_pk_mul_f16 v50, v4, v50 op_sel_hi:[0,1]
	v_pk_mul_f16 v49, v4, v49 op_sel_hi:[0,1]
	ds_load_b128 v[8:11], v43 offset:32
	ds_load_b128 v[4:7], v43 offset:48
	s_waitcnt lgkmcnt(4)
	v_pk_mul_f16 v100, v70, v75 op_sel_hi:[1,0]
	v_pk_mul_f16 v98, v70, v74 op_sel_hi:[1,0]
	v_pk_mul_f16 v99, v70, v74 op_sel:[0,1]
	v_pk_fma_f16 v70, v70, v75, v60 op_sel:[0,1,0]
	v_pk_fma_f16 v80, v71, v74, v80 op_sel_hi:[1,0,1]
	v_pk_fma_f16 v90, v90, v61, v100 op_sel_hi:[0,1,1]
	v_pk_fma_f16 v92, v71, v74, v92 op_sel:[0,1,0]
	v_pk_fma_f16 v88, v71, v75, v88 op_sel_hi:[1,0,1]
	v_pk_fma_f16 v71, v71, v75, v63 op_sel:[0,1,0]
	v_pk_fma_f16 v100, v72, v75, v62 op_sel_hi:[1,0,1]
	ds_load_2addr_b64 v[60:63], v65 offset0:128 offset1:160
	v_pk_fma_f16 v93, v93, v69, v98 op_sel_hi:[0,1,1]
	v_pk_fma_f16 v98, v118, v66, v99 op_sel_hi:[0,1,1]
	;; [unrolled: 1-line block ×3, first 2 shown]
	v_pk_fma_f16 v99, v72, v74, v119 op_sel:[0,1,0]
	v_pk_fma_f16 v72, v72, v75, v85 op_sel:[0,1,0]
	v_pk_fma_f16 v81, v73, v74, v81 op_sel_hi:[1,0,1]
	v_pk_fma_f16 v85, v73, v74, v120 op_sel:[0,1,0]
	s_waitcnt lgkmcnt(4)
	v_pk_fma_f16 v101, v52, v74, v116 op_sel_hi:[1,0,1]
	v_pk_fma_f16 v102, v52, v74, v121 op_sel:[0,1,0]
	v_pk_fma_f16 v91, v52, v75, v91 op_sel_hi:[1,0,1]
	v_pk_fma_f16 v52, v52, v75, v96 op_sel:[0,1,0]
	;; [unrolled: 2-line block ×6, first 2 shown]
	ds_load_2addr_b64 v[66:69], v65 offset0:192 offset1:224
	v_pk_fma_f16 v94, v54, v75, v94 op_sel_hi:[1,0,1]
	v_pk_fma_f16 v50, v54, v75, v50 op_sel:[0,1,0]
	v_add_nc_u32_e32 v54, 0x8800, v33
	v_pk_fma_f16 v64, v73, v75, v64 op_sel_hi:[1,0,1]
	v_pk_fma_f16 v89, v73, v75, v89 op_sel:[0,1,0]
	v_pk_fma_f16 v95, v55, v75, v95 op_sel_hi:[1,0,1]
	v_pk_fma_f16 v49, v55, v75, v49 op_sel:[0,1,0]
	s_waitcnt lgkmcnt(1)
	v_pk_fma_f16 v55, v60, v76, v93 op_sel_hi:[1,0,1]
	v_pk_fma_f16 v75, v60, v76, v98 op_sel:[0,1,0]
	v_pk_fma_f16 v93, v60, v77, v70 op_sel:[0,1,0]
	;; [unrolled: 1-line block ×4, first 2 shown]
	ds_load_2addr_b64 v[70:73], v54 offset1:32
	v_pk_fma_f16 v90, v60, v77, v90 op_sel_hi:[1,0,1]
	v_pk_fma_f16 v80, v61, v76, v80 op_sel_hi:[1,0,1]
	v_pk_fma_f16 v92, v61, v76, v92 op_sel:[0,1,0]
	v_pk_fma_f16 v88, v61, v77, v88 op_sel_hi:[1,0,1]
	v_pk_fma_f16 v78, v62, v76, v78 op_sel_hi:[1,0,1]
	v_pk_fma_f16 v99, v62, v76, v99 op_sel:[0,1,0]
	;; [unrolled: 3-line block ×3, first 2 shown]
	v_pk_fma_f16 v64, v63, v77, v64 op_sel_hi:[1,0,1]
	v_pk_fma_f16 v89, v63, v77, v89 op_sel:[0,1,0]
	s_waitcnt lgkmcnt(1)
	v_pk_fma_f16 v101, v66, v76, v101 op_sel_hi:[1,0,1]
	v_pk_fma_f16 v102, v66, v76, v102 op_sel:[0,1,0]
	v_pk_fma_f16 v91, v66, v77, v91 op_sel_hi:[1,0,1]
	v_pk_fma_f16 v52, v66, v77, v52 op_sel:[0,1,0]
	;; [unrolled: 2-line block ×7, first 2 shown]
	ds_load_2addr_b64 v[60:63], v54 offset0:64 offset1:96
	v_pk_fma_f16 v76, v69, v77, v95 op_sel_hi:[1,0,1]
	v_pk_fma_f16 v49, v69, v77, v49 op_sel:[0,1,0]
	ds_load_2addr_b64 v[66:69], v54 offset0:128 offset1:160
	s_waitcnt lgkmcnt(2)
	v_pk_fma_f16 v55, v70, v56, v55 op_sel_hi:[1,0,1]
	v_pk_fma_f16 v75, v70, v56, v75 op_sel:[0,1,0]
	v_pk_fma_f16 v77, v70, v57, v90 op_sel_hi:[1,0,1]
	v_pk_fma_f16 v90, v70, v57, v93 op_sel:[0,1,0]
	;; [unrolled: 2-line block ×8, first 2 shown]
	s_waitcnt lgkmcnt(1)
	v_pk_fma_f16 v100, v60, v56, v101 op_sel_hi:[1,0,1]
	v_pk_fma_f16 v101, v60, v56, v102 op_sel:[0,1,0]
	v_pk_fma_f16 v91, v60, v57, v91 op_sel_hi:[1,0,1]
	v_pk_fma_f16 v52, v60, v57, v52 op_sel:[0,1,0]
	;; [unrolled: 2-line block ×8, first 2 shown]
	s_waitcnt lgkmcnt(0)
	v_pk_fma_f16 v57, v66, v58, v55 op_sel_hi:[1,0,1]
	v_add_nc_u32_e32 v55, 0x9000, v33
	ds_load_2addr_b64 v[70:73], v54 offset0:192 offset1:224
	v_pk_fma_f16 v75, v66, v58, v75 op_sel:[0,1,0]
	v_pk_fma_f16 v76, v66, v59, v77 op_sel_hi:[1,0,1]
	v_pk_fma_f16 v77, v66, v59, v90 op_sel:[0,1,0]
	ds_load_2addr_b64 v[60:63], v55 offset1:32
	v_pk_fma_f16 v80, v67, v58, v80 op_sel_hi:[1,0,1]
	v_pk_fma_f16 v90, v67, v58, v92 op_sel:[0,1,0]
	v_pk_fma_f16 v88, v67, v59, v88 op_sel_hi:[1,0,1]
	v_pk_fma_f16 v92, v67, v59, v93 op_sel:[0,1,0]
	;; [unrolled: 2-line block ×6, first 2 shown]
	ds_load_2addr_b64 v[66:69], v55 offset0:64 offset1:96
	s_waitcnt lgkmcnt(2)
	v_pk_fma_f16 v99, v70, v58, v100 op_sel_hi:[1,0,1]
	v_pk_fma_f16 v100, v70, v58, v101 op_sel:[0,1,0]
	v_pk_fma_f16 v91, v70, v59, v91 op_sel_hi:[1,0,1]
	v_pk_fma_f16 v52, v70, v59, v52 op_sel:[0,1,0]
	;; [unrolled: 2-line block ×8, first 2 shown]
	s_waitcnt lgkmcnt(1)
	v_pk_fma_f16 v73, v60, v8, v57 op_sel_hi:[1,0,1]
	ds_load_2addr_b64 v[56:59], v55 offset0:128 offset1:160
	v_pk_fma_f16 v75, v60, v8, v75 op_sel:[0,1,0]
	v_pk_fma_f16 v76, v60, v9, v76 op_sel_hi:[1,0,1]
	v_pk_fma_f16 v77, v60, v9, v77 op_sel:[0,1,0]
	v_pk_fma_f16 v80, v61, v8, v80 op_sel_hi:[1,0,1]
	v_pk_fma_f16 v90, v61, v8, v90 op_sel:[0,1,0]
	v_pk_fma_f16 v88, v61, v9, v88 op_sel_hi:[1,0,1]
	v_pk_fma_f16 v92, v61, v9, v92 op_sel:[0,1,0]
	v_pk_fma_f16 v78, v62, v8, v78 op_sel_hi:[1,0,1]
	v_pk_fma_f16 v93, v62, v8, v93 op_sel:[0,1,0]
	v_pk_fma_f16 v95, v62, v9, v95 op_sel_hi:[1,0,1]
	v_pk_fma_f16 v98, v62, v9, v98 op_sel:[0,1,0]
	v_pk_fma_f16 v81, v63, v8, v81 op_sel_hi:[1,0,1]
	v_pk_fma_f16 v85, v63, v8, v85 op_sel:[0,1,0]
	v_pk_fma_f16 v64, v63, v9, v64 op_sel_hi:[1,0,1]
	v_pk_fma_f16 v89, v63, v9, v89 op_sel:[0,1,0]
	ds_load_2addr_b64 v[60:63], v55 offset0:192 offset1:224
	s_waitcnt lgkmcnt(2)
	v_pk_fma_f16 v99, v66, v8, v99 op_sel_hi:[1,0,1]
	v_pk_fma_f16 v100, v66, v8, v100 op_sel:[0,1,0]
	v_pk_fma_f16 v91, v66, v9, v91 op_sel_hi:[1,0,1]
	v_pk_fma_f16 v52, v66, v9, v52 op_sel:[0,1,0]
	;; [unrolled: 2-line block ×5, first 2 shown]
	v_add_co_u32 v8, vcc_lo, s8, v27
	v_pk_fma_f16 v180, v67, v9, v87 op_sel_hi:[1,0,1]
	v_pk_fma_f16 v181, v67, v9, v53 op_sel:[0,1,0]
	v_pk_fma_f16 v184, v68, v9, v94 op_sel_hi:[1,0,1]
	v_pk_fma_f16 v185, v68, v9, v50 op_sel:[0,1,0]
	;; [unrolled: 2-line block ×3, first 2 shown]
	v_add_nc_u32_e32 v49, 0xb800, v33
	v_add_co_ci_u32_e32 v9, vcc_lo, s20, v28, vcc_lo
	v_add_co_u32 v163, vcc_lo, s8, v29
	v_add_co_ci_u32_e32 v164, vcc_lo, s20, v30, vcc_lo
	v_add_co_u32 v8, vcc_lo, v8, v40
	s_delay_alu instid0(VALU_DEP_4)
	v_add_co_ci_u32_e32 v9, vcc_lo, 0, v9, vcc_lo
	s_waitcnt lgkmcnt(1)
	v_pk_fma_f16 v190, v56, v10, v73 op_sel_hi:[1,0,1]
	v_pk_fma_f16 v191, v56, v10, v75 op_sel:[0,1,0]
	v_pk_fma_f16 v192, v56, v11, v76 op_sel_hi:[1,0,1]
	v_pk_fma_f16 v193, v56, v11, v77 op_sel:[0,1,0]
	v_add_nc_u32_e32 v56, 0x9800, v33
	v_add_nc_u32_e32 v53, 0xa000, v33
	;; [unrolled: 1-line block ×3, first 2 shown]
	v_add_co_u32 v175, vcc_lo, v163, v40
	s_waitcnt lgkmcnt(0)
	v_pk_fma_f16 v207, v60, v11, v52 op_sel:[0,1,0]
	v_add_nc_u32_e32 v52, 0xa800, v33
	v_add_co_ci_u32_e32 v176, vcc_lo, 0, v164, vcc_lo
	v_pk_fma_f16 v194, v57, v10, v80 op_sel_hi:[1,0,1]
	v_pk_fma_f16 v195, v57, v10, v90 op_sel:[0,1,0]
	v_pk_fma_f16 v196, v57, v11, v88 op_sel_hi:[1,0,1]
	v_pk_fma_f16 v197, v57, v11, v92 op_sel:[0,1,0]
	;; [unrolled: 2-line block ×7, first 2 shown]
	v_pk_fma_f16 v206, v60, v11, v91 op_sel_hi:[1,0,1]
	v_pk_fma_f16 v208, v61, v10, v66 op_sel_hi:[1,0,1]
	ds_load_2addr_b64 v[57:60], v56 offset1:32
	ds_load_2addr_b64 v[66:69], v56 offset0:64 offset1:96
	ds_load_2addr_b64 v[70:73], v56 offset0:128 offset1:160
	;; [unrolled: 1-line block ×3, first 2 shown]
	ds_load_2addr_b64 v[78:81], v53 offset1:32
	ds_load_2addr_b64 v[87:90], v53 offset0:64 offset1:96
	ds_load_2addr_b64 v[91:94], v53 offset0:128 offset1:160
	;; [unrolled: 1-line block ×3, first 2 shown]
	ds_load_2addr_b64 v[99:102], v52 offset1:32
	ds_load_2addr_b64 v[103:106], v52 offset0:64 offset1:96
	ds_load_b128 v[107:110], v43 offset:64
	ds_load_b128 v[111:114], v43 offset:80
	ds_load_2addr_b64 v[115:118], v52 offset0:128 offset1:160
	ds_load_2addr_b64 v[119:122], v52 offset0:192 offset1:224
	ds_load_2addr_b64 v[123:126], v50 offset1:32
	ds_load_2addr_b64 v[127:130], v50 offset0:64 offset1:96
	ds_load_2addr_b64 v[131:134], v50 offset0:128 offset1:160
	;; [unrolled: 1-line block ×3, first 2 shown]
	ds_load_2addr_b64 v[139:142], v49 offset1:32
	ds_load_2addr_b64 v[143:146], v49 offset0:64 offset1:96
	ds_load_b128 v[147:150], v43 offset:96
	ds_load_b128 v[151:154], v43 offset:112
	ds_load_2addr_b64 v[155:158], v49 offset0:128 offset1:160
	ds_load_2addr_b64 v[159:162], v49 offset0:192 offset1:224
	s_waitcnt lgkmcnt(0)
	s_barrier
	buffer_gl0_inv
	s_clause 0x3
	global_load_b128 v[163:166], v[8:9], off
	global_load_b128 v[167:170], v[8:9], off offset:512
	global_load_b128 v[171:174], v[175:176], off
	global_load_b128 v[175:178], v[175:176], off offset:512
	v_pk_fma_f16 v8, v61, v10, v179 op_sel:[0,1,0]
	v_pk_fma_f16 v9, v61, v11, v180 op_sel_hi:[1,0,1]
	v_pk_fma_f16 v61, v61, v11, v181 op_sel:[0,1,0]
	v_pk_fma_f16 v179, v62, v10, v182 op_sel_hi:[1,0,1]
	;; [unrolled: 2-line block ×24, first 2 shown]
	v_pk_fma_f16 v58, v71, v7, v58 op_sel:[0,1,0]
	v_pk_fma_f16 v59, v72, v7, v59 op_sel:[0,1,0]
	v_pk_fma_f16 v64, v73, v7, v64 op_sel_hi:[1,0,1]
	v_pk_fma_f16 v60, v73, v7, v60 op_sel:[0,1,0]
	v_pk_fma_f16 v181, v71, v6, v187 op_sel:[0,1,0]
	v_pk_fma_f16 v182, v71, v7, v188 op_sel_hi:[1,0,1]
	v_pk_fma_f16 v71, v72, v6, v189 op_sel_hi:[1,0,1]
	v_pk_fma_f16 v183, v72, v6, v190 op_sel:[0,1,0]
	v_pk_fma_f16 v184, v72, v7, v191 op_sel_hi:[1,0,1]
	v_pk_fma_f16 v72, v73, v6, v192 op_sel_hi:[1,0,1]
	v_pk_fma_f16 v85, v73, v6, v85 op_sel:[0,1,0]
	v_pk_fma_f16 v73, v74, v6, v193 op_sel_hi:[1,0,1]
	v_pk_fma_f16 v185, v74, v6, v194 op_sel:[0,1,0]
	;; [unrolled: 2-line block ×6, first 2 shown]
	v_pk_fma_f16 v62, v76, v7, v62 op_sel:[0,1,0]
	v_pk_fma_f16 v68, v77, v6, v68 op_sel_hi:[1,0,1]
	v_pk_fma_f16 v4, v77, v6, v4 op_sel:[0,1,0]
	v_pk_fma_f16 v6, v77, v7, v10 op_sel_hi:[1,0,1]
	v_pk_fma_f16 v10, v78, v107, v63 op_sel:[0,1,0]
	v_pk_fma_f16 v57, v78, v108, v57 op_sel:[0,1,0]
	v_pk_fma_f16 v63, v79, v107, v70 op_sel_hi:[1,0,1]
	v_pk_fma_f16 v58, v79, v108, v58 op_sel:[0,1,0]
	;; [unrolled: 3-line block ×3, first 2 shown]
	v_pk_fma_f16 v61, v88, v108, v61 op_sel:[0,1,0]
	v_pk_fma_f16 v62, v89, v108, v62 op_sel:[0,1,0]
	;; [unrolled: 1-line block ×3, first 2 shown]
	v_pk_fma_f16 v63, v92, v109, v63 op_sel_hi:[1,0,1]
	v_pk_fma_f16 v58, v92, v110, v58 op_sel:[0,1,0]
	v_pk_fma_f16 v59, v93, v110, v59 op_sel:[0,1,0]
	v_pk_fma_f16 v64, v94, v110, v64 op_sel_hi:[1,0,1]
	v_pk_fma_f16 v60, v94, v110, v60 op_sel:[0,1,0]
	v_pk_fma_f16 v61, v96, v110, v61 op_sel:[0,1,0]
	;; [unrolled: 1-line block ×4, first 2 shown]
	v_pk_fma_f16 v63, v100, v111, v63 op_sel_hi:[1,0,1]
	v_pk_fma_f16 v58, v100, v112, v58 op_sel:[0,1,0]
	v_pk_fma_f16 v59, v101, v112, v59 op_sel:[0,1,0]
	v_pk_fma_f16 v64, v102, v112, v64 op_sel_hi:[1,0,1]
	v_pk_fma_f16 v60, v102, v112, v60 op_sel:[0,1,0]
	v_pk_fma_f16 v5, v77, v7, v5 op_sel:[0,1,0]
	v_pk_fma_f16 v179, v76, v7, v180 op_sel_hi:[1,0,1]
	v_pk_fma_f16 v7, v78, v107, v11 op_sel_hi:[1,0,1]
	;; [unrolled: 1-line block ×3, first 2 shown]
	v_pk_fma_f16 v69, v79, v107, v181 op_sel:[0,1,0]
	v_pk_fma_f16 v70, v79, v108, v182 op_sel_hi:[1,0,1]
	v_pk_fma_f16 v71, v80, v107, v71 op_sel_hi:[1,0,1]
	v_pk_fma_f16 v76, v80, v107, v183 op_sel:[0,1,0]
	v_pk_fma_f16 v77, v80, v108, v184 op_sel_hi:[1,0,1]
	v_pk_fma_f16 v72, v81, v107, v72 op_sel_hi:[1,0,1]
	v_pk_fma_f16 v78, v81, v107, v85 op_sel:[0,1,0]
	v_pk_fma_f16 v61, v104, v112, v61 op_sel:[0,1,0]
	;; [unrolled: 1-line block ×4, first 2 shown]
	v_pk_fma_f16 v63, v116, v113, v63 op_sel_hi:[1,0,1]
	v_pk_fma_f16 v58, v116, v114, v58 op_sel:[0,1,0]
	v_pk_fma_f16 v59, v117, v114, v59 op_sel:[0,1,0]
	v_pk_fma_f16 v64, v118, v114, v64 op_sel_hi:[1,0,1]
	v_pk_fma_f16 v60, v118, v114, v60 op_sel:[0,1,0]
	v_pk_fma_f16 v73, v87, v107, v73 op_sel_hi:[1,0,1]
	v_pk_fma_f16 v66, v87, v108, v66 op_sel:[0,1,0]
	v_pk_fma_f16 v8, v88, v107, v8 op_sel:[0,1,0]
	v_pk_fma_f16 v9, v88, v108, v9 op_sel_hi:[1,0,1]
	v_pk_fma_f16 v67, v89, v107, v67 op_sel_hi:[1,0,1]
	;; [unrolled: 1-line block ×3, first 2 shown]
	v_pk_fma_f16 v4, v90, v107, v4 op_sel:[0,1,0]
	v_pk_fma_f16 v6, v90, v108, v6 op_sel_hi:[1,0,1]
	v_pk_fma_f16 v5, v90, v108, v5 op_sel:[0,1,0]
	v_pk_fma_f16 v74, v88, v107, v74 op_sel_hi:[1,0,1]
	;; [unrolled: 2-line block ×5, first 2 shown]
	v_pk_fma_f16 v71, v93, v109, v71 op_sel_hi:[1,0,1]
	v_pk_fma_f16 v76, v93, v109, v76 op_sel:[0,1,0]
	v_pk_fma_f16 v77, v93, v110, v77 op_sel_hi:[1,0,1]
	v_pk_fma_f16 v72, v94, v109, v72 op_sel_hi:[1,0,1]
	v_pk_fma_f16 v78, v94, v109, v78 op_sel:[0,1,0]
	v_pk_fma_f16 v61, v120, v114, v61 op_sel:[0,1,0]
	;; [unrolled: 1-line block ×4, first 2 shown]
	v_pk_fma_f16 v63, v124, v147, v63 op_sel_hi:[1,0,1]
	v_pk_fma_f16 v58, v124, v148, v58 op_sel:[0,1,0]
	v_pk_fma_f16 v59, v125, v148, v59 op_sel:[0,1,0]
	v_pk_fma_f16 v64, v126, v148, v64 op_sel_hi:[1,0,1]
	v_pk_fma_f16 v60, v126, v148, v60 op_sel:[0,1,0]
	v_pk_fma_f16 v73, v95, v109, v73 op_sel_hi:[1,0,1]
	v_pk_fma_f16 v66, v95, v110, v66 op_sel:[0,1,0]
	v_pk_fma_f16 v8, v96, v109, v8 op_sel:[0,1,0]
	v_pk_fma_f16 v9, v96, v110, v9 op_sel_hi:[1,0,1]
	v_pk_fma_f16 v67, v97, v109, v67 op_sel_hi:[1,0,1]
	;; [unrolled: 1-line block ×3, first 2 shown]
	v_pk_fma_f16 v4, v98, v109, v4 op_sel:[0,1,0]
	v_pk_fma_f16 v6, v98, v110, v6 op_sel_hi:[1,0,1]
	v_pk_fma_f16 v5, v98, v110, v5 op_sel:[0,1,0]
	v_pk_fma_f16 v74, v96, v109, v74 op_sel_hi:[1,0,1]
	;; [unrolled: 2-line block ×5, first 2 shown]
	v_pk_fma_f16 v71, v101, v111, v71 op_sel_hi:[1,0,1]
	v_pk_fma_f16 v76, v101, v111, v76 op_sel:[0,1,0]
	v_pk_fma_f16 v77, v101, v112, v77 op_sel_hi:[1,0,1]
	v_pk_fma_f16 v72, v102, v111, v72 op_sel_hi:[1,0,1]
	v_pk_fma_f16 v78, v102, v111, v78 op_sel:[0,1,0]
	v_pk_fma_f16 v61, v128, v148, v61 op_sel:[0,1,0]
	v_pk_fma_f16 v62, v129, v148, v62 op_sel:[0,1,0]
	v_pk_fma_f16 v57, v131, v150, v57 op_sel:[0,1,0]
	v_pk_fma_f16 v63, v132, v149, v63 op_sel_hi:[1,0,1]
	v_pk_fma_f16 v58, v132, v150, v58 op_sel:[0,1,0]
	v_pk_fma_f16 v59, v133, v150, v59 op_sel:[0,1,0]
	v_pk_fma_f16 v64, v134, v150, v64 op_sel_hi:[1,0,1]
	v_pk_fma_f16 v60, v134, v150, v60 op_sel:[0,1,0]
	v_pk_fma_f16 v73, v103, v111, v73 op_sel_hi:[1,0,1]
	v_pk_fma_f16 v66, v103, v112, v66 op_sel:[0,1,0]
	v_pk_fma_f16 v8, v104, v111, v8 op_sel:[0,1,0]
	v_pk_fma_f16 v9, v104, v112, v9 op_sel_hi:[1,0,1]
	v_pk_fma_f16 v67, v105, v111, v67 op_sel_hi:[1,0,1]
	;; [unrolled: 1-line block ×3, first 2 shown]
	v_pk_fma_f16 v4, v106, v111, v4 op_sel:[0,1,0]
	v_pk_fma_f16 v6, v106, v112, v6 op_sel_hi:[1,0,1]
	v_pk_fma_f16 v5, v106, v112, v5 op_sel:[0,1,0]
	v_pk_fma_f16 v79, v87, v107, v185 op_sel:[0,1,0]
	v_pk_fma_f16 v80, v87, v108, v186 op_sel_hi:[1,0,1]
	v_pk_fma_f16 v81, v89, v108, v179 op_sel_hi:[1,0,1]
	;; [unrolled: 1-line block ×3, first 2 shown]
	v_pk_fma_f16 v75, v105, v111, v75 op_sel:[0,1,0]
	v_pk_fma_f16 v7, v115, v113, v7 op_sel_hi:[1,0,1]
	v_pk_fma_f16 v10, v115, v113, v10 op_sel:[0,1,0]
	v_pk_fma_f16 v11, v115, v114, v11 op_sel_hi:[1,0,1]
	;; [unrolled: 2-line block ×3, first 2 shown]
	v_pk_fma_f16 v71, v117, v113, v71 op_sel_hi:[1,0,1]
	v_pk_fma_f16 v76, v117, v113, v76 op_sel:[0,1,0]
	v_pk_fma_f16 v77, v117, v114, v77 op_sel_hi:[1,0,1]
	v_pk_fma_f16 v72, v118, v113, v72 op_sel_hi:[1,0,1]
	v_pk_fma_f16 v78, v118, v113, v78 op_sel:[0,1,0]
	v_pk_fma_f16 v61, v136, v150, v61 op_sel:[0,1,0]
	;; [unrolled: 1-line block ×4, first 2 shown]
	v_pk_fma_f16 v63, v140, v151, v63 op_sel_hi:[1,0,1]
	v_pk_fma_f16 v58, v140, v152, v58 op_sel:[0,1,0]
	v_pk_fma_f16 v59, v141, v152, v59 op_sel:[0,1,0]
	v_pk_fma_f16 v64, v142, v152, v64 op_sel_hi:[1,0,1]
	v_pk_fma_f16 v60, v142, v152, v60 op_sel:[0,1,0]
	v_pk_fma_f16 v73, v119, v113, v73 op_sel_hi:[1,0,1]
	v_pk_fma_f16 v66, v119, v114, v66 op_sel:[0,1,0]
	v_pk_fma_f16 v8, v120, v113, v8 op_sel:[0,1,0]
	v_pk_fma_f16 v9, v120, v114, v9 op_sel_hi:[1,0,1]
	v_pk_fma_f16 v67, v121, v113, v67 op_sel_hi:[1,0,1]
	;; [unrolled: 1-line block ×3, first 2 shown]
	v_pk_fma_f16 v4, v122, v113, v4 op_sel:[0,1,0]
	v_pk_fma_f16 v6, v122, v114, v6 op_sel_hi:[1,0,1]
	v_pk_fma_f16 v5, v122, v114, v5 op_sel:[0,1,0]
	v_pk_fma_f16 v79, v95, v109, v79 op_sel:[0,1,0]
	v_pk_fma_f16 v80, v95, v110, v80 op_sel_hi:[1,0,1]
	v_pk_fma_f16 v81, v97, v110, v81 op_sel_hi:[1,0,1]
	;; [unrolled: 1-line block ×3, first 2 shown]
	v_pk_fma_f16 v75, v121, v113, v75 op_sel:[0,1,0]
	v_pk_fma_f16 v7, v123, v147, v7 op_sel_hi:[1,0,1]
	v_pk_fma_f16 v10, v123, v147, v10 op_sel:[0,1,0]
	v_pk_fma_f16 v11, v123, v148, v11 op_sel_hi:[1,0,1]
	;; [unrolled: 2-line block ×3, first 2 shown]
	v_pk_fma_f16 v71, v125, v147, v71 op_sel_hi:[1,0,1]
	v_pk_fma_f16 v76, v125, v147, v76 op_sel:[0,1,0]
	v_pk_fma_f16 v77, v125, v148, v77 op_sel_hi:[1,0,1]
	v_pk_fma_f16 v72, v126, v147, v72 op_sel_hi:[1,0,1]
	v_pk_fma_f16 v78, v126, v147, v78 op_sel:[0,1,0]
	v_pk_fma_f16 v85, v144, v152, v61 op_sel:[0,1,0]
	;; [unrolled: 1-line block ×4, first 2 shown]
	v_pk_fma_f16 v92, v156, v153, v63 op_sel_hi:[1,0,1]
	v_pk_fma_f16 v95, v156, v154, v58 op_sel:[0,1,0]
	v_pk_fma_f16 v97, v157, v154, v59 op_sel:[0,1,0]
	v_pk_fma_f16 v99, v158, v154, v64 op_sel_hi:[1,0,1]
	v_pk_fma_f16 v100, v158, v154, v60 op_sel:[0,1,0]
	s_waitcnt vmcnt(3)
	ds_store_b128 v44, v[163:166]
	s_waitcnt vmcnt(2)
	ds_store_b128 v45, v[167:170]
	;; [unrolled: 2-line block ×4, first 2 shown]
	s_waitcnt lgkmcnt(0)
	s_barrier
	buffer_gl0_inv
	ds_load_2addr_b64 v[57:60], v65 offset1:32
	ds_load_b128 v[61:64], v43 offset:128
	v_pk_fma_f16 v73, v127, v147, v73 op_sel_hi:[1,0,1]
	v_pk_fma_f16 v66, v127, v148, v66 op_sel:[0,1,0]
	v_pk_fma_f16 v8, v128, v147, v8 op_sel:[0,1,0]
	v_pk_fma_f16 v9, v128, v148, v9 op_sel_hi:[1,0,1]
	v_pk_fma_f16 v67, v129, v147, v67 op_sel_hi:[1,0,1]
	v_pk_fma_f16 v68, v130, v147, v68 op_sel_hi:[1,0,1]
	v_pk_fma_f16 v4, v130, v147, v4 op_sel:[0,1,0]
	v_pk_fma_f16 v6, v130, v148, v6 op_sel_hi:[1,0,1]
	v_pk_fma_f16 v5, v130, v148, v5 op_sel:[0,1,0]
	v_pk_fma_f16 v79, v103, v111, v79 op_sel:[0,1,0]
	v_pk_fma_f16 v80, v103, v112, v80 op_sel_hi:[1,0,1]
	v_pk_fma_f16 v81, v105, v112, v81 op_sel_hi:[1,0,1]
	v_pk_fma_f16 v74, v128, v147, v74 op_sel_hi:[1,0,1]
	v_pk_fma_f16 v75, v129, v147, v75 op_sel:[0,1,0]
	v_pk_fma_f16 v7, v131, v149, v7 op_sel_hi:[1,0,1]
	v_pk_fma_f16 v10, v131, v149, v10 op_sel:[0,1,0]
	v_pk_fma_f16 v11, v131, v150, v11 op_sel_hi:[1,0,1]
	v_pk_fma_f16 v69, v132, v149, v69 op_sel:[0,1,0]
	v_pk_fma_f16 v70, v132, v150, v70 op_sel_hi:[1,0,1]
	v_pk_fma_f16 v71, v133, v149, v71 op_sel_hi:[1,0,1]
	v_pk_fma_f16 v76, v133, v149, v76 op_sel:[0,1,0]
	v_pk_fma_f16 v77, v133, v150, v77 op_sel_hi:[1,0,1]
	v_pk_fma_f16 v72, v134, v149, v72 op_sel_hi:[1,0,1]
	v_pk_fma_f16 v78, v134, v149, v78 op_sel:[0,1,0]
	v_pk_fma_f16 v73, v135, v149, v73 op_sel_hi:[1,0,1]
	v_pk_fma_f16 v66, v135, v150, v66 op_sel:[0,1,0]
	v_pk_fma_f16 v8, v136, v149, v8 op_sel:[0,1,0]
	v_pk_fma_f16 v9, v136, v150, v9 op_sel_hi:[1,0,1]
	v_pk_fma_f16 v67, v137, v149, v67 op_sel_hi:[1,0,1]
	v_pk_fma_f16 v68, v138, v149, v68 op_sel_hi:[1,0,1]
	v_pk_fma_f16 v4, v138, v149, v4 op_sel:[0,1,0]
	v_pk_fma_f16 v6, v138, v150, v6 op_sel_hi:[1,0,1]
	v_pk_fma_f16 v5, v138, v150, v5 op_sel:[0,1,0]
	v_pk_fma_f16 v79, v119, v113, v79 op_sel:[0,1,0]
	v_pk_fma_f16 v80, v119, v114, v80 op_sel_hi:[1,0,1]
	v_pk_fma_f16 v81, v121, v114, v81 op_sel_hi:[1,0,1]
	v_pk_fma_f16 v74, v136, v149, v74 op_sel_hi:[1,0,1]
	v_pk_fma_f16 v75, v137, v149, v75 op_sel:[0,1,0]
	v_pk_fma_f16 v7, v139, v151, v7 op_sel_hi:[1,0,1]
	v_pk_fma_f16 v10, v139, v151, v10 op_sel:[0,1,0]
	v_pk_fma_f16 v11, v139, v152, v11 op_sel_hi:[1,0,1]
	v_pk_fma_f16 v69, v140, v151, v69 op_sel:[0,1,0]
	v_pk_fma_f16 v70, v140, v152, v70 op_sel_hi:[1,0,1]
	v_pk_fma_f16 v71, v141, v151, v71 op_sel_hi:[1,0,1]
	v_pk_fma_f16 v76, v141, v151, v76 op_sel:[0,1,0]
	v_pk_fma_f16 v77, v141, v152, v77 op_sel_hi:[1,0,1]
	v_pk_fma_f16 v72, v142, v151, v72 op_sel_hi:[1,0,1]
	v_pk_fma_f16 v78, v142, v151, v78 op_sel:[0,1,0]
	;; [unrolled: 24-line block ×3, first 2 shown]
	v_pk_fma_f16 v101, v159, v153, v73 op_sel_hi:[1,0,1]
	v_pk_fma_f16 v102, v159, v154, v66 op_sel:[0,1,0]
	v_pk_fma_f16 v104, v160, v153, v8 op_sel:[0,1,0]
	v_pk_fma_f16 v105, v160, v154, v9 op_sel_hi:[1,0,1]
	v_pk_fma_f16 v106, v161, v153, v67 op_sel_hi:[1,0,1]
	;; [unrolled: 1-line block ×3, first 2 shown]
	v_pk_fma_f16 v109, v162, v153, v4 op_sel:[0,1,0]
	v_pk_fma_f16 v110, v162, v154, v6 op_sel_hi:[1,0,1]
	v_pk_fma_f16 v111, v162, v154, v5 op_sel:[0,1,0]
	ds_load_2addr_b64 v[66:69], v65 offset0:64 offset1:96
	ds_load_b128 v[70:73], v43 offset:144
	ds_load_b128 v[8:11], v43 offset:160
	;; [unrolled: 1-line block ×3, first 2 shown]
	v_pk_fma_f16 v79, v135, v149, v79 op_sel:[0,1,0]
	v_pk_fma_f16 v80, v135, v150, v80 op_sel_hi:[1,0,1]
	v_pk_fma_f16 v81, v137, v150, v81 op_sel_hi:[1,0,1]
	;; [unrolled: 1-line block ×3, first 2 shown]
	v_pk_fma_f16 v107, v161, v153, v75 op_sel:[0,1,0]
	s_waitcnt lgkmcnt(4)
	v_pk_fma_f16 v88, v57, v61, v88 op_sel_hi:[1,0,1]
	v_pk_fma_f16 v89, v57, v61, v89 op_sel:[0,1,0]
	v_pk_fma_f16 v90, v57, v62, v90 op_sel_hi:[1,0,1]
	v_pk_fma_f16 v91, v57, v62, v91 op_sel:[0,1,0]
	;; [unrolled: 2-line block ×7, first 2 shown]
	ds_load_2addr_b64 v[74:77], v65 offset0:128 offset1:160
	v_pk_fma_f16 v99, v60, v62, v99 op_sel_hi:[1,0,1]
	v_pk_fma_f16 v100, v60, v62, v100 op_sel:[0,1,0]
	ds_load_2addr_b64 v[57:60], v65 offset0:192 offset1:224
	v_pk_fma_f16 v79, v143, v151, v79 op_sel:[0,1,0]
	v_pk_fma_f16 v80, v143, v152, v80 op_sel_hi:[1,0,1]
	v_pk_fma_f16 v81, v145, v152, v81 op_sel_hi:[1,0,1]
	v_pk_fma_f16 v85, v160, v154, v85 op_sel:[0,1,0]
	v_pk_fma_f16 v87, v161, v154, v87 op_sel:[0,1,0]
	;; [unrolled: 1-line block ×3, first 2 shown]
	v_pk_fma_f16 v80, v159, v154, v80 op_sel_hi:[1,0,1]
	v_pk_fma_f16 v81, v161, v154, v81 op_sel_hi:[1,0,1]
	s_waitcnt lgkmcnt(5)
	v_pk_fma_f16 v101, v66, v61, v101 op_sel_hi:[1,0,1]
	v_pk_fma_f16 v102, v66, v62, v102 op_sel:[0,1,0]
	v_pk_fma_f16 v79, v66, v61, v79 op_sel:[0,1,0]
	v_pk_fma_f16 v80, v66, v62, v80 op_sel_hi:[1,0,1]
	v_pk_fma_f16 v103, v67, v61, v103 op_sel_hi:[1,0,1]
	v_pk_fma_f16 v104, v67, v61, v104 op_sel:[0,1,0]
	v_pk_fma_f16 v105, v67, v62, v105 op_sel_hi:[1,0,1]
	v_pk_fma_f16 v85, v67, v62, v85 op_sel:[0,1,0]
	;; [unrolled: 2-line block ×6, first 2 shown]
	ds_load_2addr_b64 v[66:69], v54 offset1:32
	s_waitcnt lgkmcnt(2)
	v_pk_fma_f16 v88, v74, v63, v88 op_sel_hi:[1,0,1]
	v_pk_fma_f16 v89, v74, v63, v89 op_sel:[0,1,0]
	v_pk_fma_f16 v90, v74, v64, v90 op_sel_hi:[1,0,1]
	v_pk_fma_f16 v91, v74, v64, v91 op_sel:[0,1,0]
	;; [unrolled: 2-line block ×8, first 2 shown]
	s_waitcnt lgkmcnt(1)
	v_pk_fma_f16 v101, v57, v63, v101 op_sel_hi:[1,0,1]
	v_pk_fma_f16 v79, v57, v63, v79 op_sel:[0,1,0]
	v_pk_fma_f16 v80, v57, v64, v80 op_sel_hi:[1,0,1]
	v_pk_fma_f16 v102, v57, v64, v102 op_sel:[0,1,0]
	;; [unrolled: 2-line block ×7, first 2 shown]
	ds_load_2addr_b64 v[74:77], v54 offset0:64 offset1:96
	v_pk_fma_f16 v109, v60, v64, v109 op_sel_hi:[1,0,1]
	v_pk_fma_f16 v112, v60, v64, v62 op_sel:[0,1,0]
	ds_load_2addr_b64 v[57:60], v54 offset0:128 offset1:160
	s_waitcnt lgkmcnt(2)
	v_pk_fma_f16 v88, v66, v70, v88 op_sel_hi:[1,0,1]
	v_pk_fma_f16 v89, v66, v70, v89 op_sel:[0,1,0]
	v_pk_fma_f16 v90, v66, v71, v90 op_sel_hi:[1,0,1]
	v_pk_fma_f16 v66, v66, v71, v91 op_sel:[0,1,0]
	v_pk_fma_f16 v91, v67, v70, v92 op_sel_hi:[1,0,1]
	v_pk_fma_f16 v92, v67, v70, v93 op_sel:[0,1,0]
	v_pk_fma_f16 v93, v67, v71, v94 op_sel_hi:[1,0,1]
	v_pk_fma_f16 v67, v67, v71, v95 op_sel:[0,1,0]
	v_pk_fma_f16 v94, v68, v70, v96 op_sel_hi:[1,0,1]
	v_pk_fma_f16 v95, v68, v70, v110 op_sel:[0,1,0]
	v_pk_fma_f16 v96, v68, v71, v111 op_sel_hi:[1,0,1]
	v_pk_fma_f16 v68, v68, v71, v97 op_sel:[0,1,0]
	v_pk_fma_f16 v97, v69, v70, v98 op_sel_hi:[1,0,1]
	v_pk_fma_f16 v78, v69, v70, v78 op_sel:[0,1,0]
	v_pk_fma_f16 v98, v69, v71, v99 op_sel_hi:[1,0,1]
	v_pk_fma_f16 v99, v69, v71, v100 op_sel:[0,1,0]
	s_waitcnt lgkmcnt(1)
	v_pk_fma_f16 v100, v74, v70, v101 op_sel_hi:[1,0,1]
	v_pk_fma_f16 v79, v74, v70, v79 op_sel:[0,1,0]
	v_pk_fma_f16 v80, v74, v71, v80 op_sel_hi:[1,0,1]
	v_pk_fma_f16 v74, v74, v71, v102 op_sel:[0,1,0]
	;; [unrolled: 2-line block ×7, first 2 shown]
	ds_load_2addr_b64 v[61:64], v54 offset0:192 offset1:224
	v_pk_fma_f16 v105, v77, v71, v109 op_sel_hi:[1,0,1]
	v_pk_fma_f16 v71, v77, v71, v112 op_sel:[0,1,0]
	s_waitcnt lgkmcnt(1)
	v_pk_fma_f16 v77, v57, v72, v88 op_sel_hi:[1,0,1]
	v_pk_fma_f16 v88, v57, v72, v89 op_sel:[0,1,0]
	v_pk_fma_f16 v89, v57, v73, v90 op_sel_hi:[1,0,1]
	v_pk_fma_f16 v90, v57, v73, v66 op_sel:[0,1,0]
	v_pk_fma_f16 v106, v58, v73, v67 op_sel:[0,1,0]
	;; [unrolled: 1-line block ×3, first 2 shown]
	ds_load_2addr_b64 v[66:69], v55 offset1:32
	v_pk_fma_f16 v91, v58, v72, v91 op_sel_hi:[1,0,1]
	v_pk_fma_f16 v92, v58, v72, v92 op_sel:[0,1,0]
	v_pk_fma_f16 v93, v58, v73, v93 op_sel_hi:[1,0,1]
	v_pk_fma_f16 v94, v59, v72, v94 op_sel_hi:[1,0,1]
	v_pk_fma_f16 v95, v59, v72, v95 op_sel:[0,1,0]
	v_pk_fma_f16 v96, v59, v73, v96 op_sel_hi:[1,0,1]
	;; [unrolled: 3-line block ×3, first 2 shown]
	v_pk_fma_f16 v99, v60, v73, v99 op_sel:[0,1,0]
	ds_load_2addr_b64 v[57:60], v55 offset0:64 offset1:96
	s_or_b32 s8, s3, 32
	s_waitcnt lgkmcnt(2)
	v_pk_fma_f16 v100, v61, v72, v100 op_sel_hi:[1,0,1]
	v_pk_fma_f16 v79, v61, v72, v79 op_sel:[0,1,0]
	v_pk_fma_f16 v80, v61, v73, v80 op_sel_hi:[1,0,1]
	v_pk_fma_f16 v74, v61, v73, v74 op_sel:[0,1,0]
	;; [unrolled: 2-line block ×8, first 2 shown]
	s_waitcnt lgkmcnt(1)
	v_pk_fma_f16 v73, v66, v8, v77 op_sel_hi:[1,0,1]
	v_pk_fma_f16 v77, v66, v8, v88 op_sel:[0,1,0]
	v_pk_fma_f16 v88, v66, v9, v89 op_sel_hi:[1,0,1]
	v_pk_fma_f16 v89, v66, v9, v90 op_sel:[0,1,0]
	;; [unrolled: 2-line block ×7, first 2 shown]
	ds_load_2addr_b64 v[61:64], v55 offset0:128 offset1:160
	v_pk_fma_f16 v98, v69, v9, v98 op_sel_hi:[1,0,1]
	v_pk_fma_f16 v99, v69, v9, v99 op_sel:[0,1,0]
	ds_load_2addr_b64 v[66:69], v55 offset0:192 offset1:224
	s_mul_hi_i32 s21, s8, s10
	s_mul_i32 s20, s8, s10
	s_waitcnt lgkmcnt(2)
	v_pk_fma_f16 v100, v57, v8, v100 op_sel_hi:[1,0,1]
	s_lshl_b64 s[20:21], s[20:21], 2
	v_pk_fma_f16 v79, v57, v8, v79 op_sel:[0,1,0]
	s_add_u32 s8, s11, s20
	v_pk_fma_f16 v80, v57, v9, v80 op_sel_hi:[1,0,1]
	v_pk_fma_f16 v57, v57, v9, v74 op_sel:[0,1,0]
	v_pk_fma_f16 v74, v58, v8, v101 op_sel_hi:[1,0,1]
	v_pk_fma_f16 v179, v58, v8, v102 op_sel:[0,1,0]
	;; [unrolled: 2-line block ×4, first 2 shown]
	s_addc_u32 s20, s17, s21
	v_add_co_u32 v8, vcc_lo, s8, v27
	v_pk_fma_f16 v180, v58, v9, v103 op_sel_hi:[1,0,1]
	v_pk_fma_f16 v181, v58, v9, v75 op_sel:[0,1,0]
	v_pk_fma_f16 v183, v59, v9, v81 op_sel_hi:[1,0,1]
	v_pk_fma_f16 v184, v59, v9, v76 op_sel:[0,1,0]
	v_pk_fma_f16 v187, v60, v9, v72 op_sel_hi:[1,0,1]
	v_pk_fma_f16 v188, v60, v9, v71 op_sel:[0,1,0]
	v_add_co_ci_u32_e32 v9, vcc_lo, s20, v28, vcc_lo
	v_add_co_u32 v163, vcc_lo, s8, v29
	v_add_co_ci_u32_e32 v164, vcc_lo, s20, v30, vcc_lo
	v_add_co_u32 v8, vcc_lo, v8, v40
	s_delay_alu instid0(VALU_DEP_4) | instskip(NEXT) | instid1(VALU_DEP_4)
	v_add_co_ci_u32_e32 v9, vcc_lo, 0, v9, vcc_lo
	v_add_co_u32 v175, vcc_lo, v163, v40
	s_delay_alu instid0(VALU_DEP_4)
	v_add_co_ci_u32_e32 v176, vcc_lo, 0, v164, vcc_lo
	s_waitcnt lgkmcnt(1)
	v_pk_fma_f16 v189, v61, v10, v73 op_sel_hi:[1,0,1]
	v_pk_fma_f16 v190, v61, v10, v77 op_sel:[0,1,0]
	v_pk_fma_f16 v191, v61, v11, v88 op_sel_hi:[1,0,1]
	v_pk_fma_f16 v192, v61, v11, v89 op_sel:[0,1,0]
	;; [unrolled: 2-line block ×8, first 2 shown]
	s_waitcnt lgkmcnt(0)
	v_pk_fma_f16 v205, v66, v10, v100 op_sel_hi:[1,0,1]
	v_pk_fma_f16 v206, v66, v10, v79 op_sel:[0,1,0]
	v_pk_fma_f16 v207, v66, v11, v80 op_sel_hi:[1,0,1]
	v_pk_fma_f16 v66, v66, v11, v57 op_sel:[0,1,0]
	v_pk_fma_f16 v208, v67, v10, v74 op_sel_hi:[1,0,1]
	ds_load_2addr_b64 v[57:60], v56 offset1:32
	ds_load_2addr_b64 v[61:64], v56 offset0:64 offset1:96
	ds_load_2addr_b64 v[70:73], v56 offset0:128 offset1:160
	;; [unrolled: 1-line block ×3, first 2 shown]
	ds_load_2addr_b64 v[78:81], v53 offset1:32
	ds_load_2addr_b64 v[87:90], v53 offset0:64 offset1:96
	ds_load_2addr_b64 v[91:94], v53 offset0:128 offset1:160
	;; [unrolled: 1-line block ×3, first 2 shown]
	ds_load_2addr_b64 v[99:102], v52 offset1:32
	ds_load_2addr_b64 v[103:106], v52 offset0:64 offset1:96
	ds_load_b128 v[107:110], v43 offset:192
	ds_load_b128 v[111:114], v43 offset:208
	ds_load_2addr_b64 v[115:118], v52 offset0:128 offset1:160
	ds_load_2addr_b64 v[119:122], v52 offset0:192 offset1:224
	ds_load_2addr_b64 v[123:126], v50 offset1:32
	ds_load_2addr_b64 v[127:130], v50 offset0:64 offset1:96
	ds_load_2addr_b64 v[131:134], v50 offset0:128 offset1:160
	;; [unrolled: 1-line block ×3, first 2 shown]
	ds_load_2addr_b64 v[139:142], v49 offset1:32
	ds_load_2addr_b64 v[143:146], v49 offset0:64 offset1:96
	ds_load_b128 v[147:150], v43 offset:224
	ds_load_b128 v[151:154], v43 offset:240
	ds_load_2addr_b64 v[155:158], v49 offset0:128 offset1:160
	ds_load_2addr_b64 v[159:162], v49 offset0:192 offset1:224
	s_waitcnt lgkmcnt(0)
	s_barrier
	buffer_gl0_inv
	s_clause 0x3
	global_load_b128 v[163:166], v[8:9], off
	global_load_b128 v[167:170], v[8:9], off offset:512
	global_load_b128 v[171:174], v[175:176], off
	global_load_b128 v[175:178], v[175:176], off offset:512
	v_pk_fma_f16 v8, v67, v10, v179 op_sel:[0,1,0]
	v_pk_fma_f16 v9, v67, v11, v180 op_sel_hi:[1,0,1]
	v_pk_fma_f16 v67, v67, v11, v181 op_sel:[0,1,0]
	v_pk_fma_f16 v85, v68, v10, v85 op_sel_hi:[1,0,1]
	;; [unrolled: 2-line block ×24, first 2 shown]
	v_pk_fma_f16 v58, v71, v7, v58 op_sel:[0,1,0]
	v_pk_fma_f16 v59, v72, v7, v59 op_sel:[0,1,0]
	;; [unrolled: 1-line block ×4, first 2 shown]
	v_pk_fma_f16 v181, v71, v7, v187 op_sel_hi:[1,0,1]
	v_pk_fma_f16 v71, v72, v6, v188 op_sel_hi:[1,0,1]
	v_pk_fma_f16 v182, v72, v6, v189 op_sel:[0,1,0]
	v_pk_fma_f16 v183, v72, v7, v190 op_sel_hi:[1,0,1]
	v_pk_fma_f16 v72, v73, v6, v191 op_sel_hi:[1,0,1]
	v_pk_fma_f16 v184, v73, v6, v192 op_sel:[0,1,0]
	;; [unrolled: 3-line block ×3, first 2 shown]
	v_pk_fma_f16 v187, v74, v7, v196 op_sel_hi:[1,0,1]
	v_pk_fma_f16 v61, v74, v7, v61 op_sel:[0,1,0]
	v_pk_fma_f16 v66, v75, v6, v66 op_sel_hi:[1,0,1]
	v_pk_fma_f16 v8, v75, v6, v8 op_sel:[0,1,0]
	v_pk_fma_f16 v62, v75, v7, v62 op_sel:[0,1,0]
	v_pk_fma_f16 v67, v76, v6, v67 op_sel_hi:[1,0,1]
	v_pk_fma_f16 v74, v76, v6, v85 op_sel:[0,1,0]
	;; [unrolled: 3-line block ×3, first 2 shown]
	v_pk_fma_f16 v6, v77, v7, v10 op_sel_hi:[1,0,1]
	v_pk_fma_f16 v10, v78, v107, v64 op_sel:[0,1,0]
	v_pk_fma_f16 v57, v78, v108, v57 op_sel:[0,1,0]
	v_pk_fma_f16 v64, v79, v107, v70 op_sel_hi:[1,0,1]
	v_pk_fma_f16 v58, v79, v108, v58 op_sel:[0,1,0]
	v_pk_fma_f16 v59, v80, v108, v59 op_sel:[0,1,0]
	;; [unrolled: 1-line block ×7, first 2 shown]
	v_pk_fma_f16 v64, v92, v109, v64 op_sel_hi:[1,0,1]
	v_pk_fma_f16 v58, v92, v110, v58 op_sel:[0,1,0]
	v_pk_fma_f16 v59, v93, v110, v59 op_sel:[0,1,0]
	;; [unrolled: 1-line block ×7, first 2 shown]
	v_pk_fma_f16 v64, v100, v111, v64 op_sel_hi:[1,0,1]
	v_pk_fma_f16 v58, v100, v112, v58 op_sel:[0,1,0]
	v_pk_fma_f16 v59, v101, v112, v59 op_sel:[0,1,0]
	v_pk_fma_f16 v60, v102, v112, v60 op_sel:[0,1,0]
	v_pk_fma_f16 v9, v75, v7, v9 op_sel_hi:[1,0,1]
	v_pk_fma_f16 v5, v77, v7, v5 op_sel:[0,1,0]
	v_pk_fma_f16 v75, v76, v7, v179 op_sel_hi:[1,0,1]
	v_pk_fma_f16 v7, v78, v107, v11 op_sel_hi:[1,0,1]
	v_pk_fma_f16 v11, v78, v108, v69 op_sel_hi:[1,0,1]
	v_pk_fma_f16 v69, v79, v107, v180 op_sel:[0,1,0]
	v_pk_fma_f16 v70, v79, v108, v181 op_sel_hi:[1,0,1]
	v_pk_fma_f16 v71, v80, v107, v71 op_sel_hi:[1,0,1]
	v_pk_fma_f16 v76, v80, v107, v182 op_sel:[0,1,0]
	v_pk_fma_f16 v77, v80, v108, v183 op_sel_hi:[1,0,1]
	v_pk_fma_f16 v72, v81, v107, v72 op_sel_hi:[1,0,1]
	v_pk_fma_f16 v78, v81, v107, v184 op_sel:[0,1,0]
	v_pk_fma_f16 v79, v81, v108, v185 op_sel_hi:[1,0,1]
	v_pk_fma_f16 v61, v103, v112, v61 op_sel:[0,1,0]
	v_pk_fma_f16 v62, v104, v112, v62 op_sel:[0,1,0]
	;; [unrolled: 1-line block ×4, first 2 shown]
	v_pk_fma_f16 v64, v116, v113, v64 op_sel_hi:[1,0,1]
	v_pk_fma_f16 v58, v116, v114, v58 op_sel:[0,1,0]
	v_pk_fma_f16 v59, v117, v114, v59 op_sel:[0,1,0]
	;; [unrolled: 1-line block ×3, first 2 shown]
	v_pk_fma_f16 v73, v87, v107, v73 op_sel_hi:[1,0,1]
	v_pk_fma_f16 v66, v88, v107, v66 op_sel_hi:[1,0,1]
	v_pk_fma_f16 v8, v88, v107, v8 op_sel:[0,1,0]
	v_pk_fma_f16 v9, v88, v108, v9 op_sel_hi:[1,0,1]
	v_pk_fma_f16 v67, v89, v107, v67 op_sel_hi:[1,0,1]
	;; [unrolled: 1-line block ×3, first 2 shown]
	v_pk_fma_f16 v4, v90, v107, v4 op_sel:[0,1,0]
	v_pk_fma_f16 v6, v90, v108, v6 op_sel_hi:[1,0,1]
	v_pk_fma_f16 v5, v90, v108, v5 op_sel:[0,1,0]
	v_pk_fma_f16 v74, v89, v107, v74 op_sel:[0,1,0]
	v_pk_fma_f16 v75, v89, v108, v75 op_sel_hi:[1,0,1]
	v_pk_fma_f16 v7, v91, v109, v7 op_sel_hi:[1,0,1]
	v_pk_fma_f16 v10, v91, v109, v10 op_sel:[0,1,0]
	v_pk_fma_f16 v11, v91, v110, v11 op_sel_hi:[1,0,1]
	v_pk_fma_f16 v69, v92, v109, v69 op_sel:[0,1,0]
	v_pk_fma_f16 v70, v92, v110, v70 op_sel_hi:[1,0,1]
	v_pk_fma_f16 v71, v93, v109, v71 op_sel_hi:[1,0,1]
	v_pk_fma_f16 v76, v93, v109, v76 op_sel:[0,1,0]
	v_pk_fma_f16 v77, v93, v110, v77 op_sel_hi:[1,0,1]
	;; [unrolled: 3-line block ×3, first 2 shown]
	v_pk_fma_f16 v61, v119, v114, v61 op_sel:[0,1,0]
	v_pk_fma_f16 v62, v120, v114, v62 op_sel:[0,1,0]
	v_pk_fma_f16 v63, v121, v114, v63 op_sel:[0,1,0]
	v_pk_fma_f16 v57, v123, v148, v57 op_sel:[0,1,0]
	v_pk_fma_f16 v64, v124, v147, v64 op_sel_hi:[1,0,1]
	v_pk_fma_f16 v58, v124, v148, v58 op_sel:[0,1,0]
	v_pk_fma_f16 v59, v125, v148, v59 op_sel:[0,1,0]
	;; [unrolled: 1-line block ×3, first 2 shown]
	v_pk_fma_f16 v73, v95, v109, v73 op_sel_hi:[1,0,1]
	v_pk_fma_f16 v66, v96, v109, v66 op_sel_hi:[1,0,1]
	v_pk_fma_f16 v8, v96, v109, v8 op_sel:[0,1,0]
	v_pk_fma_f16 v9, v96, v110, v9 op_sel_hi:[1,0,1]
	v_pk_fma_f16 v67, v97, v109, v67 op_sel_hi:[1,0,1]
	;; [unrolled: 1-line block ×3, first 2 shown]
	v_pk_fma_f16 v4, v98, v109, v4 op_sel:[0,1,0]
	v_pk_fma_f16 v6, v98, v110, v6 op_sel_hi:[1,0,1]
	v_pk_fma_f16 v5, v98, v110, v5 op_sel:[0,1,0]
	v_pk_fma_f16 v74, v97, v109, v74 op_sel:[0,1,0]
	v_pk_fma_f16 v75, v97, v110, v75 op_sel_hi:[1,0,1]
	v_pk_fma_f16 v7, v99, v111, v7 op_sel_hi:[1,0,1]
	v_pk_fma_f16 v10, v99, v111, v10 op_sel:[0,1,0]
	v_pk_fma_f16 v11, v99, v112, v11 op_sel_hi:[1,0,1]
	v_pk_fma_f16 v69, v100, v111, v69 op_sel:[0,1,0]
	v_pk_fma_f16 v70, v100, v112, v70 op_sel_hi:[1,0,1]
	v_pk_fma_f16 v71, v101, v111, v71 op_sel_hi:[1,0,1]
	v_pk_fma_f16 v76, v101, v111, v76 op_sel:[0,1,0]
	v_pk_fma_f16 v77, v101, v112, v77 op_sel_hi:[1,0,1]
	v_pk_fma_f16 v72, v102, v111, v72 op_sel_hi:[1,0,1]
	v_pk_fma_f16 v78, v102, v111, v78 op_sel:[0,1,0]
	v_pk_fma_f16 v79, v102, v112, v79 op_sel_hi:[1,0,1]
	v_pk_fma_f16 v61, v127, v148, v61 op_sel:[0,1,0]
	v_pk_fma_f16 v62, v128, v148, v62 op_sel:[0,1,0]
	;; [unrolled: 1-line block ×4, first 2 shown]
	v_pk_fma_f16 v64, v132, v149, v64 op_sel_hi:[1,0,1]
	v_pk_fma_f16 v58, v132, v150, v58 op_sel:[0,1,0]
	v_pk_fma_f16 v59, v133, v150, v59 op_sel:[0,1,0]
	;; [unrolled: 1-line block ×3, first 2 shown]
	v_pk_fma_f16 v73, v103, v111, v73 op_sel_hi:[1,0,1]
	v_pk_fma_f16 v66, v104, v111, v66 op_sel_hi:[1,0,1]
	v_pk_fma_f16 v8, v104, v111, v8 op_sel:[0,1,0]
	v_pk_fma_f16 v9, v104, v112, v9 op_sel_hi:[1,0,1]
	v_pk_fma_f16 v67, v105, v111, v67 op_sel_hi:[1,0,1]
	;; [unrolled: 1-line block ×3, first 2 shown]
	v_pk_fma_f16 v4, v106, v111, v4 op_sel:[0,1,0]
	v_pk_fma_f16 v6, v106, v112, v6 op_sel_hi:[1,0,1]
	v_pk_fma_f16 v5, v106, v112, v5 op_sel:[0,1,0]
	v_pk_fma_f16 v80, v87, v107, v186 op_sel:[0,1,0]
	v_pk_fma_f16 v81, v87, v108, v187 op_sel_hi:[1,0,1]
	v_pk_fma_f16 v74, v105, v111, v74 op_sel:[0,1,0]
	v_pk_fma_f16 v75, v105, v112, v75 op_sel_hi:[1,0,1]
	v_pk_fma_f16 v7, v115, v113, v7 op_sel_hi:[1,0,1]
	v_pk_fma_f16 v10, v115, v113, v10 op_sel:[0,1,0]
	v_pk_fma_f16 v11, v115, v114, v11 op_sel_hi:[1,0,1]
	v_pk_fma_f16 v69, v116, v113, v69 op_sel:[0,1,0]
	v_pk_fma_f16 v70, v116, v114, v70 op_sel_hi:[1,0,1]
	v_pk_fma_f16 v71, v117, v113, v71 op_sel_hi:[1,0,1]
	v_pk_fma_f16 v76, v117, v113, v76 op_sel:[0,1,0]
	v_pk_fma_f16 v77, v117, v114, v77 op_sel_hi:[1,0,1]
	;; [unrolled: 3-line block ×3, first 2 shown]
	v_pk_fma_f16 v61, v135, v150, v61 op_sel:[0,1,0]
	v_pk_fma_f16 v62, v136, v150, v62 op_sel:[0,1,0]
	;; [unrolled: 1-line block ×4, first 2 shown]
	v_pk_fma_f16 v64, v140, v151, v64 op_sel_hi:[1,0,1]
	v_pk_fma_f16 v58, v140, v152, v58 op_sel:[0,1,0]
	v_pk_fma_f16 v59, v141, v152, v59 op_sel:[0,1,0]
	;; [unrolled: 1-line block ×3, first 2 shown]
	v_pk_fma_f16 v73, v119, v113, v73 op_sel_hi:[1,0,1]
	v_pk_fma_f16 v66, v120, v113, v66 op_sel_hi:[1,0,1]
	v_pk_fma_f16 v8, v120, v113, v8 op_sel:[0,1,0]
	v_pk_fma_f16 v9, v120, v114, v9 op_sel_hi:[1,0,1]
	v_pk_fma_f16 v67, v121, v113, v67 op_sel_hi:[1,0,1]
	;; [unrolled: 1-line block ×3, first 2 shown]
	v_pk_fma_f16 v4, v122, v113, v4 op_sel:[0,1,0]
	v_pk_fma_f16 v6, v122, v114, v6 op_sel_hi:[1,0,1]
	v_pk_fma_f16 v5, v122, v114, v5 op_sel:[0,1,0]
	v_pk_fma_f16 v80, v95, v109, v80 op_sel:[0,1,0]
	v_pk_fma_f16 v81, v95, v110, v81 op_sel_hi:[1,0,1]
	v_pk_fma_f16 v74, v121, v113, v74 op_sel:[0,1,0]
	v_pk_fma_f16 v75, v121, v114, v75 op_sel_hi:[1,0,1]
	v_pk_fma_f16 v7, v123, v147, v7 op_sel_hi:[1,0,1]
	v_pk_fma_f16 v10, v123, v147, v10 op_sel:[0,1,0]
	v_pk_fma_f16 v11, v123, v148, v11 op_sel_hi:[1,0,1]
	v_pk_fma_f16 v69, v124, v147, v69 op_sel:[0,1,0]
	v_pk_fma_f16 v70, v124, v148, v70 op_sel_hi:[1,0,1]
	v_pk_fma_f16 v71, v125, v147, v71 op_sel_hi:[1,0,1]
	v_pk_fma_f16 v76, v125, v147, v76 op_sel:[0,1,0]
	v_pk_fma_f16 v77, v125, v148, v77 op_sel_hi:[1,0,1]
	;; [unrolled: 3-line block ×3, first 2 shown]
	v_pk_fma_f16 v85, v143, v152, v61 op_sel:[0,1,0]
	v_pk_fma_f16 v87, v144, v152, v62 op_sel:[0,1,0]
	;; [unrolled: 1-line block ×4, first 2 shown]
	v_pk_fma_f16 v93, v156, v153, v64 op_sel_hi:[1,0,1]
	v_pk_fma_f16 v96, v156, v154, v58 op_sel:[0,1,0]
	v_pk_fma_f16 v98, v157, v154, v59 op_sel:[0,1,0]
	;; [unrolled: 1-line block ×3, first 2 shown]
	s_waitcnt vmcnt(3)
	ds_store_b128 v44, v[163:166]
	s_waitcnt vmcnt(2)
	ds_store_b128 v45, v[167:170]
	;; [unrolled: 2-line block ×4, first 2 shown]
	s_waitcnt lgkmcnt(0)
	s_barrier
	buffer_gl0_inv
	ds_load_2addr_b64 v[57:60], v65 offset1:32
	ds_load_b128 v[61:64], v43 offset:256
	v_pk_fma_f16 v73, v127, v147, v73 op_sel_hi:[1,0,1]
	v_pk_fma_f16 v66, v128, v147, v66 op_sel_hi:[1,0,1]
	v_pk_fma_f16 v8, v128, v147, v8 op_sel:[0,1,0]
	v_pk_fma_f16 v9, v128, v148, v9 op_sel_hi:[1,0,1]
	v_pk_fma_f16 v67, v129, v147, v67 op_sel_hi:[1,0,1]
	v_pk_fma_f16 v68, v130, v147, v68 op_sel_hi:[1,0,1]
	v_pk_fma_f16 v4, v130, v147, v4 op_sel:[0,1,0]
	v_pk_fma_f16 v6, v130, v148, v6 op_sel_hi:[1,0,1]
	v_pk_fma_f16 v5, v130, v148, v5 op_sel:[0,1,0]
	v_pk_fma_f16 v80, v103, v111, v80 op_sel:[0,1,0]
	v_pk_fma_f16 v81, v103, v112, v81 op_sel_hi:[1,0,1]
	v_pk_fma_f16 v74, v129, v147, v74 op_sel:[0,1,0]
	v_pk_fma_f16 v75, v129, v148, v75 op_sel_hi:[1,0,1]
	v_pk_fma_f16 v7, v131, v149, v7 op_sel_hi:[1,0,1]
	v_pk_fma_f16 v10, v131, v149, v10 op_sel:[0,1,0]
	v_pk_fma_f16 v11, v131, v150, v11 op_sel_hi:[1,0,1]
	v_pk_fma_f16 v69, v132, v149, v69 op_sel:[0,1,0]
	v_pk_fma_f16 v70, v132, v150, v70 op_sel_hi:[1,0,1]
	v_pk_fma_f16 v71, v133, v149, v71 op_sel_hi:[1,0,1]
	v_pk_fma_f16 v76, v133, v149, v76 op_sel:[0,1,0]
	v_pk_fma_f16 v77, v133, v150, v77 op_sel_hi:[1,0,1]
	v_pk_fma_f16 v72, v134, v149, v72 op_sel_hi:[1,0,1]
	v_pk_fma_f16 v78, v134, v149, v78 op_sel:[0,1,0]
	v_pk_fma_f16 v79, v134, v150, v79 op_sel_hi:[1,0,1]
	v_pk_fma_f16 v73, v135, v149, v73 op_sel_hi:[1,0,1]
	v_pk_fma_f16 v66, v136, v149, v66 op_sel_hi:[1,0,1]
	v_pk_fma_f16 v8, v136, v149, v8 op_sel:[0,1,0]
	v_pk_fma_f16 v9, v136, v150, v9 op_sel_hi:[1,0,1]
	v_pk_fma_f16 v67, v137, v149, v67 op_sel_hi:[1,0,1]
	v_pk_fma_f16 v68, v138, v149, v68 op_sel_hi:[1,0,1]
	v_pk_fma_f16 v4, v138, v149, v4 op_sel:[0,1,0]
	v_pk_fma_f16 v6, v138, v150, v6 op_sel_hi:[1,0,1]
	v_pk_fma_f16 v5, v138, v150, v5 op_sel:[0,1,0]
	v_pk_fma_f16 v80, v119, v113, v80 op_sel:[0,1,0]
	v_pk_fma_f16 v81, v119, v114, v81 op_sel_hi:[1,0,1]
	v_pk_fma_f16 v74, v137, v149, v74 op_sel:[0,1,0]
	v_pk_fma_f16 v75, v137, v150, v75 op_sel_hi:[1,0,1]
	v_pk_fma_f16 v7, v139, v151, v7 op_sel_hi:[1,0,1]
	v_pk_fma_f16 v10, v139, v151, v10 op_sel:[0,1,0]
	v_pk_fma_f16 v11, v139, v152, v11 op_sel_hi:[1,0,1]
	v_pk_fma_f16 v69, v140, v151, v69 op_sel:[0,1,0]
	v_pk_fma_f16 v70, v140, v152, v70 op_sel_hi:[1,0,1]
	v_pk_fma_f16 v71, v141, v151, v71 op_sel_hi:[1,0,1]
	v_pk_fma_f16 v76, v141, v151, v76 op_sel:[0,1,0]
	v_pk_fma_f16 v77, v141, v152, v77 op_sel_hi:[1,0,1]
	v_pk_fma_f16 v72, v142, v151, v72 op_sel_hi:[1,0,1]
	v_pk_fma_f16 v78, v142, v151, v78 op_sel:[0,1,0]
	v_pk_fma_f16 v79, v142, v152, v79 op_sel_hi:[1,0,1]
	;; [unrolled: 24-line block ×3, first 2 shown]
	v_pk_fma_f16 v101, v159, v153, v73 op_sel_hi:[1,0,1]
	v_pk_fma_f16 v102, v160, v153, v66 op_sel_hi:[1,0,1]
	v_pk_fma_f16 v103, v160, v153, v8 op_sel:[0,1,0]
	v_pk_fma_f16 v104, v160, v154, v9 op_sel_hi:[1,0,1]
	v_pk_fma_f16 v105, v161, v153, v67 op_sel_hi:[1,0,1]
	;; [unrolled: 1-line block ×3, first 2 shown]
	v_pk_fma_f16 v109, v162, v153, v4 op_sel:[0,1,0]
	v_pk_fma_f16 v110, v162, v154, v6 op_sel_hi:[1,0,1]
	v_pk_fma_f16 v111, v162, v154, v5 op_sel:[0,1,0]
	ds_load_2addr_b64 v[66:69], v65 offset0:64 offset1:96
	ds_load_b128 v[70:73], v43 offset:272
	ds_load_b128 v[8:11], v43 offset:288
	;; [unrolled: 1-line block ×3, first 2 shown]
	v_pk_fma_f16 v80, v135, v149, v80 op_sel:[0,1,0]
	v_pk_fma_f16 v81, v135, v150, v81 op_sel_hi:[1,0,1]
	v_pk_fma_f16 v106, v161, v153, v74 op_sel:[0,1,0]
	v_pk_fma_f16 v107, v161, v154, v75 op_sel_hi:[1,0,1]
	s_waitcnt lgkmcnt(4)
	v_pk_fma_f16 v89, v57, v61, v89 op_sel_hi:[1,0,1]
	v_pk_fma_f16 v90, v57, v61, v90 op_sel:[0,1,0]
	v_pk_fma_f16 v91, v57, v62, v91 op_sel_hi:[1,0,1]
	v_pk_fma_f16 v92, v57, v62, v92 op_sel:[0,1,0]
	;; [unrolled: 2-line block ×7, first 2 shown]
	ds_load_2addr_b64 v[74:77], v65 offset0:128 offset1:160
	v_pk_fma_f16 v79, v60, v62, v79 op_sel_hi:[1,0,1]
	v_pk_fma_f16 v100, v60, v62, v100 op_sel:[0,1,0]
	ds_load_2addr_b64 v[57:60], v65 offset0:192 offset1:224
	v_pk_fma_f16 v80, v143, v151, v80 op_sel:[0,1,0]
	v_pk_fma_f16 v81, v143, v152, v81 op_sel_hi:[1,0,1]
	v_pk_fma_f16 v85, v159, v154, v85 op_sel:[0,1,0]
	v_pk_fma_f16 v87, v160, v154, v87 op_sel:[0,1,0]
	;; [unrolled: 1-line block ×4, first 2 shown]
	v_pk_fma_f16 v81, v159, v154, v81 op_sel_hi:[1,0,1]
	s_waitcnt lgkmcnt(5)
	v_pk_fma_f16 v101, v66, v61, v101 op_sel_hi:[1,0,1]
	v_pk_fma_f16 v85, v66, v62, v85 op_sel:[0,1,0]
	v_pk_fma_f16 v102, v67, v61, v102 op_sel_hi:[1,0,1]
	v_pk_fma_f16 v80, v66, v61, v80 op_sel:[0,1,0]
	;; [unrolled: 2-line block ×8, first 2 shown]
	ds_load_2addr_b64 v[66:69], v54 offset1:32
	s_waitcnt lgkmcnt(2)
	v_pk_fma_f16 v89, v74, v63, v89 op_sel_hi:[1,0,1]
	v_pk_fma_f16 v90, v74, v63, v90 op_sel:[0,1,0]
	v_pk_fma_f16 v91, v74, v64, v91 op_sel_hi:[1,0,1]
	v_pk_fma_f16 v92, v74, v64, v92 op_sel:[0,1,0]
	;; [unrolled: 2-line block ×8, first 2 shown]
	s_waitcnt lgkmcnt(1)
	v_pk_fma_f16 v101, v57, v63, v101 op_sel_hi:[1,0,1]
	v_pk_fma_f16 v80, v57, v63, v80 op_sel:[0,1,0]
	v_pk_fma_f16 v81, v57, v64, v81 op_sel_hi:[1,0,1]
	v_pk_fma_f16 v85, v57, v64, v85 op_sel:[0,1,0]
	v_pk_fma_f16 v102, v58, v63, v102 op_sel_hi:[1,0,1]
	v_pk_fma_f16 v103, v58, v63, v103 op_sel:[0,1,0]
	v_pk_fma_f16 v104, v58, v64, v104 op_sel_hi:[1,0,1]
	v_pk_fma_f16 v87, v58, v64, v87 op_sel:[0,1,0]
	v_pk_fma_f16 v105, v59, v63, v105 op_sel_hi:[1,0,1]
	v_pk_fma_f16 v106, v59, v63, v106 op_sel:[0,1,0]
	v_pk_fma_f16 v107, v59, v64, v107 op_sel_hi:[1,0,1]
	v_pk_fma_f16 v88, v59, v64, v88 op_sel:[0,1,0]
	v_pk_fma_f16 v108, v60, v63, v108 op_sel_hi:[1,0,1]
	v_pk_fma_f16 v61, v60, v63, v61 op_sel:[0,1,0]
	ds_load_2addr_b64 v[74:77], v54 offset0:64 offset1:96
	v_pk_fma_f16 v109, v60, v64, v109 op_sel_hi:[1,0,1]
	v_pk_fma_f16 v112, v60, v64, v62 op_sel:[0,1,0]
	ds_load_2addr_b64 v[57:60], v54 offset0:128 offset1:160
	s_waitcnt lgkmcnt(2)
	v_pk_fma_f16 v89, v66, v70, v89 op_sel_hi:[1,0,1]
	v_pk_fma_f16 v90, v66, v70, v90 op_sel:[0,1,0]
	v_pk_fma_f16 v91, v66, v71, v91 op_sel_hi:[1,0,1]
	v_pk_fma_f16 v66, v66, v71, v92 op_sel:[0,1,0]
	;; [unrolled: 2-line block ×8, first 2 shown]
	s_waitcnt lgkmcnt(1)
	v_pk_fma_f16 v100, v74, v70, v101 op_sel_hi:[1,0,1]
	v_pk_fma_f16 v80, v74, v70, v80 op_sel:[0,1,0]
	v_pk_fma_f16 v81, v74, v71, v81 op_sel_hi:[1,0,1]
	v_pk_fma_f16 v74, v74, v71, v85 op_sel:[0,1,0]
	;; [unrolled: 2-line block ×7, first 2 shown]
	ds_load_2addr_b64 v[61:64], v54 offset0:192 offset1:224
	v_pk_fma_f16 v105, v77, v71, v109 op_sel_hi:[1,0,1]
	v_pk_fma_f16 v71, v77, v71, v112 op_sel:[0,1,0]
	s_waitcnt lgkmcnt(1)
	v_pk_fma_f16 v77, v57, v72, v89 op_sel_hi:[1,0,1]
	v_pk_fma_f16 v89, v57, v72, v90 op_sel:[0,1,0]
	v_pk_fma_f16 v90, v57, v73, v91 op_sel_hi:[1,0,1]
	v_pk_fma_f16 v91, v57, v73, v66 op_sel:[0,1,0]
	v_pk_fma_f16 v106, v58, v73, v67 op_sel:[0,1,0]
	;; [unrolled: 1-line block ×3, first 2 shown]
	ds_load_2addr_b64 v[66:69], v55 offset1:32
	v_pk_fma_f16 v92, v58, v72, v92 op_sel_hi:[1,0,1]
	v_pk_fma_f16 v93, v58, v72, v93 op_sel:[0,1,0]
	v_pk_fma_f16 v94, v58, v73, v94 op_sel_hi:[1,0,1]
	v_pk_fma_f16 v95, v59, v72, v95 op_sel_hi:[1,0,1]
	v_pk_fma_f16 v96, v59, v72, v96 op_sel:[0,1,0]
	v_pk_fma_f16 v97, v59, v73, v97 op_sel_hi:[1,0,1]
	;; [unrolled: 3-line block ×3, first 2 shown]
	v_pk_fma_f16 v99, v60, v73, v99 op_sel:[0,1,0]
	ds_load_2addr_b64 v[57:60], v55 offset0:64 offset1:96
	s_or_b32 s8, s3, 48
	s_waitcnt lgkmcnt(2)
	v_pk_fma_f16 v100, v61, v72, v100 op_sel_hi:[1,0,1]
	v_pk_fma_f16 v80, v61, v72, v80 op_sel:[0,1,0]
	v_pk_fma_f16 v81, v61, v73, v81 op_sel_hi:[1,0,1]
	v_pk_fma_f16 v74, v61, v73, v74 op_sel:[0,1,0]
	;; [unrolled: 2-line block ×8, first 2 shown]
	s_waitcnt lgkmcnt(1)
	v_pk_fma_f16 v73, v66, v8, v77 op_sel_hi:[1,0,1]
	v_pk_fma_f16 v77, v66, v8, v89 op_sel:[0,1,0]
	v_pk_fma_f16 v89, v66, v9, v90 op_sel_hi:[1,0,1]
	v_pk_fma_f16 v90, v66, v9, v91 op_sel:[0,1,0]
	;; [unrolled: 2-line block ×7, first 2 shown]
	ds_load_2addr_b64 v[61:64], v55 offset0:128 offset1:160
	v_pk_fma_f16 v79, v69, v9, v79 op_sel_hi:[1,0,1]
	v_pk_fma_f16 v99, v69, v9, v99 op_sel:[0,1,0]
	ds_load_2addr_b64 v[66:69], v55 offset0:192 offset1:224
	s_mul_hi_i32 s21, s8, s10
	s_mul_i32 s20, s8, s10
	s_waitcnt lgkmcnt(2)
	v_pk_fma_f16 v100, v57, v8, v100 op_sel_hi:[1,0,1]
	s_lshl_b64 s[20:21], s[20:21], 2
	v_pk_fma_f16 v80, v57, v8, v80 op_sel:[0,1,0]
	s_add_u32 s8, s11, s20
	v_pk_fma_f16 v81, v57, v9, v81 op_sel_hi:[1,0,1]
	v_pk_fma_f16 v57, v57, v9, v74 op_sel:[0,1,0]
	v_pk_fma_f16 v74, v58, v8, v85 op_sel_hi:[1,0,1]
	v_pk_fma_f16 v85, v58, v8, v101 op_sel:[0,1,0]
	;; [unrolled: 2-line block ×4, first 2 shown]
	s_addc_u32 s20, s17, s21
	v_add_co_u32 v8, vcc_lo, s8, v27
	v_pk_fma_f16 v179, v58, v9, v102 op_sel_hi:[1,0,1]
	v_pk_fma_f16 v180, v58, v9, v75 op_sel:[0,1,0]
	v_pk_fma_f16 v183, v59, v9, v104 op_sel_hi:[1,0,1]
	v_pk_fma_f16 v184, v59, v9, v76 op_sel:[0,1,0]
	;; [unrolled: 2-line block ×3, first 2 shown]
	v_add_co_ci_u32_e32 v9, vcc_lo, s20, v28, vcc_lo
	v_add_co_u32 v163, vcc_lo, s8, v29
	v_add_co_ci_u32_e32 v164, vcc_lo, s20, v30, vcc_lo
	v_add_co_u32 v8, vcc_lo, v8, v40
	s_delay_alu instid0(VALU_DEP_4) | instskip(NEXT) | instid1(VALU_DEP_4)
	v_add_co_ci_u32_e32 v9, vcc_lo, 0, v9, vcc_lo
	v_add_co_u32 v175, vcc_lo, v163, v40
	s_delay_alu instid0(VALU_DEP_4)
	v_add_co_ci_u32_e32 v176, vcc_lo, 0, v164, vcc_lo
	s_waitcnt lgkmcnt(1)
	v_pk_fma_f16 v189, v61, v10, v73 op_sel_hi:[1,0,1]
	v_pk_fma_f16 v190, v61, v10, v77 op_sel:[0,1,0]
	v_pk_fma_f16 v191, v61, v11, v89 op_sel_hi:[1,0,1]
	v_pk_fma_f16 v192, v61, v11, v90 op_sel:[0,1,0]
	;; [unrolled: 2-line block ×8, first 2 shown]
	s_waitcnt lgkmcnt(0)
	v_pk_fma_f16 v205, v66, v10, v100 op_sel_hi:[1,0,1]
	v_pk_fma_f16 v206, v66, v10, v80 op_sel:[0,1,0]
	v_pk_fma_f16 v207, v66, v11, v81 op_sel_hi:[1,0,1]
	v_pk_fma_f16 v66, v66, v11, v57 op_sel:[0,1,0]
	v_pk_fma_f16 v208, v67, v10, v74 op_sel_hi:[1,0,1]
	ds_load_2addr_b64 v[57:60], v56 offset1:32
	ds_load_2addr_b64 v[61:64], v56 offset0:64 offset1:96
	ds_load_2addr_b64 v[70:73], v56 offset0:128 offset1:160
	;; [unrolled: 1-line block ×3, first 2 shown]
	ds_load_2addr_b64 v[78:81], v53 offset1:32
	ds_load_2addr_b64 v[87:90], v53 offset0:64 offset1:96
	ds_load_2addr_b64 v[91:94], v53 offset0:128 offset1:160
	ds_load_2addr_b64 v[95:98], v53 offset0:192 offset1:224
	ds_load_2addr_b64 v[99:102], v52 offset1:32
	ds_load_2addr_b64 v[103:106], v52 offset0:64 offset1:96
	ds_load_b128 v[107:110], v43 offset:320
	ds_load_b128 v[111:114], v43 offset:336
	ds_load_2addr_b64 v[115:118], v52 offset0:128 offset1:160
	ds_load_2addr_b64 v[119:122], v52 offset0:192 offset1:224
	ds_load_2addr_b64 v[123:126], v50 offset1:32
	ds_load_2addr_b64 v[127:130], v50 offset0:64 offset1:96
	ds_load_2addr_b64 v[131:134], v50 offset0:128 offset1:160
	;; [unrolled: 1-line block ×3, first 2 shown]
	ds_load_2addr_b64 v[139:142], v49 offset1:32
	ds_load_2addr_b64 v[143:146], v49 offset0:64 offset1:96
	ds_load_b128 v[147:150], v43 offset:352
	ds_load_b128 v[151:154], v43 offset:368
	ds_load_2addr_b64 v[155:158], v49 offset0:128 offset1:160
	ds_load_2addr_b64 v[159:162], v49 offset0:192 offset1:224
	s_waitcnt lgkmcnt(0)
	s_barrier
	buffer_gl0_inv
	s_clause 0x3
	global_load_b128 v[163:166], v[8:9], off
	global_load_b128 v[167:170], v[8:9], off offset:512
	global_load_b128 v[171:174], v[175:176], off
	global_load_b128 v[175:178], v[175:176], off offset:512
	v_pk_fma_f16 v8, v67, v10, v85 op_sel:[0,1,0]
	v_pk_fma_f16 v9, v67, v11, v179 op_sel_hi:[1,0,1]
	v_pk_fma_f16 v67, v67, v11, v180 op_sel:[0,1,0]
	v_pk_fma_f16 v85, v68, v10, v181 op_sel_hi:[1,0,1]
	;; [unrolled: 2-line block ×24, first 2 shown]
	v_pk_fma_f16 v58, v71, v7, v58 op_sel:[0,1,0]
	v_pk_fma_f16 v59, v72, v7, v59 op_sel:[0,1,0]
	;; [unrolled: 1-line block ×4, first 2 shown]
	v_pk_fma_f16 v181, v71, v7, v187 op_sel_hi:[1,0,1]
	v_pk_fma_f16 v71, v72, v6, v188 op_sel_hi:[1,0,1]
	v_pk_fma_f16 v182, v72, v6, v189 op_sel:[0,1,0]
	v_pk_fma_f16 v183, v72, v7, v190 op_sel_hi:[1,0,1]
	v_pk_fma_f16 v72, v73, v6, v191 op_sel_hi:[1,0,1]
	v_pk_fma_f16 v184, v73, v6, v192 op_sel:[0,1,0]
	;; [unrolled: 3-line block ×3, first 2 shown]
	v_pk_fma_f16 v187, v74, v7, v196 op_sel_hi:[1,0,1]
	v_pk_fma_f16 v61, v74, v7, v61 op_sel:[0,1,0]
	v_pk_fma_f16 v66, v75, v6, v66 op_sel_hi:[1,0,1]
	v_pk_fma_f16 v8, v75, v6, v8 op_sel:[0,1,0]
	v_pk_fma_f16 v62, v75, v7, v62 op_sel:[0,1,0]
	v_pk_fma_f16 v67, v76, v6, v67 op_sel_hi:[1,0,1]
	v_pk_fma_f16 v74, v76, v6, v85 op_sel:[0,1,0]
	v_pk_fma_f16 v63, v76, v7, v63 op_sel:[0,1,0]
	v_pk_fma_f16 v68, v77, v6, v68 op_sel_hi:[1,0,1]
	v_pk_fma_f16 v4, v77, v6, v4 op_sel:[0,1,0]
	v_pk_fma_f16 v6, v77, v7, v10 op_sel_hi:[1,0,1]
	v_pk_fma_f16 v10, v78, v107, v64 op_sel:[0,1,0]
	v_pk_fma_f16 v57, v78, v108, v57 op_sel:[0,1,0]
	v_pk_fma_f16 v64, v79, v107, v70 op_sel_hi:[1,0,1]
	v_pk_fma_f16 v58, v79, v108, v58 op_sel:[0,1,0]
	v_pk_fma_f16 v59, v80, v108, v59 op_sel:[0,1,0]
	v_pk_fma_f16 v60, v81, v108, v60 op_sel:[0,1,0]
	v_pk_fma_f16 v61, v87, v108, v61 op_sel:[0,1,0]
	v_pk_fma_f16 v62, v88, v108, v62 op_sel:[0,1,0]
	v_pk_fma_f16 v63, v89, v108, v63 op_sel:[0,1,0]
	v_pk_fma_f16 v57, v91, v110, v57 op_sel:[0,1,0]
	v_pk_fma_f16 v64, v92, v109, v64 op_sel_hi:[1,0,1]
	v_pk_fma_f16 v58, v92, v110, v58 op_sel:[0,1,0]
	v_pk_fma_f16 v59, v93, v110, v59 op_sel:[0,1,0]
	;; [unrolled: 1-line block ×7, first 2 shown]
	v_pk_fma_f16 v64, v100, v111, v64 op_sel_hi:[1,0,1]
	v_pk_fma_f16 v58, v100, v112, v58 op_sel:[0,1,0]
	v_pk_fma_f16 v59, v101, v112, v59 op_sel:[0,1,0]
	;; [unrolled: 1-line block ×3, first 2 shown]
	v_pk_fma_f16 v9, v75, v7, v9 op_sel_hi:[1,0,1]
	v_pk_fma_f16 v5, v77, v7, v5 op_sel:[0,1,0]
	v_pk_fma_f16 v75, v76, v7, v179 op_sel_hi:[1,0,1]
	v_pk_fma_f16 v7, v78, v107, v11 op_sel_hi:[1,0,1]
	;; [unrolled: 1-line block ×3, first 2 shown]
	v_pk_fma_f16 v69, v79, v107, v180 op_sel:[0,1,0]
	v_pk_fma_f16 v70, v79, v108, v181 op_sel_hi:[1,0,1]
	v_pk_fma_f16 v71, v80, v107, v71 op_sel_hi:[1,0,1]
	v_pk_fma_f16 v76, v80, v107, v182 op_sel:[0,1,0]
	v_pk_fma_f16 v77, v80, v108, v183 op_sel_hi:[1,0,1]
	v_pk_fma_f16 v72, v81, v107, v72 op_sel_hi:[1,0,1]
	v_pk_fma_f16 v78, v81, v107, v184 op_sel:[0,1,0]
	v_pk_fma_f16 v79, v81, v108, v185 op_sel_hi:[1,0,1]
	v_pk_fma_f16 v61, v103, v112, v61 op_sel:[0,1,0]
	v_pk_fma_f16 v62, v104, v112, v62 op_sel:[0,1,0]
	;; [unrolled: 1-line block ×4, first 2 shown]
	v_pk_fma_f16 v64, v116, v113, v64 op_sel_hi:[1,0,1]
	v_pk_fma_f16 v58, v116, v114, v58 op_sel:[0,1,0]
	v_pk_fma_f16 v59, v117, v114, v59 op_sel:[0,1,0]
	;; [unrolled: 1-line block ×3, first 2 shown]
	v_pk_fma_f16 v73, v87, v107, v73 op_sel_hi:[1,0,1]
	v_pk_fma_f16 v66, v88, v107, v66 op_sel_hi:[1,0,1]
	v_pk_fma_f16 v8, v88, v107, v8 op_sel:[0,1,0]
	v_pk_fma_f16 v9, v88, v108, v9 op_sel_hi:[1,0,1]
	v_pk_fma_f16 v67, v89, v107, v67 op_sel_hi:[1,0,1]
	;; [unrolled: 1-line block ×3, first 2 shown]
	v_pk_fma_f16 v4, v90, v107, v4 op_sel:[0,1,0]
	v_pk_fma_f16 v6, v90, v108, v6 op_sel_hi:[1,0,1]
	v_pk_fma_f16 v5, v90, v108, v5 op_sel:[0,1,0]
	v_pk_fma_f16 v74, v89, v107, v74 op_sel:[0,1,0]
	v_pk_fma_f16 v75, v89, v108, v75 op_sel_hi:[1,0,1]
	v_pk_fma_f16 v7, v91, v109, v7 op_sel_hi:[1,0,1]
	v_pk_fma_f16 v10, v91, v109, v10 op_sel:[0,1,0]
	v_pk_fma_f16 v11, v91, v110, v11 op_sel_hi:[1,0,1]
	v_pk_fma_f16 v69, v92, v109, v69 op_sel:[0,1,0]
	v_pk_fma_f16 v70, v92, v110, v70 op_sel_hi:[1,0,1]
	v_pk_fma_f16 v71, v93, v109, v71 op_sel_hi:[1,0,1]
	v_pk_fma_f16 v76, v93, v109, v76 op_sel:[0,1,0]
	v_pk_fma_f16 v77, v93, v110, v77 op_sel_hi:[1,0,1]
	;; [unrolled: 3-line block ×3, first 2 shown]
	v_pk_fma_f16 v61, v119, v114, v61 op_sel:[0,1,0]
	v_pk_fma_f16 v62, v120, v114, v62 op_sel:[0,1,0]
	;; [unrolled: 1-line block ×4, first 2 shown]
	v_pk_fma_f16 v64, v124, v147, v64 op_sel_hi:[1,0,1]
	v_pk_fma_f16 v58, v124, v148, v58 op_sel:[0,1,0]
	v_pk_fma_f16 v59, v125, v148, v59 op_sel:[0,1,0]
	;; [unrolled: 1-line block ×3, first 2 shown]
	v_pk_fma_f16 v73, v95, v109, v73 op_sel_hi:[1,0,1]
	v_pk_fma_f16 v66, v96, v109, v66 op_sel_hi:[1,0,1]
	v_pk_fma_f16 v8, v96, v109, v8 op_sel:[0,1,0]
	v_pk_fma_f16 v9, v96, v110, v9 op_sel_hi:[1,0,1]
	v_pk_fma_f16 v67, v97, v109, v67 op_sel_hi:[1,0,1]
	;; [unrolled: 1-line block ×3, first 2 shown]
	v_pk_fma_f16 v4, v98, v109, v4 op_sel:[0,1,0]
	v_pk_fma_f16 v6, v98, v110, v6 op_sel_hi:[1,0,1]
	v_pk_fma_f16 v5, v98, v110, v5 op_sel:[0,1,0]
	v_pk_fma_f16 v74, v97, v109, v74 op_sel:[0,1,0]
	v_pk_fma_f16 v75, v97, v110, v75 op_sel_hi:[1,0,1]
	v_pk_fma_f16 v7, v99, v111, v7 op_sel_hi:[1,0,1]
	v_pk_fma_f16 v10, v99, v111, v10 op_sel:[0,1,0]
	v_pk_fma_f16 v11, v99, v112, v11 op_sel_hi:[1,0,1]
	v_pk_fma_f16 v69, v100, v111, v69 op_sel:[0,1,0]
	v_pk_fma_f16 v70, v100, v112, v70 op_sel_hi:[1,0,1]
	v_pk_fma_f16 v71, v101, v111, v71 op_sel_hi:[1,0,1]
	v_pk_fma_f16 v76, v101, v111, v76 op_sel:[0,1,0]
	v_pk_fma_f16 v77, v101, v112, v77 op_sel_hi:[1,0,1]
	;; [unrolled: 3-line block ×3, first 2 shown]
	v_pk_fma_f16 v61, v127, v148, v61 op_sel:[0,1,0]
	v_pk_fma_f16 v62, v128, v148, v62 op_sel:[0,1,0]
	;; [unrolled: 1-line block ×4, first 2 shown]
	v_pk_fma_f16 v64, v132, v149, v64 op_sel_hi:[1,0,1]
	v_pk_fma_f16 v58, v132, v150, v58 op_sel:[0,1,0]
	v_pk_fma_f16 v59, v133, v150, v59 op_sel:[0,1,0]
	;; [unrolled: 1-line block ×3, first 2 shown]
	v_pk_fma_f16 v73, v103, v111, v73 op_sel_hi:[1,0,1]
	v_pk_fma_f16 v66, v104, v111, v66 op_sel_hi:[1,0,1]
	v_pk_fma_f16 v8, v104, v111, v8 op_sel:[0,1,0]
	v_pk_fma_f16 v9, v104, v112, v9 op_sel_hi:[1,0,1]
	v_pk_fma_f16 v67, v105, v111, v67 op_sel_hi:[1,0,1]
	;; [unrolled: 1-line block ×3, first 2 shown]
	v_pk_fma_f16 v4, v106, v111, v4 op_sel:[0,1,0]
	v_pk_fma_f16 v6, v106, v112, v6 op_sel_hi:[1,0,1]
	v_pk_fma_f16 v5, v106, v112, v5 op_sel:[0,1,0]
	v_pk_fma_f16 v80, v87, v107, v186 op_sel:[0,1,0]
	v_pk_fma_f16 v81, v87, v108, v187 op_sel_hi:[1,0,1]
	v_pk_fma_f16 v74, v105, v111, v74 op_sel:[0,1,0]
	v_pk_fma_f16 v75, v105, v112, v75 op_sel_hi:[1,0,1]
	v_pk_fma_f16 v7, v115, v113, v7 op_sel_hi:[1,0,1]
	v_pk_fma_f16 v10, v115, v113, v10 op_sel:[0,1,0]
	v_pk_fma_f16 v11, v115, v114, v11 op_sel_hi:[1,0,1]
	v_pk_fma_f16 v69, v116, v113, v69 op_sel:[0,1,0]
	v_pk_fma_f16 v70, v116, v114, v70 op_sel_hi:[1,0,1]
	v_pk_fma_f16 v71, v117, v113, v71 op_sel_hi:[1,0,1]
	v_pk_fma_f16 v76, v117, v113, v76 op_sel:[0,1,0]
	v_pk_fma_f16 v77, v117, v114, v77 op_sel_hi:[1,0,1]
	;; [unrolled: 3-line block ×3, first 2 shown]
	v_pk_fma_f16 v61, v135, v150, v61 op_sel:[0,1,0]
	v_pk_fma_f16 v62, v136, v150, v62 op_sel:[0,1,0]
	;; [unrolled: 1-line block ×4, first 2 shown]
	v_pk_fma_f16 v64, v140, v151, v64 op_sel_hi:[1,0,1]
	v_pk_fma_f16 v58, v140, v152, v58 op_sel:[0,1,0]
	v_pk_fma_f16 v59, v141, v152, v59 op_sel:[0,1,0]
	;; [unrolled: 1-line block ×3, first 2 shown]
	v_pk_fma_f16 v73, v119, v113, v73 op_sel_hi:[1,0,1]
	v_pk_fma_f16 v66, v120, v113, v66 op_sel_hi:[1,0,1]
	v_pk_fma_f16 v8, v120, v113, v8 op_sel:[0,1,0]
	v_pk_fma_f16 v9, v120, v114, v9 op_sel_hi:[1,0,1]
	v_pk_fma_f16 v67, v121, v113, v67 op_sel_hi:[1,0,1]
	;; [unrolled: 1-line block ×3, first 2 shown]
	v_pk_fma_f16 v4, v122, v113, v4 op_sel:[0,1,0]
	v_pk_fma_f16 v6, v122, v114, v6 op_sel_hi:[1,0,1]
	v_pk_fma_f16 v5, v122, v114, v5 op_sel:[0,1,0]
	v_pk_fma_f16 v80, v95, v109, v80 op_sel:[0,1,0]
	v_pk_fma_f16 v81, v95, v110, v81 op_sel_hi:[1,0,1]
	v_pk_fma_f16 v74, v121, v113, v74 op_sel:[0,1,0]
	v_pk_fma_f16 v75, v121, v114, v75 op_sel_hi:[1,0,1]
	v_pk_fma_f16 v7, v123, v147, v7 op_sel_hi:[1,0,1]
	v_pk_fma_f16 v10, v123, v147, v10 op_sel:[0,1,0]
	v_pk_fma_f16 v11, v123, v148, v11 op_sel_hi:[1,0,1]
	v_pk_fma_f16 v69, v124, v147, v69 op_sel:[0,1,0]
	v_pk_fma_f16 v70, v124, v148, v70 op_sel_hi:[1,0,1]
	v_pk_fma_f16 v71, v125, v147, v71 op_sel_hi:[1,0,1]
	v_pk_fma_f16 v76, v125, v147, v76 op_sel:[0,1,0]
	v_pk_fma_f16 v77, v125, v148, v77 op_sel_hi:[1,0,1]
	v_pk_fma_f16 v72, v126, v147, v72 op_sel_hi:[1,0,1]
	v_pk_fma_f16 v78, v126, v147, v78 op_sel:[0,1,0]
	v_pk_fma_f16 v79, v126, v148, v79 op_sel_hi:[1,0,1]
	v_pk_fma_f16 v85, v143, v152, v61 op_sel:[0,1,0]
	v_pk_fma_f16 v87, v144, v152, v62 op_sel:[0,1,0]
	;; [unrolled: 1-line block ×4, first 2 shown]
	v_pk_fma_f16 v93, v156, v153, v64 op_sel_hi:[1,0,1]
	v_pk_fma_f16 v96, v156, v154, v58 op_sel:[0,1,0]
	v_pk_fma_f16 v98, v157, v154, v59 op_sel:[0,1,0]
	;; [unrolled: 1-line block ×3, first 2 shown]
	s_waitcnt vmcnt(3)
	ds_store_b128 v44, v[163:166]
	s_waitcnt vmcnt(2)
	ds_store_b128 v45, v[167:170]
	;; [unrolled: 2-line block ×4, first 2 shown]
	s_waitcnt lgkmcnt(0)
	s_barrier
	buffer_gl0_inv
	ds_load_2addr_b64 v[57:60], v65 offset1:32
	ds_load_b128 v[61:64], v43 offset:384
	v_pk_fma_f16 v73, v127, v147, v73 op_sel_hi:[1,0,1]
	v_pk_fma_f16 v66, v128, v147, v66 op_sel_hi:[1,0,1]
	v_pk_fma_f16 v8, v128, v147, v8 op_sel:[0,1,0]
	v_pk_fma_f16 v9, v128, v148, v9 op_sel_hi:[1,0,1]
	v_pk_fma_f16 v67, v129, v147, v67 op_sel_hi:[1,0,1]
	v_pk_fma_f16 v68, v130, v147, v68 op_sel_hi:[1,0,1]
	v_pk_fma_f16 v4, v130, v147, v4 op_sel:[0,1,0]
	v_pk_fma_f16 v6, v130, v148, v6 op_sel_hi:[1,0,1]
	v_pk_fma_f16 v5, v130, v148, v5 op_sel:[0,1,0]
	v_pk_fma_f16 v80, v103, v111, v80 op_sel:[0,1,0]
	v_pk_fma_f16 v81, v103, v112, v81 op_sel_hi:[1,0,1]
	v_pk_fma_f16 v74, v129, v147, v74 op_sel:[0,1,0]
	v_pk_fma_f16 v75, v129, v148, v75 op_sel_hi:[1,0,1]
	v_pk_fma_f16 v7, v131, v149, v7 op_sel_hi:[1,0,1]
	v_pk_fma_f16 v10, v131, v149, v10 op_sel:[0,1,0]
	v_pk_fma_f16 v11, v131, v150, v11 op_sel_hi:[1,0,1]
	v_pk_fma_f16 v69, v132, v149, v69 op_sel:[0,1,0]
	v_pk_fma_f16 v70, v132, v150, v70 op_sel_hi:[1,0,1]
	v_pk_fma_f16 v71, v133, v149, v71 op_sel_hi:[1,0,1]
	v_pk_fma_f16 v76, v133, v149, v76 op_sel:[0,1,0]
	v_pk_fma_f16 v77, v133, v150, v77 op_sel_hi:[1,0,1]
	v_pk_fma_f16 v72, v134, v149, v72 op_sel_hi:[1,0,1]
	v_pk_fma_f16 v78, v134, v149, v78 op_sel:[0,1,0]
	v_pk_fma_f16 v79, v134, v150, v79 op_sel_hi:[1,0,1]
	v_pk_fma_f16 v73, v135, v149, v73 op_sel_hi:[1,0,1]
	v_pk_fma_f16 v66, v136, v149, v66 op_sel_hi:[1,0,1]
	v_pk_fma_f16 v8, v136, v149, v8 op_sel:[0,1,0]
	v_pk_fma_f16 v9, v136, v150, v9 op_sel_hi:[1,0,1]
	v_pk_fma_f16 v67, v137, v149, v67 op_sel_hi:[1,0,1]
	v_pk_fma_f16 v68, v138, v149, v68 op_sel_hi:[1,0,1]
	v_pk_fma_f16 v4, v138, v149, v4 op_sel:[0,1,0]
	v_pk_fma_f16 v6, v138, v150, v6 op_sel_hi:[1,0,1]
	v_pk_fma_f16 v5, v138, v150, v5 op_sel:[0,1,0]
	v_pk_fma_f16 v80, v119, v113, v80 op_sel:[0,1,0]
	v_pk_fma_f16 v81, v119, v114, v81 op_sel_hi:[1,0,1]
	v_pk_fma_f16 v74, v137, v149, v74 op_sel:[0,1,0]
	v_pk_fma_f16 v75, v137, v150, v75 op_sel_hi:[1,0,1]
	v_pk_fma_f16 v7, v139, v151, v7 op_sel_hi:[1,0,1]
	v_pk_fma_f16 v10, v139, v151, v10 op_sel:[0,1,0]
	v_pk_fma_f16 v11, v139, v152, v11 op_sel_hi:[1,0,1]
	v_pk_fma_f16 v69, v140, v151, v69 op_sel:[0,1,0]
	v_pk_fma_f16 v70, v140, v152, v70 op_sel_hi:[1,0,1]
	v_pk_fma_f16 v71, v141, v151, v71 op_sel_hi:[1,0,1]
	v_pk_fma_f16 v76, v141, v151, v76 op_sel:[0,1,0]
	v_pk_fma_f16 v77, v141, v152, v77 op_sel_hi:[1,0,1]
	v_pk_fma_f16 v72, v142, v151, v72 op_sel_hi:[1,0,1]
	v_pk_fma_f16 v78, v142, v151, v78 op_sel:[0,1,0]
	v_pk_fma_f16 v79, v142, v152, v79 op_sel_hi:[1,0,1]
	;; [unrolled: 24-line block ×3, first 2 shown]
	v_pk_fma_f16 v101, v159, v153, v73 op_sel_hi:[1,0,1]
	v_pk_fma_f16 v102, v160, v153, v66 op_sel_hi:[1,0,1]
	v_pk_fma_f16 v103, v160, v153, v8 op_sel:[0,1,0]
	v_pk_fma_f16 v104, v160, v154, v9 op_sel_hi:[1,0,1]
	v_pk_fma_f16 v105, v161, v153, v67 op_sel_hi:[1,0,1]
	;; [unrolled: 1-line block ×3, first 2 shown]
	v_pk_fma_f16 v109, v162, v153, v4 op_sel:[0,1,0]
	v_pk_fma_f16 v110, v162, v154, v6 op_sel_hi:[1,0,1]
	v_pk_fma_f16 v111, v162, v154, v5 op_sel:[0,1,0]
	ds_load_2addr_b64 v[66:69], v65 offset0:64 offset1:96
	ds_load_b128 v[70:73], v43 offset:400
	ds_load_b128 v[8:11], v43 offset:416
	;; [unrolled: 1-line block ×3, first 2 shown]
	v_pk_fma_f16 v80, v135, v149, v80 op_sel:[0,1,0]
	v_pk_fma_f16 v81, v135, v150, v81 op_sel_hi:[1,0,1]
	v_pk_fma_f16 v106, v161, v153, v74 op_sel:[0,1,0]
	v_pk_fma_f16 v107, v161, v154, v75 op_sel_hi:[1,0,1]
	s_waitcnt lgkmcnt(4)
	v_pk_fma_f16 v89, v57, v61, v89 op_sel_hi:[1,0,1]
	v_pk_fma_f16 v90, v57, v61, v90 op_sel:[0,1,0]
	v_pk_fma_f16 v91, v57, v62, v91 op_sel_hi:[1,0,1]
	v_pk_fma_f16 v92, v57, v62, v92 op_sel:[0,1,0]
	;; [unrolled: 2-line block ×7, first 2 shown]
	ds_load_2addr_b64 v[74:77], v65 offset0:128 offset1:160
	v_pk_fma_f16 v79, v60, v62, v79 op_sel_hi:[1,0,1]
	v_pk_fma_f16 v100, v60, v62, v100 op_sel:[0,1,0]
	ds_load_2addr_b64 v[57:60], v65 offset0:192 offset1:224
	v_pk_fma_f16 v80, v143, v151, v80 op_sel:[0,1,0]
	v_pk_fma_f16 v81, v143, v152, v81 op_sel_hi:[1,0,1]
	v_pk_fma_f16 v85, v159, v154, v85 op_sel:[0,1,0]
	v_pk_fma_f16 v87, v160, v154, v87 op_sel:[0,1,0]
	;; [unrolled: 1-line block ×4, first 2 shown]
	v_pk_fma_f16 v81, v159, v154, v81 op_sel_hi:[1,0,1]
	s_waitcnt lgkmcnt(5)
	v_pk_fma_f16 v101, v66, v61, v101 op_sel_hi:[1,0,1]
	v_pk_fma_f16 v85, v66, v62, v85 op_sel:[0,1,0]
	v_pk_fma_f16 v102, v67, v61, v102 op_sel_hi:[1,0,1]
	v_pk_fma_f16 v80, v66, v61, v80 op_sel:[0,1,0]
	;; [unrolled: 2-line block ×8, first 2 shown]
	ds_load_2addr_b64 v[66:69], v54 offset1:32
	s_waitcnt lgkmcnt(2)
	v_pk_fma_f16 v89, v74, v63, v89 op_sel_hi:[1,0,1]
	v_pk_fma_f16 v90, v74, v63, v90 op_sel:[0,1,0]
	v_pk_fma_f16 v91, v74, v64, v91 op_sel_hi:[1,0,1]
	v_pk_fma_f16 v92, v74, v64, v92 op_sel:[0,1,0]
	;; [unrolled: 2-line block ×8, first 2 shown]
	s_waitcnt lgkmcnt(1)
	v_pk_fma_f16 v101, v57, v63, v101 op_sel_hi:[1,0,1]
	v_pk_fma_f16 v80, v57, v63, v80 op_sel:[0,1,0]
	v_pk_fma_f16 v81, v57, v64, v81 op_sel_hi:[1,0,1]
	v_pk_fma_f16 v85, v57, v64, v85 op_sel:[0,1,0]
	v_pk_fma_f16 v102, v58, v63, v102 op_sel_hi:[1,0,1]
	v_pk_fma_f16 v103, v58, v63, v103 op_sel:[0,1,0]
	v_pk_fma_f16 v104, v58, v64, v104 op_sel_hi:[1,0,1]
	v_pk_fma_f16 v87, v58, v64, v87 op_sel:[0,1,0]
	v_pk_fma_f16 v105, v59, v63, v105 op_sel_hi:[1,0,1]
	v_pk_fma_f16 v106, v59, v63, v106 op_sel:[0,1,0]
	v_pk_fma_f16 v107, v59, v64, v107 op_sel_hi:[1,0,1]
	v_pk_fma_f16 v88, v59, v64, v88 op_sel:[0,1,0]
	v_pk_fma_f16 v108, v60, v63, v108 op_sel_hi:[1,0,1]
	v_pk_fma_f16 v61, v60, v63, v61 op_sel:[0,1,0]
	ds_load_2addr_b64 v[74:77], v54 offset0:64 offset1:96
	v_pk_fma_f16 v109, v60, v64, v109 op_sel_hi:[1,0,1]
	v_pk_fma_f16 v112, v60, v64, v62 op_sel:[0,1,0]
	ds_load_2addr_b64 v[57:60], v54 offset0:128 offset1:160
	s_waitcnt lgkmcnt(2)
	v_pk_fma_f16 v89, v66, v70, v89 op_sel_hi:[1,0,1]
	v_pk_fma_f16 v90, v66, v70, v90 op_sel:[0,1,0]
	v_pk_fma_f16 v91, v66, v71, v91 op_sel_hi:[1,0,1]
	v_pk_fma_f16 v66, v66, v71, v92 op_sel:[0,1,0]
	;; [unrolled: 2-line block ×8, first 2 shown]
	s_waitcnt lgkmcnt(1)
	v_pk_fma_f16 v100, v74, v70, v101 op_sel_hi:[1,0,1]
	v_pk_fma_f16 v80, v74, v70, v80 op_sel:[0,1,0]
	v_pk_fma_f16 v81, v74, v71, v81 op_sel_hi:[1,0,1]
	v_pk_fma_f16 v74, v74, v71, v85 op_sel:[0,1,0]
	;; [unrolled: 2-line block ×7, first 2 shown]
	ds_load_2addr_b64 v[61:64], v54 offset0:192 offset1:224
	v_pk_fma_f16 v105, v77, v71, v109 op_sel_hi:[1,0,1]
	v_pk_fma_f16 v71, v77, v71, v112 op_sel:[0,1,0]
	s_waitcnt lgkmcnt(1)
	v_pk_fma_f16 v77, v57, v72, v89 op_sel_hi:[1,0,1]
	v_pk_fma_f16 v89, v57, v72, v90 op_sel:[0,1,0]
	v_pk_fma_f16 v90, v57, v73, v91 op_sel_hi:[1,0,1]
	v_pk_fma_f16 v91, v57, v73, v66 op_sel:[0,1,0]
	v_pk_fma_f16 v106, v58, v73, v67 op_sel:[0,1,0]
	;; [unrolled: 1-line block ×3, first 2 shown]
	ds_load_2addr_b64 v[66:69], v55 offset1:32
	v_pk_fma_f16 v92, v58, v72, v92 op_sel_hi:[1,0,1]
	v_pk_fma_f16 v93, v58, v72, v93 op_sel:[0,1,0]
	v_pk_fma_f16 v94, v58, v73, v94 op_sel_hi:[1,0,1]
	v_pk_fma_f16 v95, v59, v72, v95 op_sel_hi:[1,0,1]
	v_pk_fma_f16 v96, v59, v72, v96 op_sel:[0,1,0]
	v_pk_fma_f16 v97, v59, v73, v97 op_sel_hi:[1,0,1]
	;; [unrolled: 3-line block ×3, first 2 shown]
	v_pk_fma_f16 v99, v60, v73, v99 op_sel:[0,1,0]
	ds_load_2addr_b64 v[57:60], v55 offset0:64 offset1:96
	s_or_b32 s8, s3, 64
	s_waitcnt lgkmcnt(2)
	v_pk_fma_f16 v100, v61, v72, v100 op_sel_hi:[1,0,1]
	v_pk_fma_f16 v80, v61, v72, v80 op_sel:[0,1,0]
	v_pk_fma_f16 v81, v61, v73, v81 op_sel_hi:[1,0,1]
	v_pk_fma_f16 v74, v61, v73, v74 op_sel:[0,1,0]
	;; [unrolled: 2-line block ×8, first 2 shown]
	s_waitcnt lgkmcnt(1)
	v_pk_fma_f16 v73, v66, v8, v77 op_sel_hi:[1,0,1]
	v_pk_fma_f16 v77, v66, v8, v89 op_sel:[0,1,0]
	v_pk_fma_f16 v89, v66, v9, v90 op_sel_hi:[1,0,1]
	v_pk_fma_f16 v90, v66, v9, v91 op_sel:[0,1,0]
	v_pk_fma_f16 v91, v67, v8, v92 op_sel_hi:[1,0,1]
	v_pk_fma_f16 v92, v67, v8, v93 op_sel:[0,1,0]
	v_pk_fma_f16 v93, v67, v9, v94 op_sel_hi:[1,0,1]
	v_pk_fma_f16 v94, v67, v9, v106 op_sel:[0,1,0]
	v_pk_fma_f16 v95, v68, v8, v95 op_sel_hi:[1,0,1]
	v_pk_fma_f16 v96, v68, v8, v96 op_sel:[0,1,0]
	v_pk_fma_f16 v97, v68, v9, v97 op_sel_hi:[1,0,1]
	v_pk_fma_f16 v105, v68, v9, v107 op_sel:[0,1,0]
	v_pk_fma_f16 v98, v69, v8, v98 op_sel_hi:[1,0,1]
	v_pk_fma_f16 v78, v69, v8, v78 op_sel:[0,1,0]
	ds_load_2addr_b64 v[61:64], v55 offset0:128 offset1:160
	v_pk_fma_f16 v79, v69, v9, v79 op_sel_hi:[1,0,1]
	v_pk_fma_f16 v99, v69, v9, v99 op_sel:[0,1,0]
	ds_load_2addr_b64 v[66:69], v55 offset0:192 offset1:224
	s_mul_hi_i32 s21, s8, s10
	s_mul_i32 s20, s8, s10
	s_waitcnt lgkmcnt(2)
	v_pk_fma_f16 v100, v57, v8, v100 op_sel_hi:[1,0,1]
	s_lshl_b64 s[20:21], s[20:21], 2
	v_pk_fma_f16 v80, v57, v8, v80 op_sel:[0,1,0]
	s_add_u32 s8, s11, s20
	v_pk_fma_f16 v81, v57, v9, v81 op_sel_hi:[1,0,1]
	v_pk_fma_f16 v57, v57, v9, v74 op_sel:[0,1,0]
	v_pk_fma_f16 v74, v58, v8, v85 op_sel_hi:[1,0,1]
	v_pk_fma_f16 v85, v58, v8, v101 op_sel:[0,1,0]
	;; [unrolled: 2-line block ×4, first 2 shown]
	s_addc_u32 s20, s17, s21
	v_add_co_u32 v8, vcc_lo, s8, v27
	v_pk_fma_f16 v179, v58, v9, v102 op_sel_hi:[1,0,1]
	v_pk_fma_f16 v180, v58, v9, v75 op_sel:[0,1,0]
	v_pk_fma_f16 v183, v59, v9, v104 op_sel_hi:[1,0,1]
	v_pk_fma_f16 v184, v59, v9, v76 op_sel:[0,1,0]
	;; [unrolled: 2-line block ×3, first 2 shown]
	v_add_co_ci_u32_e32 v9, vcc_lo, s20, v28, vcc_lo
	v_add_co_u32 v163, vcc_lo, s8, v29
	v_add_co_ci_u32_e32 v164, vcc_lo, s20, v30, vcc_lo
	v_add_co_u32 v8, vcc_lo, v8, v40
	s_delay_alu instid0(VALU_DEP_4) | instskip(NEXT) | instid1(VALU_DEP_4)
	v_add_co_ci_u32_e32 v9, vcc_lo, 0, v9, vcc_lo
	v_add_co_u32 v175, vcc_lo, v163, v40
	s_delay_alu instid0(VALU_DEP_4)
	v_add_co_ci_u32_e32 v176, vcc_lo, 0, v164, vcc_lo
	s_waitcnt lgkmcnt(1)
	v_pk_fma_f16 v189, v61, v10, v73 op_sel_hi:[1,0,1]
	v_pk_fma_f16 v190, v61, v10, v77 op_sel:[0,1,0]
	v_pk_fma_f16 v191, v61, v11, v89 op_sel_hi:[1,0,1]
	v_pk_fma_f16 v192, v61, v11, v90 op_sel:[0,1,0]
	;; [unrolled: 2-line block ×8, first 2 shown]
	s_waitcnt lgkmcnt(0)
	v_pk_fma_f16 v205, v66, v10, v100 op_sel_hi:[1,0,1]
	v_pk_fma_f16 v206, v66, v10, v80 op_sel:[0,1,0]
	v_pk_fma_f16 v207, v66, v11, v81 op_sel_hi:[1,0,1]
	v_pk_fma_f16 v66, v66, v11, v57 op_sel:[0,1,0]
	v_pk_fma_f16 v208, v67, v10, v74 op_sel_hi:[1,0,1]
	ds_load_2addr_b64 v[57:60], v56 offset1:32
	ds_load_2addr_b64 v[61:64], v56 offset0:64 offset1:96
	ds_load_2addr_b64 v[70:73], v56 offset0:128 offset1:160
	;; [unrolled: 1-line block ×3, first 2 shown]
	ds_load_2addr_b64 v[78:81], v53 offset1:32
	ds_load_2addr_b64 v[87:90], v53 offset0:64 offset1:96
	ds_load_2addr_b64 v[91:94], v53 offset0:128 offset1:160
	;; [unrolled: 1-line block ×3, first 2 shown]
	ds_load_2addr_b64 v[99:102], v52 offset1:32
	ds_load_2addr_b64 v[103:106], v52 offset0:64 offset1:96
	ds_load_b128 v[107:110], v43 offset:448
	ds_load_b128 v[111:114], v43 offset:464
	ds_load_2addr_b64 v[115:118], v52 offset0:128 offset1:160
	ds_load_2addr_b64 v[119:122], v52 offset0:192 offset1:224
	ds_load_2addr_b64 v[123:126], v50 offset1:32
	ds_load_2addr_b64 v[127:130], v50 offset0:64 offset1:96
	ds_load_2addr_b64 v[131:134], v50 offset0:128 offset1:160
	;; [unrolled: 1-line block ×3, first 2 shown]
	ds_load_2addr_b64 v[139:142], v49 offset1:32
	ds_load_2addr_b64 v[143:146], v49 offset0:64 offset1:96
	ds_load_b128 v[147:150], v43 offset:480
	ds_load_b128 v[151:154], v43 offset:496
	ds_load_2addr_b64 v[155:158], v49 offset0:128 offset1:160
	ds_load_2addr_b64 v[159:162], v49 offset0:192 offset1:224
	s_waitcnt lgkmcnt(0)
	s_barrier
	buffer_gl0_inv
	s_clause 0x3
	global_load_b128 v[163:166], v[8:9], off
	global_load_b128 v[167:170], v[8:9], off offset:512
	global_load_b128 v[171:174], v[175:176], off
	global_load_b128 v[175:178], v[175:176], off offset:512
	v_pk_fma_f16 v8, v67, v10, v85 op_sel:[0,1,0]
	v_pk_fma_f16 v9, v67, v11, v179 op_sel_hi:[1,0,1]
	v_pk_fma_f16 v67, v67, v11, v180 op_sel:[0,1,0]
	v_pk_fma_f16 v85, v68, v10, v181 op_sel_hi:[1,0,1]
	;; [unrolled: 2-line block ×24, first 2 shown]
	v_pk_fma_f16 v58, v71, v7, v58 op_sel:[0,1,0]
	v_pk_fma_f16 v59, v72, v7, v59 op_sel:[0,1,0]
	v_pk_fma_f16 v60, v73, v7, v60 op_sel:[0,1,0]
	v_pk_fma_f16 v180, v71, v6, v186 op_sel:[0,1,0]
	v_pk_fma_f16 v181, v71, v7, v187 op_sel_hi:[1,0,1]
	v_pk_fma_f16 v71, v72, v6, v188 op_sel_hi:[1,0,1]
	v_pk_fma_f16 v182, v72, v6, v189 op_sel:[0,1,0]
	v_pk_fma_f16 v183, v72, v7, v190 op_sel_hi:[1,0,1]
	v_pk_fma_f16 v72, v73, v6, v191 op_sel_hi:[1,0,1]
	v_pk_fma_f16 v184, v73, v6, v192 op_sel:[0,1,0]
	;; [unrolled: 3-line block ×3, first 2 shown]
	v_pk_fma_f16 v187, v74, v7, v196 op_sel_hi:[1,0,1]
	v_pk_fma_f16 v61, v74, v7, v61 op_sel:[0,1,0]
	v_pk_fma_f16 v66, v75, v6, v66 op_sel_hi:[1,0,1]
	v_pk_fma_f16 v8, v75, v6, v8 op_sel:[0,1,0]
	v_pk_fma_f16 v62, v75, v7, v62 op_sel:[0,1,0]
	v_pk_fma_f16 v67, v76, v6, v67 op_sel_hi:[1,0,1]
	v_pk_fma_f16 v74, v76, v6, v85 op_sel:[0,1,0]
	;; [unrolled: 3-line block ×3, first 2 shown]
	v_pk_fma_f16 v6, v77, v7, v10 op_sel_hi:[1,0,1]
	v_pk_fma_f16 v10, v78, v107, v64 op_sel:[0,1,0]
	v_pk_fma_f16 v57, v78, v108, v57 op_sel:[0,1,0]
	v_pk_fma_f16 v64, v79, v107, v70 op_sel_hi:[1,0,1]
	v_pk_fma_f16 v58, v79, v108, v58 op_sel:[0,1,0]
	v_pk_fma_f16 v59, v80, v108, v59 op_sel:[0,1,0]
	;; [unrolled: 1-line block ×7, first 2 shown]
	v_pk_fma_f16 v64, v92, v109, v64 op_sel_hi:[1,0,1]
	v_pk_fma_f16 v58, v92, v110, v58 op_sel:[0,1,0]
	v_pk_fma_f16 v59, v93, v110, v59 op_sel:[0,1,0]
	;; [unrolled: 1-line block ×7, first 2 shown]
	v_pk_fma_f16 v64, v100, v111, v64 op_sel_hi:[1,0,1]
	v_pk_fma_f16 v58, v100, v112, v58 op_sel:[0,1,0]
	v_pk_fma_f16 v59, v101, v112, v59 op_sel:[0,1,0]
	;; [unrolled: 1-line block ×3, first 2 shown]
	v_pk_fma_f16 v9, v75, v7, v9 op_sel_hi:[1,0,1]
	v_pk_fma_f16 v5, v77, v7, v5 op_sel:[0,1,0]
	v_pk_fma_f16 v75, v76, v7, v179 op_sel_hi:[1,0,1]
	v_pk_fma_f16 v7, v78, v107, v11 op_sel_hi:[1,0,1]
	v_pk_fma_f16 v11, v78, v108, v69 op_sel_hi:[1,0,1]
	v_pk_fma_f16 v69, v79, v107, v180 op_sel:[0,1,0]
	v_pk_fma_f16 v70, v79, v108, v181 op_sel_hi:[1,0,1]
	v_pk_fma_f16 v71, v80, v107, v71 op_sel_hi:[1,0,1]
	v_pk_fma_f16 v76, v80, v107, v182 op_sel:[0,1,0]
	v_pk_fma_f16 v77, v80, v108, v183 op_sel_hi:[1,0,1]
	v_pk_fma_f16 v72, v81, v107, v72 op_sel_hi:[1,0,1]
	v_pk_fma_f16 v78, v81, v107, v184 op_sel:[0,1,0]
	v_pk_fma_f16 v79, v81, v108, v185 op_sel_hi:[1,0,1]
	v_pk_fma_f16 v61, v103, v112, v61 op_sel:[0,1,0]
	v_pk_fma_f16 v62, v104, v112, v62 op_sel:[0,1,0]
	;; [unrolled: 1-line block ×4, first 2 shown]
	v_pk_fma_f16 v64, v116, v113, v64 op_sel_hi:[1,0,1]
	v_pk_fma_f16 v58, v116, v114, v58 op_sel:[0,1,0]
	v_pk_fma_f16 v59, v117, v114, v59 op_sel:[0,1,0]
	;; [unrolled: 1-line block ×3, first 2 shown]
	v_pk_fma_f16 v73, v87, v107, v73 op_sel_hi:[1,0,1]
	v_pk_fma_f16 v66, v88, v107, v66 op_sel_hi:[1,0,1]
	v_pk_fma_f16 v8, v88, v107, v8 op_sel:[0,1,0]
	v_pk_fma_f16 v9, v88, v108, v9 op_sel_hi:[1,0,1]
	v_pk_fma_f16 v67, v89, v107, v67 op_sel_hi:[1,0,1]
	;; [unrolled: 1-line block ×3, first 2 shown]
	v_pk_fma_f16 v4, v90, v107, v4 op_sel:[0,1,0]
	v_pk_fma_f16 v6, v90, v108, v6 op_sel_hi:[1,0,1]
	v_pk_fma_f16 v5, v90, v108, v5 op_sel:[0,1,0]
	v_pk_fma_f16 v74, v89, v107, v74 op_sel:[0,1,0]
	v_pk_fma_f16 v75, v89, v108, v75 op_sel_hi:[1,0,1]
	v_pk_fma_f16 v7, v91, v109, v7 op_sel_hi:[1,0,1]
	v_pk_fma_f16 v10, v91, v109, v10 op_sel:[0,1,0]
	v_pk_fma_f16 v11, v91, v110, v11 op_sel_hi:[1,0,1]
	v_pk_fma_f16 v69, v92, v109, v69 op_sel:[0,1,0]
	v_pk_fma_f16 v70, v92, v110, v70 op_sel_hi:[1,0,1]
	v_pk_fma_f16 v71, v93, v109, v71 op_sel_hi:[1,0,1]
	v_pk_fma_f16 v76, v93, v109, v76 op_sel:[0,1,0]
	v_pk_fma_f16 v77, v93, v110, v77 op_sel_hi:[1,0,1]
	;; [unrolled: 3-line block ×3, first 2 shown]
	v_pk_fma_f16 v61, v119, v114, v61 op_sel:[0,1,0]
	v_pk_fma_f16 v62, v120, v114, v62 op_sel:[0,1,0]
	v_pk_fma_f16 v63, v121, v114, v63 op_sel:[0,1,0]
	v_pk_fma_f16 v57, v123, v148, v57 op_sel:[0,1,0]
	v_pk_fma_f16 v64, v124, v147, v64 op_sel_hi:[1,0,1]
	v_pk_fma_f16 v58, v124, v148, v58 op_sel:[0,1,0]
	v_pk_fma_f16 v59, v125, v148, v59 op_sel:[0,1,0]
	;; [unrolled: 1-line block ×3, first 2 shown]
	v_pk_fma_f16 v73, v95, v109, v73 op_sel_hi:[1,0,1]
	v_pk_fma_f16 v66, v96, v109, v66 op_sel_hi:[1,0,1]
	v_pk_fma_f16 v8, v96, v109, v8 op_sel:[0,1,0]
	v_pk_fma_f16 v9, v96, v110, v9 op_sel_hi:[1,0,1]
	v_pk_fma_f16 v67, v97, v109, v67 op_sel_hi:[1,0,1]
	;; [unrolled: 1-line block ×3, first 2 shown]
	v_pk_fma_f16 v4, v98, v109, v4 op_sel:[0,1,0]
	v_pk_fma_f16 v6, v98, v110, v6 op_sel_hi:[1,0,1]
	v_pk_fma_f16 v5, v98, v110, v5 op_sel:[0,1,0]
	v_pk_fma_f16 v74, v97, v109, v74 op_sel:[0,1,0]
	v_pk_fma_f16 v75, v97, v110, v75 op_sel_hi:[1,0,1]
	v_pk_fma_f16 v7, v99, v111, v7 op_sel_hi:[1,0,1]
	v_pk_fma_f16 v10, v99, v111, v10 op_sel:[0,1,0]
	v_pk_fma_f16 v11, v99, v112, v11 op_sel_hi:[1,0,1]
	v_pk_fma_f16 v69, v100, v111, v69 op_sel:[0,1,0]
	v_pk_fma_f16 v70, v100, v112, v70 op_sel_hi:[1,0,1]
	v_pk_fma_f16 v71, v101, v111, v71 op_sel_hi:[1,0,1]
	v_pk_fma_f16 v76, v101, v111, v76 op_sel:[0,1,0]
	v_pk_fma_f16 v77, v101, v112, v77 op_sel_hi:[1,0,1]
	;; [unrolled: 3-line block ×3, first 2 shown]
	v_pk_fma_f16 v61, v127, v148, v61 op_sel:[0,1,0]
	v_pk_fma_f16 v62, v128, v148, v62 op_sel:[0,1,0]
	;; [unrolled: 1-line block ×4, first 2 shown]
	v_pk_fma_f16 v64, v132, v149, v64 op_sel_hi:[1,0,1]
	v_pk_fma_f16 v58, v132, v150, v58 op_sel:[0,1,0]
	v_pk_fma_f16 v59, v133, v150, v59 op_sel:[0,1,0]
	;; [unrolled: 1-line block ×3, first 2 shown]
	v_pk_fma_f16 v73, v103, v111, v73 op_sel_hi:[1,0,1]
	v_pk_fma_f16 v66, v104, v111, v66 op_sel_hi:[1,0,1]
	v_pk_fma_f16 v8, v104, v111, v8 op_sel:[0,1,0]
	v_pk_fma_f16 v9, v104, v112, v9 op_sel_hi:[1,0,1]
	v_pk_fma_f16 v67, v105, v111, v67 op_sel_hi:[1,0,1]
	;; [unrolled: 1-line block ×3, first 2 shown]
	v_pk_fma_f16 v4, v106, v111, v4 op_sel:[0,1,0]
	v_pk_fma_f16 v6, v106, v112, v6 op_sel_hi:[1,0,1]
	v_pk_fma_f16 v5, v106, v112, v5 op_sel:[0,1,0]
	v_pk_fma_f16 v80, v87, v107, v186 op_sel:[0,1,0]
	v_pk_fma_f16 v81, v87, v108, v187 op_sel_hi:[1,0,1]
	v_pk_fma_f16 v74, v105, v111, v74 op_sel:[0,1,0]
	v_pk_fma_f16 v75, v105, v112, v75 op_sel_hi:[1,0,1]
	v_pk_fma_f16 v7, v115, v113, v7 op_sel_hi:[1,0,1]
	v_pk_fma_f16 v10, v115, v113, v10 op_sel:[0,1,0]
	v_pk_fma_f16 v11, v115, v114, v11 op_sel_hi:[1,0,1]
	v_pk_fma_f16 v69, v116, v113, v69 op_sel:[0,1,0]
	v_pk_fma_f16 v70, v116, v114, v70 op_sel_hi:[1,0,1]
	v_pk_fma_f16 v71, v117, v113, v71 op_sel_hi:[1,0,1]
	v_pk_fma_f16 v76, v117, v113, v76 op_sel:[0,1,0]
	v_pk_fma_f16 v77, v117, v114, v77 op_sel_hi:[1,0,1]
	;; [unrolled: 3-line block ×3, first 2 shown]
	v_pk_fma_f16 v61, v135, v150, v61 op_sel:[0,1,0]
	v_pk_fma_f16 v62, v136, v150, v62 op_sel:[0,1,0]
	;; [unrolled: 1-line block ×4, first 2 shown]
	v_pk_fma_f16 v64, v140, v151, v64 op_sel_hi:[1,0,1]
	v_pk_fma_f16 v58, v140, v152, v58 op_sel:[0,1,0]
	v_pk_fma_f16 v59, v141, v152, v59 op_sel:[0,1,0]
	;; [unrolled: 1-line block ×3, first 2 shown]
	v_pk_fma_f16 v73, v119, v113, v73 op_sel_hi:[1,0,1]
	v_pk_fma_f16 v66, v120, v113, v66 op_sel_hi:[1,0,1]
	v_pk_fma_f16 v8, v120, v113, v8 op_sel:[0,1,0]
	v_pk_fma_f16 v9, v120, v114, v9 op_sel_hi:[1,0,1]
	v_pk_fma_f16 v67, v121, v113, v67 op_sel_hi:[1,0,1]
	;; [unrolled: 1-line block ×3, first 2 shown]
	v_pk_fma_f16 v4, v122, v113, v4 op_sel:[0,1,0]
	v_pk_fma_f16 v6, v122, v114, v6 op_sel_hi:[1,0,1]
	v_pk_fma_f16 v5, v122, v114, v5 op_sel:[0,1,0]
	v_pk_fma_f16 v80, v95, v109, v80 op_sel:[0,1,0]
	v_pk_fma_f16 v81, v95, v110, v81 op_sel_hi:[1,0,1]
	v_pk_fma_f16 v74, v121, v113, v74 op_sel:[0,1,0]
	v_pk_fma_f16 v75, v121, v114, v75 op_sel_hi:[1,0,1]
	v_pk_fma_f16 v7, v123, v147, v7 op_sel_hi:[1,0,1]
	v_pk_fma_f16 v10, v123, v147, v10 op_sel:[0,1,0]
	v_pk_fma_f16 v11, v123, v148, v11 op_sel_hi:[1,0,1]
	v_pk_fma_f16 v69, v124, v147, v69 op_sel:[0,1,0]
	v_pk_fma_f16 v70, v124, v148, v70 op_sel_hi:[1,0,1]
	v_pk_fma_f16 v71, v125, v147, v71 op_sel_hi:[1,0,1]
	v_pk_fma_f16 v76, v125, v147, v76 op_sel:[0,1,0]
	v_pk_fma_f16 v77, v125, v148, v77 op_sel_hi:[1,0,1]
	;; [unrolled: 3-line block ×3, first 2 shown]
	v_pk_fma_f16 v85, v143, v152, v61 op_sel:[0,1,0]
	v_pk_fma_f16 v87, v144, v152, v62 op_sel:[0,1,0]
	;; [unrolled: 1-line block ×4, first 2 shown]
	v_pk_fma_f16 v93, v156, v153, v64 op_sel_hi:[1,0,1]
	v_pk_fma_f16 v96, v156, v154, v58 op_sel:[0,1,0]
	v_pk_fma_f16 v98, v157, v154, v59 op_sel:[0,1,0]
	;; [unrolled: 1-line block ×3, first 2 shown]
	s_waitcnt vmcnt(3)
	ds_store_b128 v44, v[163:166]
	s_waitcnt vmcnt(2)
	ds_store_b128 v45, v[167:170]
	;; [unrolled: 2-line block ×4, first 2 shown]
	s_waitcnt lgkmcnt(0)
	s_barrier
	buffer_gl0_inv
	ds_load_2addr_b64 v[57:60], v65 offset1:32
	ds_load_b128 v[61:64], v43 offset:512
	v_pk_fma_f16 v73, v127, v147, v73 op_sel_hi:[1,0,1]
	v_pk_fma_f16 v66, v128, v147, v66 op_sel_hi:[1,0,1]
	v_pk_fma_f16 v8, v128, v147, v8 op_sel:[0,1,0]
	v_pk_fma_f16 v9, v128, v148, v9 op_sel_hi:[1,0,1]
	v_pk_fma_f16 v67, v129, v147, v67 op_sel_hi:[1,0,1]
	v_pk_fma_f16 v68, v130, v147, v68 op_sel_hi:[1,0,1]
	v_pk_fma_f16 v4, v130, v147, v4 op_sel:[0,1,0]
	v_pk_fma_f16 v6, v130, v148, v6 op_sel_hi:[1,0,1]
	v_pk_fma_f16 v5, v130, v148, v5 op_sel:[0,1,0]
	v_pk_fma_f16 v80, v103, v111, v80 op_sel:[0,1,0]
	v_pk_fma_f16 v81, v103, v112, v81 op_sel_hi:[1,0,1]
	v_pk_fma_f16 v74, v129, v147, v74 op_sel:[0,1,0]
	v_pk_fma_f16 v75, v129, v148, v75 op_sel_hi:[1,0,1]
	v_pk_fma_f16 v7, v131, v149, v7 op_sel_hi:[1,0,1]
	v_pk_fma_f16 v10, v131, v149, v10 op_sel:[0,1,0]
	v_pk_fma_f16 v11, v131, v150, v11 op_sel_hi:[1,0,1]
	v_pk_fma_f16 v69, v132, v149, v69 op_sel:[0,1,0]
	v_pk_fma_f16 v70, v132, v150, v70 op_sel_hi:[1,0,1]
	v_pk_fma_f16 v71, v133, v149, v71 op_sel_hi:[1,0,1]
	v_pk_fma_f16 v76, v133, v149, v76 op_sel:[0,1,0]
	v_pk_fma_f16 v77, v133, v150, v77 op_sel_hi:[1,0,1]
	v_pk_fma_f16 v72, v134, v149, v72 op_sel_hi:[1,0,1]
	v_pk_fma_f16 v78, v134, v149, v78 op_sel:[0,1,0]
	v_pk_fma_f16 v79, v134, v150, v79 op_sel_hi:[1,0,1]
	v_pk_fma_f16 v73, v135, v149, v73 op_sel_hi:[1,0,1]
	v_pk_fma_f16 v66, v136, v149, v66 op_sel_hi:[1,0,1]
	v_pk_fma_f16 v8, v136, v149, v8 op_sel:[0,1,0]
	v_pk_fma_f16 v9, v136, v150, v9 op_sel_hi:[1,0,1]
	v_pk_fma_f16 v67, v137, v149, v67 op_sel_hi:[1,0,1]
	v_pk_fma_f16 v68, v138, v149, v68 op_sel_hi:[1,0,1]
	v_pk_fma_f16 v4, v138, v149, v4 op_sel:[0,1,0]
	v_pk_fma_f16 v6, v138, v150, v6 op_sel_hi:[1,0,1]
	v_pk_fma_f16 v5, v138, v150, v5 op_sel:[0,1,0]
	v_pk_fma_f16 v80, v119, v113, v80 op_sel:[0,1,0]
	v_pk_fma_f16 v81, v119, v114, v81 op_sel_hi:[1,0,1]
	v_pk_fma_f16 v74, v137, v149, v74 op_sel:[0,1,0]
	v_pk_fma_f16 v75, v137, v150, v75 op_sel_hi:[1,0,1]
	v_pk_fma_f16 v7, v139, v151, v7 op_sel_hi:[1,0,1]
	v_pk_fma_f16 v10, v139, v151, v10 op_sel:[0,1,0]
	v_pk_fma_f16 v11, v139, v152, v11 op_sel_hi:[1,0,1]
	v_pk_fma_f16 v69, v140, v151, v69 op_sel:[0,1,0]
	v_pk_fma_f16 v70, v140, v152, v70 op_sel_hi:[1,0,1]
	v_pk_fma_f16 v71, v141, v151, v71 op_sel_hi:[1,0,1]
	v_pk_fma_f16 v76, v141, v151, v76 op_sel:[0,1,0]
	v_pk_fma_f16 v77, v141, v152, v77 op_sel_hi:[1,0,1]
	v_pk_fma_f16 v72, v142, v151, v72 op_sel_hi:[1,0,1]
	v_pk_fma_f16 v78, v142, v151, v78 op_sel:[0,1,0]
	v_pk_fma_f16 v79, v142, v152, v79 op_sel_hi:[1,0,1]
	;; [unrolled: 24-line block ×3, first 2 shown]
	v_pk_fma_f16 v101, v159, v153, v73 op_sel_hi:[1,0,1]
	v_pk_fma_f16 v102, v160, v153, v66 op_sel_hi:[1,0,1]
	v_pk_fma_f16 v103, v160, v153, v8 op_sel:[0,1,0]
	v_pk_fma_f16 v104, v160, v154, v9 op_sel_hi:[1,0,1]
	v_pk_fma_f16 v105, v161, v153, v67 op_sel_hi:[1,0,1]
	;; [unrolled: 1-line block ×3, first 2 shown]
	v_pk_fma_f16 v109, v162, v153, v4 op_sel:[0,1,0]
	v_pk_fma_f16 v110, v162, v154, v6 op_sel_hi:[1,0,1]
	v_pk_fma_f16 v111, v162, v154, v5 op_sel:[0,1,0]
	ds_load_2addr_b64 v[66:69], v65 offset0:64 offset1:96
	ds_load_b128 v[70:73], v43 offset:528
	ds_load_b128 v[8:11], v43 offset:544
	;; [unrolled: 1-line block ×3, first 2 shown]
	v_pk_fma_f16 v80, v135, v149, v80 op_sel:[0,1,0]
	v_pk_fma_f16 v81, v135, v150, v81 op_sel_hi:[1,0,1]
	v_pk_fma_f16 v106, v161, v153, v74 op_sel:[0,1,0]
	v_pk_fma_f16 v107, v161, v154, v75 op_sel_hi:[1,0,1]
	s_waitcnt lgkmcnt(4)
	v_pk_fma_f16 v89, v57, v61, v89 op_sel_hi:[1,0,1]
	v_pk_fma_f16 v90, v57, v61, v90 op_sel:[0,1,0]
	v_pk_fma_f16 v91, v57, v62, v91 op_sel_hi:[1,0,1]
	v_pk_fma_f16 v92, v57, v62, v92 op_sel:[0,1,0]
	;; [unrolled: 2-line block ×7, first 2 shown]
	ds_load_2addr_b64 v[74:77], v65 offset0:128 offset1:160
	v_pk_fma_f16 v79, v60, v62, v79 op_sel_hi:[1,0,1]
	v_pk_fma_f16 v100, v60, v62, v100 op_sel:[0,1,0]
	ds_load_2addr_b64 v[57:60], v65 offset0:192 offset1:224
	v_pk_fma_f16 v80, v143, v151, v80 op_sel:[0,1,0]
	v_pk_fma_f16 v81, v143, v152, v81 op_sel_hi:[1,0,1]
	v_pk_fma_f16 v85, v159, v154, v85 op_sel:[0,1,0]
	v_pk_fma_f16 v87, v160, v154, v87 op_sel:[0,1,0]
	;; [unrolled: 1-line block ×4, first 2 shown]
	v_pk_fma_f16 v81, v159, v154, v81 op_sel_hi:[1,0,1]
	s_waitcnt lgkmcnt(5)
	v_pk_fma_f16 v101, v66, v61, v101 op_sel_hi:[1,0,1]
	v_pk_fma_f16 v85, v66, v62, v85 op_sel:[0,1,0]
	v_pk_fma_f16 v102, v67, v61, v102 op_sel_hi:[1,0,1]
	v_pk_fma_f16 v80, v66, v61, v80 op_sel:[0,1,0]
	;; [unrolled: 2-line block ×8, first 2 shown]
	ds_load_2addr_b64 v[66:69], v54 offset1:32
	s_waitcnt lgkmcnt(2)
	v_pk_fma_f16 v89, v74, v63, v89 op_sel_hi:[1,0,1]
	v_pk_fma_f16 v90, v74, v63, v90 op_sel:[0,1,0]
	v_pk_fma_f16 v91, v74, v64, v91 op_sel_hi:[1,0,1]
	v_pk_fma_f16 v92, v74, v64, v92 op_sel:[0,1,0]
	;; [unrolled: 2-line block ×8, first 2 shown]
	s_waitcnt lgkmcnt(1)
	v_pk_fma_f16 v101, v57, v63, v101 op_sel_hi:[1,0,1]
	v_pk_fma_f16 v80, v57, v63, v80 op_sel:[0,1,0]
	v_pk_fma_f16 v81, v57, v64, v81 op_sel_hi:[1,0,1]
	v_pk_fma_f16 v85, v57, v64, v85 op_sel:[0,1,0]
	;; [unrolled: 2-line block ×7, first 2 shown]
	ds_load_2addr_b64 v[74:77], v54 offset0:64 offset1:96
	v_pk_fma_f16 v109, v60, v64, v109 op_sel_hi:[1,0,1]
	v_pk_fma_f16 v112, v60, v64, v62 op_sel:[0,1,0]
	ds_load_2addr_b64 v[57:60], v54 offset0:128 offset1:160
	s_waitcnt lgkmcnt(2)
	v_pk_fma_f16 v89, v66, v70, v89 op_sel_hi:[1,0,1]
	v_pk_fma_f16 v90, v66, v70, v90 op_sel:[0,1,0]
	v_pk_fma_f16 v91, v66, v71, v91 op_sel_hi:[1,0,1]
	v_pk_fma_f16 v66, v66, v71, v92 op_sel:[0,1,0]
	;; [unrolled: 2-line block ×8, first 2 shown]
	s_waitcnt lgkmcnt(1)
	v_pk_fma_f16 v100, v74, v70, v101 op_sel_hi:[1,0,1]
	v_pk_fma_f16 v80, v74, v70, v80 op_sel:[0,1,0]
	v_pk_fma_f16 v81, v74, v71, v81 op_sel_hi:[1,0,1]
	v_pk_fma_f16 v74, v74, v71, v85 op_sel:[0,1,0]
	v_pk_fma_f16 v85, v75, v70, v102 op_sel_hi:[1,0,1]
	v_pk_fma_f16 v101, v75, v70, v103 op_sel:[0,1,0]
	v_pk_fma_f16 v102, v75, v71, v104 op_sel_hi:[1,0,1]
	v_pk_fma_f16 v75, v75, v71, v87 op_sel:[0,1,0]
	v_pk_fma_f16 v87, v76, v70, v105 op_sel_hi:[1,0,1]
	v_pk_fma_f16 v103, v76, v70, v106 op_sel:[0,1,0]
	v_pk_fma_f16 v104, v76, v71, v107 op_sel_hi:[1,0,1]
	v_pk_fma_f16 v76, v76, v71, v88 op_sel:[0,1,0]
	v_pk_fma_f16 v88, v77, v70, v108 op_sel_hi:[1,0,1]
	v_pk_fma_f16 v70, v77, v70, v61 op_sel:[0,1,0]
	ds_load_2addr_b64 v[61:64], v54 offset0:192 offset1:224
	v_pk_fma_f16 v105, v77, v71, v109 op_sel_hi:[1,0,1]
	v_pk_fma_f16 v71, v77, v71, v112 op_sel:[0,1,0]
	s_waitcnt lgkmcnt(1)
	v_pk_fma_f16 v77, v57, v72, v89 op_sel_hi:[1,0,1]
	v_pk_fma_f16 v89, v57, v72, v90 op_sel:[0,1,0]
	v_pk_fma_f16 v90, v57, v73, v91 op_sel_hi:[1,0,1]
	v_pk_fma_f16 v91, v57, v73, v66 op_sel:[0,1,0]
	v_pk_fma_f16 v106, v58, v73, v67 op_sel:[0,1,0]
	;; [unrolled: 1-line block ×3, first 2 shown]
	ds_load_2addr_b64 v[66:69], v55 offset1:32
	v_pk_fma_f16 v92, v58, v72, v92 op_sel_hi:[1,0,1]
	v_pk_fma_f16 v93, v58, v72, v93 op_sel:[0,1,0]
	v_pk_fma_f16 v94, v58, v73, v94 op_sel_hi:[1,0,1]
	v_pk_fma_f16 v95, v59, v72, v95 op_sel_hi:[1,0,1]
	v_pk_fma_f16 v96, v59, v72, v96 op_sel:[0,1,0]
	v_pk_fma_f16 v97, v59, v73, v97 op_sel_hi:[1,0,1]
	;; [unrolled: 3-line block ×3, first 2 shown]
	v_pk_fma_f16 v99, v60, v73, v99 op_sel:[0,1,0]
	ds_load_2addr_b64 v[57:60], v55 offset0:64 offset1:96
	s_or_b32 s8, s3, 0x50
	s_waitcnt lgkmcnt(2)
	v_pk_fma_f16 v100, v61, v72, v100 op_sel_hi:[1,0,1]
	v_pk_fma_f16 v80, v61, v72, v80 op_sel:[0,1,0]
	v_pk_fma_f16 v81, v61, v73, v81 op_sel_hi:[1,0,1]
	v_pk_fma_f16 v74, v61, v73, v74 op_sel:[0,1,0]
	;; [unrolled: 2-line block ×8, first 2 shown]
	s_waitcnt lgkmcnt(1)
	v_pk_fma_f16 v73, v66, v8, v77 op_sel_hi:[1,0,1]
	v_pk_fma_f16 v77, v66, v8, v89 op_sel:[0,1,0]
	v_pk_fma_f16 v89, v66, v9, v90 op_sel_hi:[1,0,1]
	v_pk_fma_f16 v90, v66, v9, v91 op_sel:[0,1,0]
	;; [unrolled: 2-line block ×7, first 2 shown]
	ds_load_2addr_b64 v[61:64], v55 offset0:128 offset1:160
	v_pk_fma_f16 v79, v69, v9, v79 op_sel_hi:[1,0,1]
	v_pk_fma_f16 v99, v69, v9, v99 op_sel:[0,1,0]
	ds_load_2addr_b64 v[66:69], v55 offset0:192 offset1:224
	s_mul_hi_i32 s21, s8, s10
	s_mul_i32 s20, s8, s10
	s_waitcnt lgkmcnt(2)
	v_pk_fma_f16 v100, v57, v8, v100 op_sel_hi:[1,0,1]
	s_lshl_b64 s[20:21], s[20:21], 2
	v_pk_fma_f16 v80, v57, v8, v80 op_sel:[0,1,0]
	s_add_u32 s8, s11, s20
	v_pk_fma_f16 v81, v57, v9, v81 op_sel_hi:[1,0,1]
	v_pk_fma_f16 v57, v57, v9, v74 op_sel:[0,1,0]
	v_pk_fma_f16 v74, v58, v8, v85 op_sel_hi:[1,0,1]
	v_pk_fma_f16 v85, v58, v8, v101 op_sel:[0,1,0]
	;; [unrolled: 2-line block ×4, first 2 shown]
	s_addc_u32 s20, s17, s21
	v_add_co_u32 v8, vcc_lo, s8, v27
	v_pk_fma_f16 v179, v58, v9, v102 op_sel_hi:[1,0,1]
	v_pk_fma_f16 v180, v58, v9, v75 op_sel:[0,1,0]
	v_pk_fma_f16 v183, v59, v9, v104 op_sel_hi:[1,0,1]
	v_pk_fma_f16 v184, v59, v9, v76 op_sel:[0,1,0]
	;; [unrolled: 2-line block ×3, first 2 shown]
	v_add_co_ci_u32_e32 v9, vcc_lo, s20, v28, vcc_lo
	v_add_co_u32 v163, vcc_lo, s8, v29
	v_add_co_ci_u32_e32 v164, vcc_lo, s20, v30, vcc_lo
	v_add_co_u32 v8, vcc_lo, v8, v40
	s_delay_alu instid0(VALU_DEP_4) | instskip(NEXT) | instid1(VALU_DEP_4)
	v_add_co_ci_u32_e32 v9, vcc_lo, 0, v9, vcc_lo
	v_add_co_u32 v175, vcc_lo, v163, v40
	s_delay_alu instid0(VALU_DEP_4)
	v_add_co_ci_u32_e32 v176, vcc_lo, 0, v164, vcc_lo
	s_waitcnt lgkmcnt(1)
	v_pk_fma_f16 v189, v61, v10, v73 op_sel_hi:[1,0,1]
	v_pk_fma_f16 v190, v61, v10, v77 op_sel:[0,1,0]
	v_pk_fma_f16 v191, v61, v11, v89 op_sel_hi:[1,0,1]
	v_pk_fma_f16 v192, v61, v11, v90 op_sel:[0,1,0]
	;; [unrolled: 2-line block ×8, first 2 shown]
	s_waitcnt lgkmcnt(0)
	v_pk_fma_f16 v205, v66, v10, v100 op_sel_hi:[1,0,1]
	v_pk_fma_f16 v206, v66, v10, v80 op_sel:[0,1,0]
	v_pk_fma_f16 v207, v66, v11, v81 op_sel_hi:[1,0,1]
	v_pk_fma_f16 v66, v66, v11, v57 op_sel:[0,1,0]
	v_pk_fma_f16 v208, v67, v10, v74 op_sel_hi:[1,0,1]
	ds_load_2addr_b64 v[57:60], v56 offset1:32
	ds_load_2addr_b64 v[61:64], v56 offset0:64 offset1:96
	ds_load_2addr_b64 v[70:73], v56 offset0:128 offset1:160
	;; [unrolled: 1-line block ×3, first 2 shown]
	ds_load_2addr_b64 v[78:81], v53 offset1:32
	ds_load_2addr_b64 v[87:90], v53 offset0:64 offset1:96
	ds_load_2addr_b64 v[91:94], v53 offset0:128 offset1:160
	;; [unrolled: 1-line block ×3, first 2 shown]
	ds_load_2addr_b64 v[99:102], v52 offset1:32
	ds_load_2addr_b64 v[103:106], v52 offset0:64 offset1:96
	ds_load_b128 v[107:110], v43 offset:576
	ds_load_b128 v[111:114], v43 offset:592
	ds_load_2addr_b64 v[115:118], v52 offset0:128 offset1:160
	ds_load_2addr_b64 v[119:122], v52 offset0:192 offset1:224
	ds_load_2addr_b64 v[123:126], v50 offset1:32
	ds_load_2addr_b64 v[127:130], v50 offset0:64 offset1:96
	ds_load_2addr_b64 v[131:134], v50 offset0:128 offset1:160
	;; [unrolled: 1-line block ×3, first 2 shown]
	ds_load_2addr_b64 v[139:142], v49 offset1:32
	ds_load_2addr_b64 v[143:146], v49 offset0:64 offset1:96
	ds_load_b128 v[147:150], v43 offset:608
	ds_load_b128 v[151:154], v43 offset:624
	ds_load_2addr_b64 v[155:158], v49 offset0:128 offset1:160
	ds_load_2addr_b64 v[159:162], v49 offset0:192 offset1:224
	s_waitcnt lgkmcnt(0)
	s_barrier
	buffer_gl0_inv
	s_clause 0x3
	global_load_b128 v[163:166], v[8:9], off
	global_load_b128 v[167:170], v[8:9], off offset:512
	global_load_b128 v[171:174], v[175:176], off
	global_load_b128 v[175:178], v[175:176], off offset:512
	v_pk_fma_f16 v8, v67, v10, v85 op_sel:[0,1,0]
	v_pk_fma_f16 v9, v67, v11, v179 op_sel_hi:[1,0,1]
	v_pk_fma_f16 v67, v67, v11, v180 op_sel:[0,1,0]
	v_pk_fma_f16 v85, v68, v10, v181 op_sel_hi:[1,0,1]
	;; [unrolled: 2-line block ×24, first 2 shown]
	v_pk_fma_f16 v58, v71, v7, v58 op_sel:[0,1,0]
	v_pk_fma_f16 v59, v72, v7, v59 op_sel:[0,1,0]
	v_pk_fma_f16 v60, v73, v7, v60 op_sel:[0,1,0]
	v_pk_fma_f16 v180, v71, v6, v186 op_sel:[0,1,0]
	v_pk_fma_f16 v181, v71, v7, v187 op_sel_hi:[1,0,1]
	v_pk_fma_f16 v71, v72, v6, v188 op_sel_hi:[1,0,1]
	v_pk_fma_f16 v182, v72, v6, v189 op_sel:[0,1,0]
	v_pk_fma_f16 v183, v72, v7, v190 op_sel_hi:[1,0,1]
	v_pk_fma_f16 v72, v73, v6, v191 op_sel_hi:[1,0,1]
	v_pk_fma_f16 v184, v73, v6, v192 op_sel:[0,1,0]
	;; [unrolled: 3-line block ×3, first 2 shown]
	v_pk_fma_f16 v187, v74, v7, v196 op_sel_hi:[1,0,1]
	v_pk_fma_f16 v61, v74, v7, v61 op_sel:[0,1,0]
	v_pk_fma_f16 v66, v75, v6, v66 op_sel_hi:[1,0,1]
	v_pk_fma_f16 v8, v75, v6, v8 op_sel:[0,1,0]
	v_pk_fma_f16 v62, v75, v7, v62 op_sel:[0,1,0]
	v_pk_fma_f16 v67, v76, v6, v67 op_sel_hi:[1,0,1]
	v_pk_fma_f16 v74, v76, v6, v85 op_sel:[0,1,0]
	;; [unrolled: 3-line block ×3, first 2 shown]
	v_pk_fma_f16 v6, v77, v7, v10 op_sel_hi:[1,0,1]
	v_pk_fma_f16 v10, v78, v107, v64 op_sel:[0,1,0]
	v_pk_fma_f16 v57, v78, v108, v57 op_sel:[0,1,0]
	v_pk_fma_f16 v64, v79, v107, v70 op_sel_hi:[1,0,1]
	v_pk_fma_f16 v58, v79, v108, v58 op_sel:[0,1,0]
	v_pk_fma_f16 v59, v80, v108, v59 op_sel:[0,1,0]
	v_pk_fma_f16 v60, v81, v108, v60 op_sel:[0,1,0]
	v_pk_fma_f16 v61, v87, v108, v61 op_sel:[0,1,0]
	v_pk_fma_f16 v62, v88, v108, v62 op_sel:[0,1,0]
	v_pk_fma_f16 v63, v89, v108, v63 op_sel:[0,1,0]
	v_pk_fma_f16 v57, v91, v110, v57 op_sel:[0,1,0]
	v_pk_fma_f16 v64, v92, v109, v64 op_sel_hi:[1,0,1]
	v_pk_fma_f16 v58, v92, v110, v58 op_sel:[0,1,0]
	v_pk_fma_f16 v59, v93, v110, v59 op_sel:[0,1,0]
	;; [unrolled: 1-line block ×7, first 2 shown]
	v_pk_fma_f16 v64, v100, v111, v64 op_sel_hi:[1,0,1]
	v_pk_fma_f16 v58, v100, v112, v58 op_sel:[0,1,0]
	v_pk_fma_f16 v59, v101, v112, v59 op_sel:[0,1,0]
	;; [unrolled: 1-line block ×3, first 2 shown]
	v_pk_fma_f16 v9, v75, v7, v9 op_sel_hi:[1,0,1]
	v_pk_fma_f16 v5, v77, v7, v5 op_sel:[0,1,0]
	v_pk_fma_f16 v75, v76, v7, v179 op_sel_hi:[1,0,1]
	v_pk_fma_f16 v7, v78, v107, v11 op_sel_hi:[1,0,1]
	;; [unrolled: 1-line block ×3, first 2 shown]
	v_pk_fma_f16 v69, v79, v107, v180 op_sel:[0,1,0]
	v_pk_fma_f16 v70, v79, v108, v181 op_sel_hi:[1,0,1]
	v_pk_fma_f16 v71, v80, v107, v71 op_sel_hi:[1,0,1]
	v_pk_fma_f16 v76, v80, v107, v182 op_sel:[0,1,0]
	v_pk_fma_f16 v77, v80, v108, v183 op_sel_hi:[1,0,1]
	v_pk_fma_f16 v72, v81, v107, v72 op_sel_hi:[1,0,1]
	v_pk_fma_f16 v78, v81, v107, v184 op_sel:[0,1,0]
	v_pk_fma_f16 v79, v81, v108, v185 op_sel_hi:[1,0,1]
	v_pk_fma_f16 v61, v103, v112, v61 op_sel:[0,1,0]
	v_pk_fma_f16 v62, v104, v112, v62 op_sel:[0,1,0]
	;; [unrolled: 1-line block ×4, first 2 shown]
	v_pk_fma_f16 v64, v116, v113, v64 op_sel_hi:[1,0,1]
	v_pk_fma_f16 v58, v116, v114, v58 op_sel:[0,1,0]
	v_pk_fma_f16 v59, v117, v114, v59 op_sel:[0,1,0]
	;; [unrolled: 1-line block ×3, first 2 shown]
	v_pk_fma_f16 v73, v87, v107, v73 op_sel_hi:[1,0,1]
	v_pk_fma_f16 v66, v88, v107, v66 op_sel_hi:[1,0,1]
	v_pk_fma_f16 v8, v88, v107, v8 op_sel:[0,1,0]
	v_pk_fma_f16 v9, v88, v108, v9 op_sel_hi:[1,0,1]
	v_pk_fma_f16 v67, v89, v107, v67 op_sel_hi:[1,0,1]
	;; [unrolled: 1-line block ×3, first 2 shown]
	v_pk_fma_f16 v4, v90, v107, v4 op_sel:[0,1,0]
	v_pk_fma_f16 v6, v90, v108, v6 op_sel_hi:[1,0,1]
	v_pk_fma_f16 v5, v90, v108, v5 op_sel:[0,1,0]
	v_pk_fma_f16 v74, v89, v107, v74 op_sel:[0,1,0]
	v_pk_fma_f16 v75, v89, v108, v75 op_sel_hi:[1,0,1]
	v_pk_fma_f16 v7, v91, v109, v7 op_sel_hi:[1,0,1]
	v_pk_fma_f16 v10, v91, v109, v10 op_sel:[0,1,0]
	v_pk_fma_f16 v11, v91, v110, v11 op_sel_hi:[1,0,1]
	v_pk_fma_f16 v69, v92, v109, v69 op_sel:[0,1,0]
	v_pk_fma_f16 v70, v92, v110, v70 op_sel_hi:[1,0,1]
	v_pk_fma_f16 v71, v93, v109, v71 op_sel_hi:[1,0,1]
	v_pk_fma_f16 v76, v93, v109, v76 op_sel:[0,1,0]
	v_pk_fma_f16 v77, v93, v110, v77 op_sel_hi:[1,0,1]
	;; [unrolled: 3-line block ×3, first 2 shown]
	v_pk_fma_f16 v61, v119, v114, v61 op_sel:[0,1,0]
	v_pk_fma_f16 v62, v120, v114, v62 op_sel:[0,1,0]
	;; [unrolled: 1-line block ×4, first 2 shown]
	v_pk_fma_f16 v64, v124, v147, v64 op_sel_hi:[1,0,1]
	v_pk_fma_f16 v58, v124, v148, v58 op_sel:[0,1,0]
	v_pk_fma_f16 v59, v125, v148, v59 op_sel:[0,1,0]
	;; [unrolled: 1-line block ×3, first 2 shown]
	v_pk_fma_f16 v73, v95, v109, v73 op_sel_hi:[1,0,1]
	v_pk_fma_f16 v66, v96, v109, v66 op_sel_hi:[1,0,1]
	v_pk_fma_f16 v8, v96, v109, v8 op_sel:[0,1,0]
	v_pk_fma_f16 v9, v96, v110, v9 op_sel_hi:[1,0,1]
	v_pk_fma_f16 v67, v97, v109, v67 op_sel_hi:[1,0,1]
	;; [unrolled: 1-line block ×3, first 2 shown]
	v_pk_fma_f16 v4, v98, v109, v4 op_sel:[0,1,0]
	v_pk_fma_f16 v6, v98, v110, v6 op_sel_hi:[1,0,1]
	v_pk_fma_f16 v5, v98, v110, v5 op_sel:[0,1,0]
	v_pk_fma_f16 v74, v97, v109, v74 op_sel:[0,1,0]
	v_pk_fma_f16 v75, v97, v110, v75 op_sel_hi:[1,0,1]
	v_pk_fma_f16 v7, v99, v111, v7 op_sel_hi:[1,0,1]
	v_pk_fma_f16 v10, v99, v111, v10 op_sel:[0,1,0]
	v_pk_fma_f16 v11, v99, v112, v11 op_sel_hi:[1,0,1]
	v_pk_fma_f16 v69, v100, v111, v69 op_sel:[0,1,0]
	v_pk_fma_f16 v70, v100, v112, v70 op_sel_hi:[1,0,1]
	v_pk_fma_f16 v71, v101, v111, v71 op_sel_hi:[1,0,1]
	v_pk_fma_f16 v76, v101, v111, v76 op_sel:[0,1,0]
	v_pk_fma_f16 v77, v101, v112, v77 op_sel_hi:[1,0,1]
	;; [unrolled: 3-line block ×3, first 2 shown]
	v_pk_fma_f16 v61, v127, v148, v61 op_sel:[0,1,0]
	v_pk_fma_f16 v62, v128, v148, v62 op_sel:[0,1,0]
	;; [unrolled: 1-line block ×4, first 2 shown]
	v_pk_fma_f16 v64, v132, v149, v64 op_sel_hi:[1,0,1]
	v_pk_fma_f16 v58, v132, v150, v58 op_sel:[0,1,0]
	v_pk_fma_f16 v59, v133, v150, v59 op_sel:[0,1,0]
	;; [unrolled: 1-line block ×3, first 2 shown]
	v_pk_fma_f16 v73, v103, v111, v73 op_sel_hi:[1,0,1]
	v_pk_fma_f16 v66, v104, v111, v66 op_sel_hi:[1,0,1]
	v_pk_fma_f16 v8, v104, v111, v8 op_sel:[0,1,0]
	v_pk_fma_f16 v9, v104, v112, v9 op_sel_hi:[1,0,1]
	v_pk_fma_f16 v67, v105, v111, v67 op_sel_hi:[1,0,1]
	;; [unrolled: 1-line block ×3, first 2 shown]
	v_pk_fma_f16 v4, v106, v111, v4 op_sel:[0,1,0]
	v_pk_fma_f16 v6, v106, v112, v6 op_sel_hi:[1,0,1]
	v_pk_fma_f16 v5, v106, v112, v5 op_sel:[0,1,0]
	v_pk_fma_f16 v80, v87, v107, v186 op_sel:[0,1,0]
	v_pk_fma_f16 v81, v87, v108, v187 op_sel_hi:[1,0,1]
	v_pk_fma_f16 v74, v105, v111, v74 op_sel:[0,1,0]
	v_pk_fma_f16 v75, v105, v112, v75 op_sel_hi:[1,0,1]
	v_pk_fma_f16 v7, v115, v113, v7 op_sel_hi:[1,0,1]
	v_pk_fma_f16 v10, v115, v113, v10 op_sel:[0,1,0]
	v_pk_fma_f16 v11, v115, v114, v11 op_sel_hi:[1,0,1]
	v_pk_fma_f16 v69, v116, v113, v69 op_sel:[0,1,0]
	v_pk_fma_f16 v70, v116, v114, v70 op_sel_hi:[1,0,1]
	v_pk_fma_f16 v71, v117, v113, v71 op_sel_hi:[1,0,1]
	v_pk_fma_f16 v76, v117, v113, v76 op_sel:[0,1,0]
	v_pk_fma_f16 v77, v117, v114, v77 op_sel_hi:[1,0,1]
	;; [unrolled: 3-line block ×3, first 2 shown]
	v_pk_fma_f16 v61, v135, v150, v61 op_sel:[0,1,0]
	v_pk_fma_f16 v62, v136, v150, v62 op_sel:[0,1,0]
	;; [unrolled: 1-line block ×4, first 2 shown]
	v_pk_fma_f16 v64, v140, v151, v64 op_sel_hi:[1,0,1]
	v_pk_fma_f16 v58, v140, v152, v58 op_sel:[0,1,0]
	v_pk_fma_f16 v59, v141, v152, v59 op_sel:[0,1,0]
	;; [unrolled: 1-line block ×3, first 2 shown]
	v_pk_fma_f16 v73, v119, v113, v73 op_sel_hi:[1,0,1]
	v_pk_fma_f16 v66, v120, v113, v66 op_sel_hi:[1,0,1]
	v_pk_fma_f16 v8, v120, v113, v8 op_sel:[0,1,0]
	v_pk_fma_f16 v9, v120, v114, v9 op_sel_hi:[1,0,1]
	v_pk_fma_f16 v67, v121, v113, v67 op_sel_hi:[1,0,1]
	;; [unrolled: 1-line block ×3, first 2 shown]
	v_pk_fma_f16 v4, v122, v113, v4 op_sel:[0,1,0]
	v_pk_fma_f16 v6, v122, v114, v6 op_sel_hi:[1,0,1]
	v_pk_fma_f16 v5, v122, v114, v5 op_sel:[0,1,0]
	v_pk_fma_f16 v80, v95, v109, v80 op_sel:[0,1,0]
	v_pk_fma_f16 v81, v95, v110, v81 op_sel_hi:[1,0,1]
	v_pk_fma_f16 v74, v121, v113, v74 op_sel:[0,1,0]
	v_pk_fma_f16 v75, v121, v114, v75 op_sel_hi:[1,0,1]
	v_pk_fma_f16 v7, v123, v147, v7 op_sel_hi:[1,0,1]
	v_pk_fma_f16 v10, v123, v147, v10 op_sel:[0,1,0]
	v_pk_fma_f16 v11, v123, v148, v11 op_sel_hi:[1,0,1]
	v_pk_fma_f16 v69, v124, v147, v69 op_sel:[0,1,0]
	v_pk_fma_f16 v70, v124, v148, v70 op_sel_hi:[1,0,1]
	v_pk_fma_f16 v71, v125, v147, v71 op_sel_hi:[1,0,1]
	v_pk_fma_f16 v76, v125, v147, v76 op_sel:[0,1,0]
	v_pk_fma_f16 v77, v125, v148, v77 op_sel_hi:[1,0,1]
	v_pk_fma_f16 v72, v126, v147, v72 op_sel_hi:[1,0,1]
	v_pk_fma_f16 v78, v126, v147, v78 op_sel:[0,1,0]
	v_pk_fma_f16 v79, v126, v148, v79 op_sel_hi:[1,0,1]
	v_pk_fma_f16 v85, v143, v152, v61 op_sel:[0,1,0]
	v_pk_fma_f16 v87, v144, v152, v62 op_sel:[0,1,0]
	;; [unrolled: 1-line block ×4, first 2 shown]
	v_pk_fma_f16 v93, v156, v153, v64 op_sel_hi:[1,0,1]
	v_pk_fma_f16 v96, v156, v154, v58 op_sel:[0,1,0]
	v_pk_fma_f16 v98, v157, v154, v59 op_sel:[0,1,0]
	;; [unrolled: 1-line block ×3, first 2 shown]
	s_waitcnt vmcnt(3)
	ds_store_b128 v44, v[163:166]
	s_waitcnt vmcnt(2)
	ds_store_b128 v45, v[167:170]
	;; [unrolled: 2-line block ×4, first 2 shown]
	s_waitcnt lgkmcnt(0)
	s_barrier
	buffer_gl0_inv
	ds_load_2addr_b64 v[57:60], v65 offset1:32
	ds_load_b128 v[61:64], v43 offset:640
	v_pk_fma_f16 v73, v127, v147, v73 op_sel_hi:[1,0,1]
	v_pk_fma_f16 v66, v128, v147, v66 op_sel_hi:[1,0,1]
	v_pk_fma_f16 v8, v128, v147, v8 op_sel:[0,1,0]
	v_pk_fma_f16 v9, v128, v148, v9 op_sel_hi:[1,0,1]
	v_pk_fma_f16 v67, v129, v147, v67 op_sel_hi:[1,0,1]
	v_pk_fma_f16 v68, v130, v147, v68 op_sel_hi:[1,0,1]
	v_pk_fma_f16 v4, v130, v147, v4 op_sel:[0,1,0]
	v_pk_fma_f16 v6, v130, v148, v6 op_sel_hi:[1,0,1]
	v_pk_fma_f16 v5, v130, v148, v5 op_sel:[0,1,0]
	v_pk_fma_f16 v80, v103, v111, v80 op_sel:[0,1,0]
	v_pk_fma_f16 v81, v103, v112, v81 op_sel_hi:[1,0,1]
	v_pk_fma_f16 v74, v129, v147, v74 op_sel:[0,1,0]
	v_pk_fma_f16 v75, v129, v148, v75 op_sel_hi:[1,0,1]
	v_pk_fma_f16 v7, v131, v149, v7 op_sel_hi:[1,0,1]
	v_pk_fma_f16 v10, v131, v149, v10 op_sel:[0,1,0]
	v_pk_fma_f16 v11, v131, v150, v11 op_sel_hi:[1,0,1]
	v_pk_fma_f16 v69, v132, v149, v69 op_sel:[0,1,0]
	v_pk_fma_f16 v70, v132, v150, v70 op_sel_hi:[1,0,1]
	v_pk_fma_f16 v71, v133, v149, v71 op_sel_hi:[1,0,1]
	v_pk_fma_f16 v76, v133, v149, v76 op_sel:[0,1,0]
	v_pk_fma_f16 v77, v133, v150, v77 op_sel_hi:[1,0,1]
	v_pk_fma_f16 v72, v134, v149, v72 op_sel_hi:[1,0,1]
	v_pk_fma_f16 v78, v134, v149, v78 op_sel:[0,1,0]
	v_pk_fma_f16 v79, v134, v150, v79 op_sel_hi:[1,0,1]
	v_pk_fma_f16 v73, v135, v149, v73 op_sel_hi:[1,0,1]
	v_pk_fma_f16 v66, v136, v149, v66 op_sel_hi:[1,0,1]
	v_pk_fma_f16 v8, v136, v149, v8 op_sel:[0,1,0]
	v_pk_fma_f16 v9, v136, v150, v9 op_sel_hi:[1,0,1]
	v_pk_fma_f16 v67, v137, v149, v67 op_sel_hi:[1,0,1]
	v_pk_fma_f16 v68, v138, v149, v68 op_sel_hi:[1,0,1]
	v_pk_fma_f16 v4, v138, v149, v4 op_sel:[0,1,0]
	v_pk_fma_f16 v6, v138, v150, v6 op_sel_hi:[1,0,1]
	v_pk_fma_f16 v5, v138, v150, v5 op_sel:[0,1,0]
	v_pk_fma_f16 v80, v119, v113, v80 op_sel:[0,1,0]
	v_pk_fma_f16 v81, v119, v114, v81 op_sel_hi:[1,0,1]
	v_pk_fma_f16 v74, v137, v149, v74 op_sel:[0,1,0]
	v_pk_fma_f16 v75, v137, v150, v75 op_sel_hi:[1,0,1]
	v_pk_fma_f16 v7, v139, v151, v7 op_sel_hi:[1,0,1]
	v_pk_fma_f16 v10, v139, v151, v10 op_sel:[0,1,0]
	v_pk_fma_f16 v11, v139, v152, v11 op_sel_hi:[1,0,1]
	v_pk_fma_f16 v69, v140, v151, v69 op_sel:[0,1,0]
	v_pk_fma_f16 v70, v140, v152, v70 op_sel_hi:[1,0,1]
	v_pk_fma_f16 v71, v141, v151, v71 op_sel_hi:[1,0,1]
	v_pk_fma_f16 v76, v141, v151, v76 op_sel:[0,1,0]
	v_pk_fma_f16 v77, v141, v152, v77 op_sel_hi:[1,0,1]
	v_pk_fma_f16 v72, v142, v151, v72 op_sel_hi:[1,0,1]
	v_pk_fma_f16 v78, v142, v151, v78 op_sel:[0,1,0]
	v_pk_fma_f16 v79, v142, v152, v79 op_sel_hi:[1,0,1]
	v_pk_fma_f16 v73, v143, v151, v73 op_sel_hi:[1,0,1]
	v_pk_fma_f16 v66, v144, v151, v66 op_sel_hi:[1,0,1]
	v_pk_fma_f16 v8, v144, v151, v8 op_sel:[0,1,0]
	v_pk_fma_f16 v9, v144, v152, v9 op_sel_hi:[1,0,1]
	v_pk_fma_f16 v67, v145, v151, v67 op_sel_hi:[1,0,1]
	v_pk_fma_f16 v68, v146, v151, v68 op_sel_hi:[1,0,1]
	v_pk_fma_f16 v4, v146, v151, v4 op_sel:[0,1,0]
	v_pk_fma_f16 v6, v146, v152, v6 op_sel_hi:[1,0,1]
	v_pk_fma_f16 v5, v146, v152, v5 op_sel:[0,1,0]
	v_pk_fma_f16 v80, v127, v147, v80 op_sel:[0,1,0]
	v_pk_fma_f16 v81, v127, v148, v81 op_sel_hi:[1,0,1]
	v_pk_fma_f16 v74, v145, v151, v74 op_sel:[0,1,0]
	v_pk_fma_f16 v75, v145, v152, v75 op_sel_hi:[1,0,1]
	v_pk_fma_f16 v89, v155, v153, v7 op_sel_hi:[1,0,1]
	v_pk_fma_f16 v90, v155, v153, v10 op_sel:[0,1,0]
	v_pk_fma_f16 v91, v155, v154, v11 op_sel_hi:[1,0,1]
	v_pk_fma_f16 v94, v156, v153, v69 op_sel:[0,1,0]
	v_pk_fma_f16 v95, v156, v154, v70 op_sel_hi:[1,0,1]
	v_pk_fma_f16 v97, v157, v153, v71 op_sel_hi:[1,0,1]
	v_pk_fma_f16 v76, v157, v153, v76 op_sel:[0,1,0]
	v_pk_fma_f16 v77, v157, v154, v77 op_sel_hi:[1,0,1]
	v_pk_fma_f16 v99, v158, v153, v72 op_sel_hi:[1,0,1]
	v_pk_fma_f16 v78, v158, v153, v78 op_sel:[0,1,0]
	v_pk_fma_f16 v79, v158, v154, v79 op_sel_hi:[1,0,1]
	v_pk_fma_f16 v101, v159, v153, v73 op_sel_hi:[1,0,1]
	v_pk_fma_f16 v102, v160, v153, v66 op_sel_hi:[1,0,1]
	v_pk_fma_f16 v103, v160, v153, v8 op_sel:[0,1,0]
	v_pk_fma_f16 v104, v160, v154, v9 op_sel_hi:[1,0,1]
	v_pk_fma_f16 v105, v161, v153, v67 op_sel_hi:[1,0,1]
	;; [unrolled: 1-line block ×3, first 2 shown]
	v_pk_fma_f16 v109, v162, v153, v4 op_sel:[0,1,0]
	v_pk_fma_f16 v110, v162, v154, v6 op_sel_hi:[1,0,1]
	v_pk_fma_f16 v111, v162, v154, v5 op_sel:[0,1,0]
	ds_load_2addr_b64 v[66:69], v65 offset0:64 offset1:96
	ds_load_b128 v[70:73], v43 offset:656
	ds_load_b128 v[8:11], v43 offset:672
	;; [unrolled: 1-line block ×3, first 2 shown]
	v_pk_fma_f16 v80, v135, v149, v80 op_sel:[0,1,0]
	v_pk_fma_f16 v81, v135, v150, v81 op_sel_hi:[1,0,1]
	v_pk_fma_f16 v106, v161, v153, v74 op_sel:[0,1,0]
	v_pk_fma_f16 v107, v161, v154, v75 op_sel_hi:[1,0,1]
	s_waitcnt lgkmcnt(4)
	v_pk_fma_f16 v89, v57, v61, v89 op_sel_hi:[1,0,1]
	v_pk_fma_f16 v90, v57, v61, v90 op_sel:[0,1,0]
	v_pk_fma_f16 v91, v57, v62, v91 op_sel_hi:[1,0,1]
	v_pk_fma_f16 v92, v57, v62, v92 op_sel:[0,1,0]
	;; [unrolled: 2-line block ×7, first 2 shown]
	ds_load_2addr_b64 v[74:77], v65 offset0:128 offset1:160
	v_pk_fma_f16 v79, v60, v62, v79 op_sel_hi:[1,0,1]
	v_pk_fma_f16 v100, v60, v62, v100 op_sel:[0,1,0]
	ds_load_2addr_b64 v[57:60], v65 offset0:192 offset1:224
	v_pk_fma_f16 v80, v143, v151, v80 op_sel:[0,1,0]
	v_pk_fma_f16 v81, v143, v152, v81 op_sel_hi:[1,0,1]
	v_pk_fma_f16 v85, v159, v154, v85 op_sel:[0,1,0]
	v_pk_fma_f16 v87, v160, v154, v87 op_sel:[0,1,0]
	;; [unrolled: 1-line block ×4, first 2 shown]
	v_pk_fma_f16 v81, v159, v154, v81 op_sel_hi:[1,0,1]
	s_waitcnt lgkmcnt(5)
	v_pk_fma_f16 v101, v66, v61, v101 op_sel_hi:[1,0,1]
	v_pk_fma_f16 v85, v66, v62, v85 op_sel:[0,1,0]
	v_pk_fma_f16 v102, v67, v61, v102 op_sel_hi:[1,0,1]
	v_pk_fma_f16 v80, v66, v61, v80 op_sel:[0,1,0]
	;; [unrolled: 2-line block ×8, first 2 shown]
	ds_load_2addr_b64 v[66:69], v54 offset1:32
	s_waitcnt lgkmcnt(2)
	v_pk_fma_f16 v89, v74, v63, v89 op_sel_hi:[1,0,1]
	v_pk_fma_f16 v90, v74, v63, v90 op_sel:[0,1,0]
	v_pk_fma_f16 v91, v74, v64, v91 op_sel_hi:[1,0,1]
	v_pk_fma_f16 v92, v74, v64, v92 op_sel:[0,1,0]
	;; [unrolled: 2-line block ×8, first 2 shown]
	s_waitcnt lgkmcnt(1)
	v_pk_fma_f16 v101, v57, v63, v101 op_sel_hi:[1,0,1]
	v_pk_fma_f16 v80, v57, v63, v80 op_sel:[0,1,0]
	v_pk_fma_f16 v81, v57, v64, v81 op_sel_hi:[1,0,1]
	v_pk_fma_f16 v85, v57, v64, v85 op_sel:[0,1,0]
	;; [unrolled: 2-line block ×7, first 2 shown]
	ds_load_2addr_b64 v[74:77], v54 offset0:64 offset1:96
	v_pk_fma_f16 v109, v60, v64, v109 op_sel_hi:[1,0,1]
	v_pk_fma_f16 v112, v60, v64, v62 op_sel:[0,1,0]
	ds_load_2addr_b64 v[57:60], v54 offset0:128 offset1:160
	s_waitcnt lgkmcnt(2)
	v_pk_fma_f16 v89, v66, v70, v89 op_sel_hi:[1,0,1]
	v_pk_fma_f16 v90, v66, v70, v90 op_sel:[0,1,0]
	v_pk_fma_f16 v91, v66, v71, v91 op_sel_hi:[1,0,1]
	v_pk_fma_f16 v66, v66, v71, v92 op_sel:[0,1,0]
	;; [unrolled: 2-line block ×8, first 2 shown]
	s_waitcnt lgkmcnt(1)
	v_pk_fma_f16 v100, v74, v70, v101 op_sel_hi:[1,0,1]
	v_pk_fma_f16 v80, v74, v70, v80 op_sel:[0,1,0]
	v_pk_fma_f16 v81, v74, v71, v81 op_sel_hi:[1,0,1]
	v_pk_fma_f16 v74, v74, v71, v85 op_sel:[0,1,0]
	;; [unrolled: 2-line block ×7, first 2 shown]
	ds_load_2addr_b64 v[61:64], v54 offset0:192 offset1:224
	v_pk_fma_f16 v105, v77, v71, v109 op_sel_hi:[1,0,1]
	v_pk_fma_f16 v71, v77, v71, v112 op_sel:[0,1,0]
	s_waitcnt lgkmcnt(1)
	v_pk_fma_f16 v77, v57, v72, v89 op_sel_hi:[1,0,1]
	v_pk_fma_f16 v89, v57, v72, v90 op_sel:[0,1,0]
	v_pk_fma_f16 v90, v57, v73, v91 op_sel_hi:[1,0,1]
	v_pk_fma_f16 v91, v57, v73, v66 op_sel:[0,1,0]
	v_pk_fma_f16 v106, v58, v73, v67 op_sel:[0,1,0]
	;; [unrolled: 1-line block ×3, first 2 shown]
	ds_load_2addr_b64 v[66:69], v55 offset1:32
	v_pk_fma_f16 v92, v58, v72, v92 op_sel_hi:[1,0,1]
	v_pk_fma_f16 v93, v58, v72, v93 op_sel:[0,1,0]
	v_pk_fma_f16 v94, v58, v73, v94 op_sel_hi:[1,0,1]
	v_pk_fma_f16 v95, v59, v72, v95 op_sel_hi:[1,0,1]
	v_pk_fma_f16 v96, v59, v72, v96 op_sel:[0,1,0]
	v_pk_fma_f16 v97, v59, v73, v97 op_sel_hi:[1,0,1]
	;; [unrolled: 3-line block ×3, first 2 shown]
	v_pk_fma_f16 v99, v60, v73, v99 op_sel:[0,1,0]
	ds_load_2addr_b64 v[57:60], v55 offset0:64 offset1:96
	s_or_b32 s8, s3, 0x60
	s_waitcnt lgkmcnt(2)
	v_pk_fma_f16 v100, v61, v72, v100 op_sel_hi:[1,0,1]
	v_pk_fma_f16 v80, v61, v72, v80 op_sel:[0,1,0]
	v_pk_fma_f16 v81, v61, v73, v81 op_sel_hi:[1,0,1]
	v_pk_fma_f16 v74, v61, v73, v74 op_sel:[0,1,0]
	;; [unrolled: 2-line block ×8, first 2 shown]
	s_waitcnt lgkmcnt(1)
	v_pk_fma_f16 v73, v66, v8, v77 op_sel_hi:[1,0,1]
	v_pk_fma_f16 v77, v66, v8, v89 op_sel:[0,1,0]
	v_pk_fma_f16 v89, v66, v9, v90 op_sel_hi:[1,0,1]
	v_pk_fma_f16 v90, v66, v9, v91 op_sel:[0,1,0]
	;; [unrolled: 2-line block ×7, first 2 shown]
	ds_load_2addr_b64 v[61:64], v55 offset0:128 offset1:160
	v_pk_fma_f16 v79, v69, v9, v79 op_sel_hi:[1,0,1]
	v_pk_fma_f16 v99, v69, v9, v99 op_sel:[0,1,0]
	ds_load_2addr_b64 v[66:69], v55 offset0:192 offset1:224
	s_mul_hi_i32 s21, s8, s10
	s_mul_i32 s20, s8, s10
	s_waitcnt lgkmcnt(2)
	v_pk_fma_f16 v100, v57, v8, v100 op_sel_hi:[1,0,1]
	s_lshl_b64 s[20:21], s[20:21], 2
	v_pk_fma_f16 v80, v57, v8, v80 op_sel:[0,1,0]
	s_add_u32 s8, s11, s20
	v_pk_fma_f16 v81, v57, v9, v81 op_sel_hi:[1,0,1]
	v_pk_fma_f16 v57, v57, v9, v74 op_sel:[0,1,0]
	v_pk_fma_f16 v74, v58, v8, v85 op_sel_hi:[1,0,1]
	v_pk_fma_f16 v85, v58, v8, v101 op_sel:[0,1,0]
	;; [unrolled: 2-line block ×4, first 2 shown]
	s_addc_u32 s20, s17, s21
	v_add_co_u32 v8, vcc_lo, s8, v27
	v_pk_fma_f16 v179, v58, v9, v102 op_sel_hi:[1,0,1]
	v_pk_fma_f16 v180, v58, v9, v75 op_sel:[0,1,0]
	v_pk_fma_f16 v183, v59, v9, v104 op_sel_hi:[1,0,1]
	v_pk_fma_f16 v184, v59, v9, v76 op_sel:[0,1,0]
	;; [unrolled: 2-line block ×3, first 2 shown]
	v_add_co_ci_u32_e32 v9, vcc_lo, s20, v28, vcc_lo
	v_add_co_u32 v163, vcc_lo, s8, v29
	v_add_co_ci_u32_e32 v164, vcc_lo, s20, v30, vcc_lo
	v_add_co_u32 v8, vcc_lo, v8, v40
	s_delay_alu instid0(VALU_DEP_4) | instskip(NEXT) | instid1(VALU_DEP_4)
	v_add_co_ci_u32_e32 v9, vcc_lo, 0, v9, vcc_lo
	v_add_co_u32 v175, vcc_lo, v163, v40
	s_delay_alu instid0(VALU_DEP_4)
	v_add_co_ci_u32_e32 v176, vcc_lo, 0, v164, vcc_lo
	s_waitcnt lgkmcnt(1)
	v_pk_fma_f16 v189, v61, v10, v73 op_sel_hi:[1,0,1]
	v_pk_fma_f16 v190, v61, v10, v77 op_sel:[0,1,0]
	v_pk_fma_f16 v191, v61, v11, v89 op_sel_hi:[1,0,1]
	v_pk_fma_f16 v192, v61, v11, v90 op_sel:[0,1,0]
	;; [unrolled: 2-line block ×8, first 2 shown]
	s_waitcnt lgkmcnt(0)
	v_pk_fma_f16 v205, v66, v10, v100 op_sel_hi:[1,0,1]
	v_pk_fma_f16 v206, v66, v10, v80 op_sel:[0,1,0]
	v_pk_fma_f16 v207, v66, v11, v81 op_sel_hi:[1,0,1]
	v_pk_fma_f16 v66, v66, v11, v57 op_sel:[0,1,0]
	v_pk_fma_f16 v208, v67, v10, v74 op_sel_hi:[1,0,1]
	ds_load_2addr_b64 v[57:60], v56 offset1:32
	ds_load_2addr_b64 v[61:64], v56 offset0:64 offset1:96
	ds_load_2addr_b64 v[70:73], v56 offset0:128 offset1:160
	;; [unrolled: 1-line block ×3, first 2 shown]
	ds_load_2addr_b64 v[78:81], v53 offset1:32
	ds_load_2addr_b64 v[87:90], v53 offset0:64 offset1:96
	ds_load_2addr_b64 v[91:94], v53 offset0:128 offset1:160
	ds_load_2addr_b64 v[95:98], v53 offset0:192 offset1:224
	ds_load_2addr_b64 v[99:102], v52 offset1:32
	ds_load_2addr_b64 v[103:106], v52 offset0:64 offset1:96
	ds_load_b128 v[107:110], v43 offset:704
	ds_load_b128 v[111:114], v43 offset:720
	ds_load_2addr_b64 v[115:118], v52 offset0:128 offset1:160
	ds_load_2addr_b64 v[119:122], v52 offset0:192 offset1:224
	ds_load_2addr_b64 v[123:126], v50 offset1:32
	ds_load_2addr_b64 v[127:130], v50 offset0:64 offset1:96
	ds_load_2addr_b64 v[131:134], v50 offset0:128 offset1:160
	;; [unrolled: 1-line block ×3, first 2 shown]
	ds_load_2addr_b64 v[139:142], v49 offset1:32
	ds_load_2addr_b64 v[143:146], v49 offset0:64 offset1:96
	ds_load_b128 v[147:150], v43 offset:736
	ds_load_b128 v[151:154], v43 offset:752
	ds_load_2addr_b64 v[155:158], v49 offset0:128 offset1:160
	ds_load_2addr_b64 v[159:162], v49 offset0:192 offset1:224
	s_waitcnt lgkmcnt(0)
	s_barrier
	buffer_gl0_inv
	s_clause 0x3
	global_load_b128 v[163:166], v[8:9], off
	global_load_b128 v[167:170], v[8:9], off offset:512
	global_load_b128 v[171:174], v[175:176], off
	global_load_b128 v[175:178], v[175:176], off offset:512
	v_pk_fma_f16 v8, v67, v10, v85 op_sel:[0,1,0]
	v_pk_fma_f16 v9, v67, v11, v179 op_sel_hi:[1,0,1]
	v_pk_fma_f16 v67, v67, v11, v180 op_sel:[0,1,0]
	v_pk_fma_f16 v85, v68, v10, v181 op_sel_hi:[1,0,1]
	;; [unrolled: 2-line block ×24, first 2 shown]
	v_pk_fma_f16 v58, v71, v7, v58 op_sel:[0,1,0]
	v_pk_fma_f16 v59, v72, v7, v59 op_sel:[0,1,0]
	v_pk_fma_f16 v60, v73, v7, v60 op_sel:[0,1,0]
	v_pk_fma_f16 v180, v71, v6, v186 op_sel:[0,1,0]
	v_pk_fma_f16 v181, v71, v7, v187 op_sel_hi:[1,0,1]
	v_pk_fma_f16 v71, v72, v6, v188 op_sel_hi:[1,0,1]
	v_pk_fma_f16 v182, v72, v6, v189 op_sel:[0,1,0]
	v_pk_fma_f16 v183, v72, v7, v190 op_sel_hi:[1,0,1]
	v_pk_fma_f16 v72, v73, v6, v191 op_sel_hi:[1,0,1]
	v_pk_fma_f16 v184, v73, v6, v192 op_sel:[0,1,0]
	;; [unrolled: 3-line block ×3, first 2 shown]
	v_pk_fma_f16 v187, v74, v7, v196 op_sel_hi:[1,0,1]
	v_pk_fma_f16 v61, v74, v7, v61 op_sel:[0,1,0]
	v_pk_fma_f16 v66, v75, v6, v66 op_sel_hi:[1,0,1]
	v_pk_fma_f16 v8, v75, v6, v8 op_sel:[0,1,0]
	v_pk_fma_f16 v62, v75, v7, v62 op_sel:[0,1,0]
	v_pk_fma_f16 v67, v76, v6, v67 op_sel_hi:[1,0,1]
	v_pk_fma_f16 v74, v76, v6, v85 op_sel:[0,1,0]
	;; [unrolled: 3-line block ×3, first 2 shown]
	v_pk_fma_f16 v6, v77, v7, v10 op_sel_hi:[1,0,1]
	v_pk_fma_f16 v10, v78, v107, v64 op_sel:[0,1,0]
	v_pk_fma_f16 v57, v78, v108, v57 op_sel:[0,1,0]
	v_pk_fma_f16 v64, v79, v107, v70 op_sel_hi:[1,0,1]
	v_pk_fma_f16 v58, v79, v108, v58 op_sel:[0,1,0]
	v_pk_fma_f16 v59, v80, v108, v59 op_sel:[0,1,0]
	v_pk_fma_f16 v60, v81, v108, v60 op_sel:[0,1,0]
	v_pk_fma_f16 v61, v87, v108, v61 op_sel:[0,1,0]
	v_pk_fma_f16 v62, v88, v108, v62 op_sel:[0,1,0]
	v_pk_fma_f16 v63, v89, v108, v63 op_sel:[0,1,0]
	v_pk_fma_f16 v57, v91, v110, v57 op_sel:[0,1,0]
	v_pk_fma_f16 v64, v92, v109, v64 op_sel_hi:[1,0,1]
	v_pk_fma_f16 v58, v92, v110, v58 op_sel:[0,1,0]
	v_pk_fma_f16 v59, v93, v110, v59 op_sel:[0,1,0]
	;; [unrolled: 1-line block ×7, first 2 shown]
	v_pk_fma_f16 v64, v100, v111, v64 op_sel_hi:[1,0,1]
	v_pk_fma_f16 v58, v100, v112, v58 op_sel:[0,1,0]
	v_pk_fma_f16 v59, v101, v112, v59 op_sel:[0,1,0]
	v_pk_fma_f16 v60, v102, v112, v60 op_sel:[0,1,0]
	v_pk_fma_f16 v9, v75, v7, v9 op_sel_hi:[1,0,1]
	v_pk_fma_f16 v5, v77, v7, v5 op_sel:[0,1,0]
	v_pk_fma_f16 v75, v76, v7, v179 op_sel_hi:[1,0,1]
	v_pk_fma_f16 v7, v78, v107, v11 op_sel_hi:[1,0,1]
	;; [unrolled: 1-line block ×3, first 2 shown]
	v_pk_fma_f16 v69, v79, v107, v180 op_sel:[0,1,0]
	v_pk_fma_f16 v70, v79, v108, v181 op_sel_hi:[1,0,1]
	v_pk_fma_f16 v71, v80, v107, v71 op_sel_hi:[1,0,1]
	v_pk_fma_f16 v76, v80, v107, v182 op_sel:[0,1,0]
	v_pk_fma_f16 v77, v80, v108, v183 op_sel_hi:[1,0,1]
	v_pk_fma_f16 v72, v81, v107, v72 op_sel_hi:[1,0,1]
	v_pk_fma_f16 v78, v81, v107, v184 op_sel:[0,1,0]
	v_pk_fma_f16 v79, v81, v108, v185 op_sel_hi:[1,0,1]
	v_pk_fma_f16 v61, v103, v112, v61 op_sel:[0,1,0]
	v_pk_fma_f16 v62, v104, v112, v62 op_sel:[0,1,0]
	;; [unrolled: 1-line block ×4, first 2 shown]
	v_pk_fma_f16 v64, v116, v113, v64 op_sel_hi:[1,0,1]
	v_pk_fma_f16 v58, v116, v114, v58 op_sel:[0,1,0]
	v_pk_fma_f16 v59, v117, v114, v59 op_sel:[0,1,0]
	v_pk_fma_f16 v60, v118, v114, v60 op_sel:[0,1,0]
	v_pk_fma_f16 v73, v87, v107, v73 op_sel_hi:[1,0,1]
	v_pk_fma_f16 v66, v88, v107, v66 op_sel_hi:[1,0,1]
	v_pk_fma_f16 v8, v88, v107, v8 op_sel:[0,1,0]
	v_pk_fma_f16 v9, v88, v108, v9 op_sel_hi:[1,0,1]
	v_pk_fma_f16 v67, v89, v107, v67 op_sel_hi:[1,0,1]
	;; [unrolled: 1-line block ×3, first 2 shown]
	v_pk_fma_f16 v4, v90, v107, v4 op_sel:[0,1,0]
	v_pk_fma_f16 v6, v90, v108, v6 op_sel_hi:[1,0,1]
	v_pk_fma_f16 v5, v90, v108, v5 op_sel:[0,1,0]
	v_pk_fma_f16 v74, v89, v107, v74 op_sel:[0,1,0]
	v_pk_fma_f16 v75, v89, v108, v75 op_sel_hi:[1,0,1]
	v_pk_fma_f16 v7, v91, v109, v7 op_sel_hi:[1,0,1]
	v_pk_fma_f16 v10, v91, v109, v10 op_sel:[0,1,0]
	v_pk_fma_f16 v11, v91, v110, v11 op_sel_hi:[1,0,1]
	v_pk_fma_f16 v69, v92, v109, v69 op_sel:[0,1,0]
	v_pk_fma_f16 v70, v92, v110, v70 op_sel_hi:[1,0,1]
	v_pk_fma_f16 v71, v93, v109, v71 op_sel_hi:[1,0,1]
	v_pk_fma_f16 v76, v93, v109, v76 op_sel:[0,1,0]
	v_pk_fma_f16 v77, v93, v110, v77 op_sel_hi:[1,0,1]
	;; [unrolled: 3-line block ×3, first 2 shown]
	v_pk_fma_f16 v61, v119, v114, v61 op_sel:[0,1,0]
	v_pk_fma_f16 v62, v120, v114, v62 op_sel:[0,1,0]
	;; [unrolled: 1-line block ×4, first 2 shown]
	v_pk_fma_f16 v64, v124, v147, v64 op_sel_hi:[1,0,1]
	v_pk_fma_f16 v58, v124, v148, v58 op_sel:[0,1,0]
	v_pk_fma_f16 v59, v125, v148, v59 op_sel:[0,1,0]
	;; [unrolled: 1-line block ×3, first 2 shown]
	v_pk_fma_f16 v73, v95, v109, v73 op_sel_hi:[1,0,1]
	v_pk_fma_f16 v66, v96, v109, v66 op_sel_hi:[1,0,1]
	v_pk_fma_f16 v8, v96, v109, v8 op_sel:[0,1,0]
	v_pk_fma_f16 v9, v96, v110, v9 op_sel_hi:[1,0,1]
	v_pk_fma_f16 v67, v97, v109, v67 op_sel_hi:[1,0,1]
	;; [unrolled: 1-line block ×3, first 2 shown]
	v_pk_fma_f16 v4, v98, v109, v4 op_sel:[0,1,0]
	v_pk_fma_f16 v6, v98, v110, v6 op_sel_hi:[1,0,1]
	v_pk_fma_f16 v5, v98, v110, v5 op_sel:[0,1,0]
	v_pk_fma_f16 v74, v97, v109, v74 op_sel:[0,1,0]
	v_pk_fma_f16 v75, v97, v110, v75 op_sel_hi:[1,0,1]
	v_pk_fma_f16 v7, v99, v111, v7 op_sel_hi:[1,0,1]
	v_pk_fma_f16 v10, v99, v111, v10 op_sel:[0,1,0]
	v_pk_fma_f16 v11, v99, v112, v11 op_sel_hi:[1,0,1]
	v_pk_fma_f16 v69, v100, v111, v69 op_sel:[0,1,0]
	v_pk_fma_f16 v70, v100, v112, v70 op_sel_hi:[1,0,1]
	v_pk_fma_f16 v71, v101, v111, v71 op_sel_hi:[1,0,1]
	v_pk_fma_f16 v76, v101, v111, v76 op_sel:[0,1,0]
	v_pk_fma_f16 v77, v101, v112, v77 op_sel_hi:[1,0,1]
	v_pk_fma_f16 v72, v102, v111, v72 op_sel_hi:[1,0,1]
	v_pk_fma_f16 v78, v102, v111, v78 op_sel:[0,1,0]
	v_pk_fma_f16 v79, v102, v112, v79 op_sel_hi:[1,0,1]
	v_pk_fma_f16 v61, v127, v148, v61 op_sel:[0,1,0]
	v_pk_fma_f16 v62, v128, v148, v62 op_sel:[0,1,0]
	;; [unrolled: 1-line block ×4, first 2 shown]
	v_pk_fma_f16 v64, v132, v149, v64 op_sel_hi:[1,0,1]
	v_pk_fma_f16 v58, v132, v150, v58 op_sel:[0,1,0]
	v_pk_fma_f16 v59, v133, v150, v59 op_sel:[0,1,0]
	;; [unrolled: 1-line block ×3, first 2 shown]
	v_pk_fma_f16 v73, v103, v111, v73 op_sel_hi:[1,0,1]
	v_pk_fma_f16 v66, v104, v111, v66 op_sel_hi:[1,0,1]
	v_pk_fma_f16 v8, v104, v111, v8 op_sel:[0,1,0]
	v_pk_fma_f16 v9, v104, v112, v9 op_sel_hi:[1,0,1]
	v_pk_fma_f16 v67, v105, v111, v67 op_sel_hi:[1,0,1]
	;; [unrolled: 1-line block ×3, first 2 shown]
	v_pk_fma_f16 v4, v106, v111, v4 op_sel:[0,1,0]
	v_pk_fma_f16 v6, v106, v112, v6 op_sel_hi:[1,0,1]
	v_pk_fma_f16 v5, v106, v112, v5 op_sel:[0,1,0]
	v_pk_fma_f16 v80, v87, v107, v186 op_sel:[0,1,0]
	v_pk_fma_f16 v81, v87, v108, v187 op_sel_hi:[1,0,1]
	v_pk_fma_f16 v74, v105, v111, v74 op_sel:[0,1,0]
	v_pk_fma_f16 v75, v105, v112, v75 op_sel_hi:[1,0,1]
	v_pk_fma_f16 v7, v115, v113, v7 op_sel_hi:[1,0,1]
	v_pk_fma_f16 v10, v115, v113, v10 op_sel:[0,1,0]
	v_pk_fma_f16 v11, v115, v114, v11 op_sel_hi:[1,0,1]
	v_pk_fma_f16 v69, v116, v113, v69 op_sel:[0,1,0]
	v_pk_fma_f16 v70, v116, v114, v70 op_sel_hi:[1,0,1]
	v_pk_fma_f16 v71, v117, v113, v71 op_sel_hi:[1,0,1]
	v_pk_fma_f16 v76, v117, v113, v76 op_sel:[0,1,0]
	v_pk_fma_f16 v77, v117, v114, v77 op_sel_hi:[1,0,1]
	;; [unrolled: 3-line block ×3, first 2 shown]
	v_pk_fma_f16 v61, v135, v150, v61 op_sel:[0,1,0]
	v_pk_fma_f16 v62, v136, v150, v62 op_sel:[0,1,0]
	;; [unrolled: 1-line block ×4, first 2 shown]
	v_pk_fma_f16 v64, v140, v151, v64 op_sel_hi:[1,0,1]
	v_pk_fma_f16 v58, v140, v152, v58 op_sel:[0,1,0]
	v_pk_fma_f16 v59, v141, v152, v59 op_sel:[0,1,0]
	;; [unrolled: 1-line block ×3, first 2 shown]
	v_pk_fma_f16 v73, v119, v113, v73 op_sel_hi:[1,0,1]
	v_pk_fma_f16 v66, v120, v113, v66 op_sel_hi:[1,0,1]
	v_pk_fma_f16 v8, v120, v113, v8 op_sel:[0,1,0]
	v_pk_fma_f16 v9, v120, v114, v9 op_sel_hi:[1,0,1]
	v_pk_fma_f16 v67, v121, v113, v67 op_sel_hi:[1,0,1]
	;; [unrolled: 1-line block ×3, first 2 shown]
	v_pk_fma_f16 v4, v122, v113, v4 op_sel:[0,1,0]
	v_pk_fma_f16 v6, v122, v114, v6 op_sel_hi:[1,0,1]
	v_pk_fma_f16 v5, v122, v114, v5 op_sel:[0,1,0]
	v_pk_fma_f16 v80, v95, v109, v80 op_sel:[0,1,0]
	v_pk_fma_f16 v81, v95, v110, v81 op_sel_hi:[1,0,1]
	v_pk_fma_f16 v74, v121, v113, v74 op_sel:[0,1,0]
	v_pk_fma_f16 v75, v121, v114, v75 op_sel_hi:[1,0,1]
	v_pk_fma_f16 v7, v123, v147, v7 op_sel_hi:[1,0,1]
	v_pk_fma_f16 v10, v123, v147, v10 op_sel:[0,1,0]
	v_pk_fma_f16 v11, v123, v148, v11 op_sel_hi:[1,0,1]
	v_pk_fma_f16 v69, v124, v147, v69 op_sel:[0,1,0]
	v_pk_fma_f16 v70, v124, v148, v70 op_sel_hi:[1,0,1]
	v_pk_fma_f16 v71, v125, v147, v71 op_sel_hi:[1,0,1]
	v_pk_fma_f16 v76, v125, v147, v76 op_sel:[0,1,0]
	v_pk_fma_f16 v77, v125, v148, v77 op_sel_hi:[1,0,1]
	;; [unrolled: 3-line block ×3, first 2 shown]
	v_pk_fma_f16 v85, v143, v152, v61 op_sel:[0,1,0]
	v_pk_fma_f16 v87, v144, v152, v62 op_sel:[0,1,0]
	;; [unrolled: 1-line block ×4, first 2 shown]
	v_pk_fma_f16 v93, v156, v153, v64 op_sel_hi:[1,0,1]
	v_pk_fma_f16 v96, v156, v154, v58 op_sel:[0,1,0]
	v_pk_fma_f16 v98, v157, v154, v59 op_sel:[0,1,0]
	;; [unrolled: 1-line block ×3, first 2 shown]
	s_waitcnt vmcnt(3)
	ds_store_b128 v44, v[163:166]
	s_waitcnt vmcnt(2)
	ds_store_b128 v45, v[167:170]
	;; [unrolled: 2-line block ×4, first 2 shown]
	s_waitcnt lgkmcnt(0)
	s_barrier
	buffer_gl0_inv
	ds_load_2addr_b64 v[57:60], v65 offset1:32
	ds_load_b128 v[61:64], v43 offset:768
	v_pk_fma_f16 v73, v127, v147, v73 op_sel_hi:[1,0,1]
	v_pk_fma_f16 v66, v128, v147, v66 op_sel_hi:[1,0,1]
	v_pk_fma_f16 v8, v128, v147, v8 op_sel:[0,1,0]
	v_pk_fma_f16 v9, v128, v148, v9 op_sel_hi:[1,0,1]
	v_pk_fma_f16 v67, v129, v147, v67 op_sel_hi:[1,0,1]
	v_pk_fma_f16 v68, v130, v147, v68 op_sel_hi:[1,0,1]
	v_pk_fma_f16 v4, v130, v147, v4 op_sel:[0,1,0]
	v_pk_fma_f16 v6, v130, v148, v6 op_sel_hi:[1,0,1]
	v_pk_fma_f16 v5, v130, v148, v5 op_sel:[0,1,0]
	v_pk_fma_f16 v80, v103, v111, v80 op_sel:[0,1,0]
	v_pk_fma_f16 v81, v103, v112, v81 op_sel_hi:[1,0,1]
	v_pk_fma_f16 v74, v129, v147, v74 op_sel:[0,1,0]
	v_pk_fma_f16 v75, v129, v148, v75 op_sel_hi:[1,0,1]
	v_pk_fma_f16 v7, v131, v149, v7 op_sel_hi:[1,0,1]
	v_pk_fma_f16 v10, v131, v149, v10 op_sel:[0,1,0]
	v_pk_fma_f16 v11, v131, v150, v11 op_sel_hi:[1,0,1]
	v_pk_fma_f16 v69, v132, v149, v69 op_sel:[0,1,0]
	v_pk_fma_f16 v70, v132, v150, v70 op_sel_hi:[1,0,1]
	v_pk_fma_f16 v71, v133, v149, v71 op_sel_hi:[1,0,1]
	v_pk_fma_f16 v76, v133, v149, v76 op_sel:[0,1,0]
	v_pk_fma_f16 v77, v133, v150, v77 op_sel_hi:[1,0,1]
	v_pk_fma_f16 v72, v134, v149, v72 op_sel_hi:[1,0,1]
	v_pk_fma_f16 v78, v134, v149, v78 op_sel:[0,1,0]
	v_pk_fma_f16 v79, v134, v150, v79 op_sel_hi:[1,0,1]
	v_pk_fma_f16 v73, v135, v149, v73 op_sel_hi:[1,0,1]
	v_pk_fma_f16 v66, v136, v149, v66 op_sel_hi:[1,0,1]
	v_pk_fma_f16 v8, v136, v149, v8 op_sel:[0,1,0]
	v_pk_fma_f16 v9, v136, v150, v9 op_sel_hi:[1,0,1]
	v_pk_fma_f16 v67, v137, v149, v67 op_sel_hi:[1,0,1]
	v_pk_fma_f16 v68, v138, v149, v68 op_sel_hi:[1,0,1]
	v_pk_fma_f16 v4, v138, v149, v4 op_sel:[0,1,0]
	v_pk_fma_f16 v6, v138, v150, v6 op_sel_hi:[1,0,1]
	v_pk_fma_f16 v5, v138, v150, v5 op_sel:[0,1,0]
	v_pk_fma_f16 v80, v119, v113, v80 op_sel:[0,1,0]
	v_pk_fma_f16 v81, v119, v114, v81 op_sel_hi:[1,0,1]
	v_pk_fma_f16 v74, v137, v149, v74 op_sel:[0,1,0]
	v_pk_fma_f16 v75, v137, v150, v75 op_sel_hi:[1,0,1]
	v_pk_fma_f16 v7, v139, v151, v7 op_sel_hi:[1,0,1]
	v_pk_fma_f16 v10, v139, v151, v10 op_sel:[0,1,0]
	v_pk_fma_f16 v11, v139, v152, v11 op_sel_hi:[1,0,1]
	v_pk_fma_f16 v69, v140, v151, v69 op_sel:[0,1,0]
	v_pk_fma_f16 v70, v140, v152, v70 op_sel_hi:[1,0,1]
	v_pk_fma_f16 v71, v141, v151, v71 op_sel_hi:[1,0,1]
	v_pk_fma_f16 v76, v141, v151, v76 op_sel:[0,1,0]
	v_pk_fma_f16 v77, v141, v152, v77 op_sel_hi:[1,0,1]
	v_pk_fma_f16 v72, v142, v151, v72 op_sel_hi:[1,0,1]
	v_pk_fma_f16 v78, v142, v151, v78 op_sel:[0,1,0]
	v_pk_fma_f16 v79, v142, v152, v79 op_sel_hi:[1,0,1]
	;; [unrolled: 24-line block ×3, first 2 shown]
	v_pk_fma_f16 v101, v159, v153, v73 op_sel_hi:[1,0,1]
	v_pk_fma_f16 v102, v160, v153, v66 op_sel_hi:[1,0,1]
	v_pk_fma_f16 v103, v160, v153, v8 op_sel:[0,1,0]
	v_pk_fma_f16 v104, v160, v154, v9 op_sel_hi:[1,0,1]
	v_pk_fma_f16 v105, v161, v153, v67 op_sel_hi:[1,0,1]
	;; [unrolled: 1-line block ×3, first 2 shown]
	v_pk_fma_f16 v109, v162, v153, v4 op_sel:[0,1,0]
	v_pk_fma_f16 v110, v162, v154, v6 op_sel_hi:[1,0,1]
	v_pk_fma_f16 v111, v162, v154, v5 op_sel:[0,1,0]
	ds_load_2addr_b64 v[66:69], v65 offset0:64 offset1:96
	ds_load_b128 v[70:73], v43 offset:784
	ds_load_b128 v[8:11], v43 offset:800
	;; [unrolled: 1-line block ×3, first 2 shown]
	v_pk_fma_f16 v80, v135, v149, v80 op_sel:[0,1,0]
	v_pk_fma_f16 v81, v135, v150, v81 op_sel_hi:[1,0,1]
	v_pk_fma_f16 v106, v161, v153, v74 op_sel:[0,1,0]
	v_pk_fma_f16 v107, v161, v154, v75 op_sel_hi:[1,0,1]
	s_waitcnt lgkmcnt(4)
	v_pk_fma_f16 v89, v57, v61, v89 op_sel_hi:[1,0,1]
	v_pk_fma_f16 v90, v57, v61, v90 op_sel:[0,1,0]
	v_pk_fma_f16 v91, v57, v62, v91 op_sel_hi:[1,0,1]
	v_pk_fma_f16 v92, v57, v62, v92 op_sel:[0,1,0]
	;; [unrolled: 2-line block ×7, first 2 shown]
	ds_load_2addr_b64 v[74:77], v65 offset0:128 offset1:160
	v_pk_fma_f16 v79, v60, v62, v79 op_sel_hi:[1,0,1]
	v_pk_fma_f16 v100, v60, v62, v100 op_sel:[0,1,0]
	ds_load_2addr_b64 v[57:60], v65 offset0:192 offset1:224
	v_pk_fma_f16 v80, v143, v151, v80 op_sel:[0,1,0]
	v_pk_fma_f16 v81, v143, v152, v81 op_sel_hi:[1,0,1]
	v_pk_fma_f16 v85, v159, v154, v85 op_sel:[0,1,0]
	v_pk_fma_f16 v87, v160, v154, v87 op_sel:[0,1,0]
	;; [unrolled: 1-line block ×4, first 2 shown]
	v_pk_fma_f16 v81, v159, v154, v81 op_sel_hi:[1,0,1]
	s_waitcnt lgkmcnt(5)
	v_pk_fma_f16 v101, v66, v61, v101 op_sel_hi:[1,0,1]
	v_pk_fma_f16 v85, v66, v62, v85 op_sel:[0,1,0]
	v_pk_fma_f16 v102, v67, v61, v102 op_sel_hi:[1,0,1]
	v_pk_fma_f16 v80, v66, v61, v80 op_sel:[0,1,0]
	;; [unrolled: 2-line block ×8, first 2 shown]
	ds_load_2addr_b64 v[66:69], v54 offset1:32
	s_waitcnt lgkmcnt(2)
	v_pk_fma_f16 v89, v74, v63, v89 op_sel_hi:[1,0,1]
	v_pk_fma_f16 v90, v74, v63, v90 op_sel:[0,1,0]
	v_pk_fma_f16 v91, v74, v64, v91 op_sel_hi:[1,0,1]
	v_pk_fma_f16 v92, v74, v64, v92 op_sel:[0,1,0]
	;; [unrolled: 2-line block ×8, first 2 shown]
	s_waitcnt lgkmcnt(1)
	v_pk_fma_f16 v101, v57, v63, v101 op_sel_hi:[1,0,1]
	v_pk_fma_f16 v80, v57, v63, v80 op_sel:[0,1,0]
	v_pk_fma_f16 v81, v57, v64, v81 op_sel_hi:[1,0,1]
	v_pk_fma_f16 v85, v57, v64, v85 op_sel:[0,1,0]
	;; [unrolled: 2-line block ×7, first 2 shown]
	ds_load_2addr_b64 v[74:77], v54 offset0:64 offset1:96
	v_pk_fma_f16 v109, v60, v64, v109 op_sel_hi:[1,0,1]
	v_pk_fma_f16 v112, v60, v64, v62 op_sel:[0,1,0]
	ds_load_2addr_b64 v[57:60], v54 offset0:128 offset1:160
	s_waitcnt lgkmcnt(2)
	v_pk_fma_f16 v89, v66, v70, v89 op_sel_hi:[1,0,1]
	v_pk_fma_f16 v90, v66, v70, v90 op_sel:[0,1,0]
	v_pk_fma_f16 v91, v66, v71, v91 op_sel_hi:[1,0,1]
	v_pk_fma_f16 v66, v66, v71, v92 op_sel:[0,1,0]
	;; [unrolled: 2-line block ×8, first 2 shown]
	s_waitcnt lgkmcnt(1)
	v_pk_fma_f16 v100, v74, v70, v101 op_sel_hi:[1,0,1]
	v_pk_fma_f16 v80, v74, v70, v80 op_sel:[0,1,0]
	v_pk_fma_f16 v81, v74, v71, v81 op_sel_hi:[1,0,1]
	v_pk_fma_f16 v74, v74, v71, v85 op_sel:[0,1,0]
	;; [unrolled: 2-line block ×7, first 2 shown]
	ds_load_2addr_b64 v[61:64], v54 offset0:192 offset1:224
	v_pk_fma_f16 v105, v77, v71, v109 op_sel_hi:[1,0,1]
	v_pk_fma_f16 v71, v77, v71, v112 op_sel:[0,1,0]
	s_waitcnt lgkmcnt(1)
	v_pk_fma_f16 v77, v57, v72, v89 op_sel_hi:[1,0,1]
	v_pk_fma_f16 v89, v57, v72, v90 op_sel:[0,1,0]
	v_pk_fma_f16 v90, v57, v73, v91 op_sel_hi:[1,0,1]
	v_pk_fma_f16 v91, v57, v73, v66 op_sel:[0,1,0]
	v_pk_fma_f16 v106, v58, v73, v67 op_sel:[0,1,0]
	;; [unrolled: 1-line block ×3, first 2 shown]
	ds_load_2addr_b64 v[66:69], v55 offset1:32
	v_pk_fma_f16 v92, v58, v72, v92 op_sel_hi:[1,0,1]
	v_pk_fma_f16 v93, v58, v72, v93 op_sel:[0,1,0]
	v_pk_fma_f16 v94, v58, v73, v94 op_sel_hi:[1,0,1]
	v_pk_fma_f16 v95, v59, v72, v95 op_sel_hi:[1,0,1]
	v_pk_fma_f16 v96, v59, v72, v96 op_sel:[0,1,0]
	v_pk_fma_f16 v97, v59, v73, v97 op_sel_hi:[1,0,1]
	v_pk_fma_f16 v98, v60, v72, v98 op_sel_hi:[1,0,1]
	v_pk_fma_f16 v78, v60, v72, v78 op_sel:[0,1,0]
	v_pk_fma_f16 v79, v60, v73, v79 op_sel_hi:[1,0,1]
	v_pk_fma_f16 v99, v60, v73, v99 op_sel:[0,1,0]
	ds_load_2addr_b64 v[57:60], v55 offset0:64 offset1:96
	s_or_b32 s8, s3, 0x70
	s_waitcnt lgkmcnt(2)
	v_pk_fma_f16 v100, v61, v72, v100 op_sel_hi:[1,0,1]
	v_pk_fma_f16 v80, v61, v72, v80 op_sel:[0,1,0]
	v_pk_fma_f16 v81, v61, v73, v81 op_sel_hi:[1,0,1]
	v_pk_fma_f16 v74, v61, v73, v74 op_sel:[0,1,0]
	;; [unrolled: 2-line block ×8, first 2 shown]
	s_waitcnt lgkmcnt(1)
	v_pk_fma_f16 v73, v66, v8, v77 op_sel_hi:[1,0,1]
	v_pk_fma_f16 v77, v66, v8, v89 op_sel:[0,1,0]
	v_pk_fma_f16 v89, v66, v9, v90 op_sel_hi:[1,0,1]
	v_pk_fma_f16 v90, v66, v9, v91 op_sel:[0,1,0]
	;; [unrolled: 2-line block ×7, first 2 shown]
	ds_load_2addr_b64 v[61:64], v55 offset0:128 offset1:160
	v_pk_fma_f16 v79, v69, v9, v79 op_sel_hi:[1,0,1]
	v_pk_fma_f16 v99, v69, v9, v99 op_sel:[0,1,0]
	ds_load_2addr_b64 v[66:69], v55 offset0:192 offset1:224
	s_mul_hi_i32 s21, s8, s10
	s_mul_i32 s20, s8, s10
	s_waitcnt lgkmcnt(2)
	v_pk_fma_f16 v100, v57, v8, v100 op_sel_hi:[1,0,1]
	s_lshl_b64 s[20:21], s[20:21], 2
	v_pk_fma_f16 v80, v57, v8, v80 op_sel:[0,1,0]
	s_add_u32 s8, s11, s20
	v_pk_fma_f16 v81, v57, v9, v81 op_sel_hi:[1,0,1]
	v_pk_fma_f16 v57, v57, v9, v74 op_sel:[0,1,0]
	v_pk_fma_f16 v74, v58, v8, v85 op_sel_hi:[1,0,1]
	v_pk_fma_f16 v85, v58, v8, v101 op_sel:[0,1,0]
	;; [unrolled: 2-line block ×4, first 2 shown]
	s_addc_u32 s20, s17, s21
	v_add_co_u32 v8, vcc_lo, s8, v27
	v_pk_fma_f16 v179, v58, v9, v102 op_sel_hi:[1,0,1]
	v_pk_fma_f16 v180, v58, v9, v75 op_sel:[0,1,0]
	v_pk_fma_f16 v183, v59, v9, v104 op_sel_hi:[1,0,1]
	v_pk_fma_f16 v184, v59, v9, v76 op_sel:[0,1,0]
	;; [unrolled: 2-line block ×3, first 2 shown]
	v_add_co_ci_u32_e32 v9, vcc_lo, s20, v28, vcc_lo
	v_add_co_u32 v163, vcc_lo, s8, v29
	v_add_co_ci_u32_e32 v164, vcc_lo, s20, v30, vcc_lo
	v_add_co_u32 v8, vcc_lo, v8, v40
	s_delay_alu instid0(VALU_DEP_4) | instskip(NEXT) | instid1(VALU_DEP_4)
	v_add_co_ci_u32_e32 v9, vcc_lo, 0, v9, vcc_lo
	v_add_co_u32 v175, vcc_lo, v163, v40
	s_delay_alu instid0(VALU_DEP_4)
	v_add_co_ci_u32_e32 v176, vcc_lo, 0, v164, vcc_lo
	s_waitcnt lgkmcnt(1)
	v_pk_fma_f16 v189, v61, v10, v73 op_sel_hi:[1,0,1]
	v_pk_fma_f16 v190, v61, v10, v77 op_sel:[0,1,0]
	v_pk_fma_f16 v191, v61, v11, v89 op_sel_hi:[1,0,1]
	v_pk_fma_f16 v192, v61, v11, v90 op_sel:[0,1,0]
	;; [unrolled: 2-line block ×8, first 2 shown]
	s_waitcnt lgkmcnt(0)
	v_pk_fma_f16 v205, v66, v10, v100 op_sel_hi:[1,0,1]
	v_pk_fma_f16 v206, v66, v10, v80 op_sel:[0,1,0]
	v_pk_fma_f16 v207, v66, v11, v81 op_sel_hi:[1,0,1]
	v_pk_fma_f16 v66, v66, v11, v57 op_sel:[0,1,0]
	v_pk_fma_f16 v208, v67, v10, v74 op_sel_hi:[1,0,1]
	ds_load_2addr_b64 v[57:60], v56 offset1:32
	ds_load_2addr_b64 v[61:64], v56 offset0:64 offset1:96
	ds_load_2addr_b64 v[70:73], v56 offset0:128 offset1:160
	;; [unrolled: 1-line block ×3, first 2 shown]
	ds_load_2addr_b64 v[78:81], v53 offset1:32
	ds_load_2addr_b64 v[87:90], v53 offset0:64 offset1:96
	ds_load_2addr_b64 v[91:94], v53 offset0:128 offset1:160
	;; [unrolled: 1-line block ×3, first 2 shown]
	ds_load_2addr_b64 v[99:102], v52 offset1:32
	ds_load_2addr_b64 v[103:106], v52 offset0:64 offset1:96
	ds_load_b128 v[107:110], v43 offset:832
	ds_load_b128 v[111:114], v43 offset:848
	ds_load_2addr_b64 v[115:118], v52 offset0:128 offset1:160
	ds_load_2addr_b64 v[119:122], v52 offset0:192 offset1:224
	ds_load_2addr_b64 v[123:126], v50 offset1:32
	ds_load_2addr_b64 v[127:130], v50 offset0:64 offset1:96
	ds_load_2addr_b64 v[131:134], v50 offset0:128 offset1:160
	;; [unrolled: 1-line block ×3, first 2 shown]
	ds_load_2addr_b64 v[139:142], v49 offset1:32
	ds_load_2addr_b64 v[143:146], v49 offset0:64 offset1:96
	ds_load_b128 v[147:150], v43 offset:864
	ds_load_b128 v[151:154], v43 offset:880
	ds_load_2addr_b64 v[155:158], v49 offset0:128 offset1:160
	ds_load_2addr_b64 v[159:162], v49 offset0:192 offset1:224
	s_waitcnt lgkmcnt(0)
	s_barrier
	buffer_gl0_inv
	s_clause 0x3
	global_load_b128 v[163:166], v[8:9], off
	global_load_b128 v[167:170], v[8:9], off offset:512
	global_load_b128 v[171:174], v[175:176], off
	global_load_b128 v[175:178], v[175:176], off offset:512
	v_pk_fma_f16 v8, v67, v10, v85 op_sel:[0,1,0]
	v_pk_fma_f16 v9, v67, v11, v179 op_sel_hi:[1,0,1]
	v_pk_fma_f16 v67, v67, v11, v180 op_sel:[0,1,0]
	v_pk_fma_f16 v85, v68, v10, v181 op_sel_hi:[1,0,1]
	;; [unrolled: 2-line block ×53, first 2 shown]
	v_pk_fma_f16 v60, v81, v108, v60 op_sel:[0,1,0]
	v_pk_fma_f16 v8, v104, v111, v8 op_sel:[0,1,0]
	v_pk_fma_f16 v9, v104, v112, v9 op_sel_hi:[1,0,1]
	v_pk_fma_f16 v4, v106, v111, v4 op_sel:[0,1,0]
	v_pk_fma_f16 v6, v106, v112, v6 op_sel_hi:[1,0,1]
	v_pk_fma_f16 v5, v106, v112, v5 op_sel:[0,1,0]
	v_pk_fma_f16 v7, v115, v113, v7 op_sel_hi:[1,0,1]
	v_pk_fma_f16 v10, v115, v113, v10 op_sel:[0,1,0]
	v_pk_fma_f16 v11, v115, v114, v11 op_sel_hi:[1,0,1]
	v_pk_fma_f16 v73, v87, v107, v73 op_sel_hi:[1,0,1]
	v_pk_fma_f16 v61, v87, v108, v61 op_sel:[0,1,0]
	v_pk_fma_f16 v66, v88, v107, v66 op_sel_hi:[1,0,1]
	v_pk_fma_f16 v62, v88, v108, v62 op_sel:[0,1,0]
	v_pk_fma_f16 v67, v89, v107, v67 op_sel_hi:[1,0,1]
	v_pk_fma_f16 v63, v89, v108, v63 op_sel:[0,1,0]
	v_pk_fma_f16 v68, v90, v107, v68 op_sel_hi:[1,0,1]
	v_pk_fma_f16 v74, v89, v107, v74 op_sel:[0,1,0]
	v_pk_fma_f16 v75, v89, v108, v75 op_sel_hi:[1,0,1]
	v_pk_fma_f16 v57, v91, v110, v57 op_sel:[0,1,0]
	v_pk_fma_f16 v64, v92, v109, v64 op_sel_hi:[1,0,1]
	v_pk_fma_f16 v69, v92, v109, v69 op_sel:[0,1,0]
	v_pk_fma_f16 v70, v92, v110, v70 op_sel_hi:[1,0,1]
	v_pk_fma_f16 v58, v92, v110, v58 op_sel:[0,1,0]
	v_pk_fma_f16 v71, v93, v109, v71 op_sel_hi:[1,0,1]
	v_pk_fma_f16 v76, v93, v109, v76 op_sel:[0,1,0]
	v_pk_fma_f16 v77, v93, v110, v77 op_sel_hi:[1,0,1]
	v_pk_fma_f16 v59, v93, v110, v59 op_sel:[0,1,0]
	v_pk_fma_f16 v72, v94, v109, v72 op_sel_hi:[1,0,1]
	v_pk_fma_f16 v78, v94, v109, v78 op_sel:[0,1,0]
	v_pk_fma_f16 v79, v94, v110, v79 op_sel_hi:[1,0,1]
	v_pk_fma_f16 v60, v94, v110, v60 op_sel:[0,1,0]
	v_pk_fma_f16 v8, v120, v113, v8 op_sel:[0,1,0]
	v_pk_fma_f16 v9, v120, v114, v9 op_sel_hi:[1,0,1]
	v_pk_fma_f16 v4, v122, v113, v4 op_sel:[0,1,0]
	v_pk_fma_f16 v6, v122, v114, v6 op_sel_hi:[1,0,1]
	v_pk_fma_f16 v5, v122, v114, v5 op_sel:[0,1,0]
	v_pk_fma_f16 v7, v123, v147, v7 op_sel_hi:[1,0,1]
	v_pk_fma_f16 v10, v123, v147, v10 op_sel:[0,1,0]
	v_pk_fma_f16 v11, v123, v148, v11 op_sel_hi:[1,0,1]
	v_pk_fma_f16 v73, v95, v109, v73 op_sel_hi:[1,0,1]
	v_pk_fma_f16 v61, v95, v110, v61 op_sel:[0,1,0]
	v_pk_fma_f16 v66, v96, v109, v66 op_sel_hi:[1,0,1]
	v_pk_fma_f16 v62, v96, v110, v62 op_sel:[0,1,0]
	v_pk_fma_f16 v67, v97, v109, v67 op_sel_hi:[1,0,1]
	v_pk_fma_f16 v63, v97, v110, v63 op_sel:[0,1,0]
	v_pk_fma_f16 v68, v98, v109, v68 op_sel_hi:[1,0,1]
	v_pk_fma_f16 v74, v97, v109, v74 op_sel:[0,1,0]
	v_pk_fma_f16 v75, v97, v110, v75 op_sel_hi:[1,0,1]
	v_pk_fma_f16 v57, v99, v112, v57 op_sel:[0,1,0]
	v_pk_fma_f16 v64, v100, v111, v64 op_sel_hi:[1,0,1]
	v_pk_fma_f16 v69, v100, v111, v69 op_sel:[0,1,0]
	v_pk_fma_f16 v70, v100, v112, v70 op_sel_hi:[1,0,1]
	v_pk_fma_f16 v58, v100, v112, v58 op_sel:[0,1,0]
	v_pk_fma_f16 v71, v101, v111, v71 op_sel_hi:[1,0,1]
	v_pk_fma_f16 v76, v101, v111, v76 op_sel:[0,1,0]
	v_pk_fma_f16 v77, v101, v112, v77 op_sel_hi:[1,0,1]
	v_pk_fma_f16 v59, v101, v112, v59 op_sel:[0,1,0]
	v_pk_fma_f16 v72, v102, v111, v72 op_sel_hi:[1,0,1]
	v_pk_fma_f16 v78, v102, v111, v78 op_sel:[0,1,0]
	v_pk_fma_f16 v79, v102, v112, v79 op_sel_hi:[1,0,1]
	v_pk_fma_f16 v60, v102, v112, v60 op_sel:[0,1,0]
	v_pk_fma_f16 v8, v128, v147, v8 op_sel:[0,1,0]
	v_pk_fma_f16 v9, v128, v148, v9 op_sel_hi:[1,0,1]
	v_pk_fma_f16 v4, v130, v147, v4 op_sel:[0,1,0]
	v_pk_fma_f16 v6, v130, v148, v6 op_sel_hi:[1,0,1]
	v_pk_fma_f16 v5, v130, v148, v5 op_sel:[0,1,0]
	v_pk_fma_f16 v7, v131, v149, v7 op_sel_hi:[1,0,1]
	v_pk_fma_f16 v10, v131, v149, v10 op_sel:[0,1,0]
	v_pk_fma_f16 v11, v131, v150, v11 op_sel_hi:[1,0,1]
	v_pk_fma_f16 v73, v103, v111, v73 op_sel_hi:[1,0,1]
	v_pk_fma_f16 v61, v103, v112, v61 op_sel:[0,1,0]
	v_pk_fma_f16 v66, v104, v111, v66 op_sel_hi:[1,0,1]
	v_pk_fma_f16 v62, v104, v112, v62 op_sel:[0,1,0]
	v_pk_fma_f16 v67, v105, v111, v67 op_sel_hi:[1,0,1]
	v_pk_fma_f16 v63, v105, v112, v63 op_sel:[0,1,0]
	v_pk_fma_f16 v68, v106, v111, v68 op_sel_hi:[1,0,1]
	v_pk_fma_f16 v80, v87, v107, v186 op_sel:[0,1,0]
	v_pk_fma_f16 v81, v87, v108, v187 op_sel_hi:[1,0,1]
	v_pk_fma_f16 v74, v105, v111, v74 op_sel:[0,1,0]
	v_pk_fma_f16 v75, v105, v112, v75 op_sel_hi:[1,0,1]
	v_pk_fma_f16 v57, v115, v114, v57 op_sel:[0,1,0]
	v_pk_fma_f16 v64, v116, v113, v64 op_sel_hi:[1,0,1]
	v_pk_fma_f16 v69, v116, v113, v69 op_sel:[0,1,0]
	v_pk_fma_f16 v70, v116, v114, v70 op_sel_hi:[1,0,1]
	v_pk_fma_f16 v58, v116, v114, v58 op_sel:[0,1,0]
	v_pk_fma_f16 v71, v117, v113, v71 op_sel_hi:[1,0,1]
	v_pk_fma_f16 v76, v117, v113, v76 op_sel:[0,1,0]
	v_pk_fma_f16 v77, v117, v114, v77 op_sel_hi:[1,0,1]
	v_pk_fma_f16 v59, v117, v114, v59 op_sel:[0,1,0]
	v_pk_fma_f16 v72, v118, v113, v72 op_sel_hi:[1,0,1]
	v_pk_fma_f16 v78, v118, v113, v78 op_sel:[0,1,0]
	v_pk_fma_f16 v79, v118, v114, v79 op_sel_hi:[1,0,1]
	v_pk_fma_f16 v60, v118, v114, v60 op_sel:[0,1,0]
	v_pk_fma_f16 v8, v136, v149, v8 op_sel:[0,1,0]
	v_pk_fma_f16 v9, v136, v150, v9 op_sel_hi:[1,0,1]
	v_pk_fma_f16 v4, v138, v149, v4 op_sel:[0,1,0]
	v_pk_fma_f16 v6, v138, v150, v6 op_sel_hi:[1,0,1]
	;; [unrolled: 2-line block ×4, first 2 shown]
	v_pk_fma_f16 v73, v119, v113, v73 op_sel_hi:[1,0,1]
	v_pk_fma_f16 v61, v119, v114, v61 op_sel:[0,1,0]
	v_pk_fma_f16 v66, v120, v113, v66 op_sel_hi:[1,0,1]
	v_pk_fma_f16 v62, v120, v114, v62 op_sel:[0,1,0]
	;; [unrolled: 2-line block ×12, first 2 shown]
	v_pk_fma_f16 v85, v144, v151, v8 op_sel:[0,1,0]
	v_pk_fma_f16 v87, v144, v152, v9 op_sel_hi:[1,0,1]
	v_pk_fma_f16 v88, v146, v151, v4 op_sel:[0,1,0]
	v_pk_fma_f16 v89, v146, v152, v6 op_sel_hi:[1,0,1]
	v_pk_fma_f16 v90, v146, v152, v5 op_sel:[0,1,0]
	v_pk_fma_f16 v91, v155, v153, v7 op_sel_hi:[1,0,1]
	v_pk_fma_f16 v92, v155, v153, v10 op_sel:[0,1,0]
	v_pk_fma_f16 v93, v155, v154, v11 op_sel_hi:[1,0,1]
	s_waitcnt vmcnt(3)
	ds_store_b128 v44, v[163:166]
	s_waitcnt vmcnt(2)
	ds_store_b128 v45, v[167:170]
	;; [unrolled: 2-line block ×4, first 2 shown]
	s_waitcnt lgkmcnt(0)
	s_barrier
	buffer_gl0_inv
	ds_load_2addr_b64 v[4:7], v65 offset1:32
	ds_load_b128 v[8:11], v43 offset:896
	v_pk_fma_f16 v73, v127, v147, v73 op_sel_hi:[1,0,1]
	v_pk_fma_f16 v61, v127, v148, v61 op_sel:[0,1,0]
	v_pk_fma_f16 v66, v128, v147, v66 op_sel_hi:[1,0,1]
	v_pk_fma_f16 v62, v128, v148, v62 op_sel:[0,1,0]
	;; [unrolled: 2-line block ×39, first 2 shown]
	v_pk_fma_f16 v111, v162, v153, v68 op_sel_hi:[1,0,1]
	ds_load_2addr_b64 v[57:60], v65 offset0:64 offset1:96
	ds_load_b128 v[61:64], v43 offset:912
	ds_load_b128 v[66:69], v43 offset:928
	;; [unrolled: 1-line block ×3, first 2 shown]
	v_pk_fma_f16 v80, v135, v149, v80 op_sel:[0,1,0]
	v_pk_fma_f16 v81, v135, v150, v81 op_sel_hi:[1,0,1]
	v_pk_fma_f16 v108, v161, v153, v74 op_sel:[0,1,0]
	v_pk_fma_f16 v109, v161, v154, v75 op_sel_hi:[1,0,1]
	s_waitcnt lgkmcnt(4)
	v_pk_fma_f16 v91, v4, v8, v91 op_sel_hi:[1,0,1]
	v_pk_fma_f16 v92, v4, v8, v92 op_sel:[0,1,0]
	v_pk_fma_f16 v93, v4, v9, v93 op_sel_hi:[1,0,1]
	v_pk_fma_f16 v94, v4, v9, v94 op_sel:[0,1,0]
	;; [unrolled: 2-line block ×7, first 2 shown]
	ds_load_2addr_b64 v[74:77], v65 offset0:128 offset1:160
	v_pk_fma_f16 v79, v7, v9, v79 op_sel_hi:[1,0,1]
	v_pk_fma_f16 v102, v7, v9, v102 op_sel:[0,1,0]
	ds_load_2addr_b64 v[4:7], v65 offset0:192 offset1:224
	v_pk_fma_f16 v80, v143, v151, v80 op_sel:[0,1,0]
	v_pk_fma_f16 v81, v143, v152, v81 op_sel_hi:[1,0,1]
	v_pk_fma_f16 v85, v160, v153, v85 op_sel:[0,1,0]
	v_pk_fma_f16 v87, v160, v154, v87 op_sel_hi:[1,0,1]
	v_pk_fma_f16 v88, v162, v153, v88 op_sel:[0,1,0]
	v_pk_fma_f16 v80, v159, v153, v80 op_sel:[0,1,0]
	v_pk_fma_f16 v81, v159, v154, v81 op_sel_hi:[1,0,1]
	v_pk_fma_f16 v89, v162, v154, v89 op_sel_hi:[1,0,1]
	v_pk_fma_f16 v90, v162, v154, v90 op_sel:[0,1,0]
	s_waitcnt lgkmcnt(5)
	v_pk_fma_f16 v103, v57, v8, v103 op_sel_hi:[1,0,1]
	v_pk_fma_f16 v80, v57, v8, v80 op_sel:[0,1,0]
	v_pk_fma_f16 v81, v57, v9, v81 op_sel_hi:[1,0,1]
	v_pk_fma_f16 v104, v57, v9, v104 op_sel:[0,1,0]
	;; [unrolled: 2-line block ×8, first 2 shown]
	ds_load_2addr_b64 v[57:60], v54 offset1:32
	s_waitcnt lgkmcnt(2)
	v_pk_fma_f16 v88, v74, v10, v91 op_sel_hi:[1,0,1]
	v_pk_fma_f16 v89, v74, v10, v92 op_sel:[0,1,0]
	v_pk_fma_f16 v90, v74, v11, v93 op_sel_hi:[1,0,1]
	v_pk_fma_f16 v91, v74, v11, v94 op_sel:[0,1,0]
	;; [unrolled: 2-line block ×8, first 2 shown]
	s_waitcnt lgkmcnt(1)
	v_pk_fma_f16 v102, v4, v10, v103 op_sel_hi:[1,0,1]
	v_pk_fma_f16 v80, v4, v10, v80 op_sel:[0,1,0]
	v_pk_fma_f16 v81, v4, v11, v81 op_sel_hi:[1,0,1]
	v_pk_fma_f16 v103, v4, v11, v104 op_sel:[0,1,0]
	;; [unrolled: 2-line block ×7, first 2 shown]
	ds_load_2addr_b64 v[74:77], v54 offset0:64 offset1:96
	v_pk_fma_f16 v65, v7, v11, v65 op_sel_hi:[1,0,1]
	v_pk_fma_f16 v111, v7, v11, v9 op_sel:[0,1,0]
	ds_load_2addr_b64 v[4:7], v54 offset0:128 offset1:160
	s_waitcnt lgkmcnt(2)
	v_pk_fma_f16 v88, v57, v61, v88 op_sel_hi:[1,0,1]
	v_pk_fma_f16 v89, v57, v61, v89 op_sel:[0,1,0]
	v_pk_fma_f16 v90, v57, v62, v90 op_sel_hi:[1,0,1]
	v_pk_fma_f16 v57, v57, v62, v91 op_sel:[0,1,0]
	v_pk_fma_f16 v91, v58, v61, v92 op_sel_hi:[1,0,1]
	v_pk_fma_f16 v92, v58, v61, v93 op_sel:[0,1,0]
	v_pk_fma_f16 v93, v58, v62, v94 op_sel_hi:[1,0,1]
	v_pk_fma_f16 v58, v58, v62, v95 op_sel:[0,1,0]
	v_pk_fma_f16 v94, v59, v61, v96 op_sel_hi:[1,0,1]
	v_pk_fma_f16 v95, v59, v61, v97 op_sel:[0,1,0]
	v_pk_fma_f16 v96, v59, v62, v98 op_sel_hi:[1,0,1]
	v_pk_fma_f16 v59, v59, v62, v99 op_sel:[0,1,0]
	v_pk_fma_f16 v97, v60, v61, v100 op_sel_hi:[1,0,1]
	v_pk_fma_f16 v78, v60, v61, v78 op_sel:[0,1,0]
	v_pk_fma_f16 v79, v60, v62, v79 op_sel_hi:[1,0,1]
	v_pk_fma_f16 v98, v60, v62, v101 op_sel:[0,1,0]
	s_waitcnt lgkmcnt(1)
	v_pk_fma_f16 v99, v74, v61, v102 op_sel_hi:[1,0,1]
	v_pk_fma_f16 v80, v74, v61, v80 op_sel:[0,1,0]
	v_pk_fma_f16 v81, v74, v62, v81 op_sel_hi:[1,0,1]
	v_pk_fma_f16 v74, v74, v62, v103 op_sel:[0,1,0]
	;; [unrolled: 2-line block ×7, first 2 shown]
	ds_load_2addr_b64 v[8:11], v54 offset0:192 offset1:224
	v_pk_fma_f16 v54, v77, v62, v65 op_sel_hi:[1,0,1]
	v_pk_fma_f16 v62, v77, v62, v111 op_sel:[0,1,0]
	s_waitcnt lgkmcnt(1)
	v_pk_fma_f16 v65, v4, v63, v88 op_sel_hi:[1,0,1]
	v_pk_fma_f16 v77, v4, v63, v89 op_sel:[0,1,0]
	v_pk_fma_f16 v88, v4, v64, v90 op_sel_hi:[1,0,1]
	v_pk_fma_f16 v89, v4, v64, v57 op_sel:[0,1,0]
	;; [unrolled: 2-line block ×4, first 2 shown]
	v_pk_fma_f16 v105, v6, v64, v59 op_sel:[0,1,0]
	ds_load_2addr_b64 v[57:60], v55 offset1:32
	v_pk_fma_f16 v94, v6, v63, v94 op_sel_hi:[1,0,1]
	v_pk_fma_f16 v95, v6, v63, v95 op_sel:[0,1,0]
	v_pk_fma_f16 v96, v6, v64, v96 op_sel_hi:[1,0,1]
	v_pk_fma_f16 v97, v7, v63, v97 op_sel_hi:[1,0,1]
	v_pk_fma_f16 v78, v7, v63, v78 op_sel:[0,1,0]
	v_pk_fma_f16 v79, v7, v64, v79 op_sel_hi:[1,0,1]
	v_pk_fma_f16 v98, v7, v64, v98 op_sel:[0,1,0]
	ds_load_2addr_b64 v[4:7], v55 offset0:64 offset1:96
	s_waitcnt lgkmcnt(2)
	v_pk_fma_f16 v99, v8, v63, v99 op_sel_hi:[1,0,1]
	v_pk_fma_f16 v80, v8, v63, v80 op_sel:[0,1,0]
	v_pk_fma_f16 v81, v8, v64, v81 op_sel_hi:[1,0,1]
	v_pk_fma_f16 v74, v8, v64, v74 op_sel:[0,1,0]
	;; [unrolled: 2-line block ×8, first 2 shown]
	s_waitcnt lgkmcnt(1)
	v_pk_fma_f16 v63, v57, v66, v65 op_sel_hi:[1,0,1]
	v_pk_fma_f16 v64, v57, v66, v77 op_sel:[0,1,0]
	v_pk_fma_f16 v65, v57, v67, v88 op_sel_hi:[1,0,1]
	v_pk_fma_f16 v77, v57, v67, v89 op_sel:[0,1,0]
	;; [unrolled: 2-line block ×7, first 2 shown]
	ds_load_2addr_b64 v[8:11], v55 offset0:128 offset1:160
	v_pk_fma_f16 v79, v60, v67, v79 op_sel_hi:[1,0,1]
	v_pk_fma_f16 v97, v60, v67, v98 op_sel:[0,1,0]
	ds_load_2addr_b64 v[57:60], v55 offset0:192 offset1:224
	s_waitcnt lgkmcnt(2)
	v_pk_fma_f16 v98, v4, v66, v99 op_sel_hi:[1,0,1]
	v_pk_fma_f16 v80, v4, v66, v80 op_sel:[0,1,0]
	v_pk_fma_f16 v81, v4, v67, v81 op_sel_hi:[1,0,1]
	v_pk_fma_f16 v74, v4, v67, v74 op_sel:[0,1,0]
	;; [unrolled: 2-line block ×8, first 2 shown]
	ds_load_2addr_b64 v[4:7], v56 offset1:32
	s_waitcnt lgkmcnt(2)
	v_pk_fma_f16 v62, v8, v68, v63 op_sel_hi:[1,0,1]
	v_pk_fma_f16 v63, v8, v68, v64 op_sel:[0,1,0]
	v_pk_fma_f16 v64, v8, v69, v65 op_sel_hi:[1,0,1]
	v_pk_fma_f16 v65, v8, v69, v77 op_sel:[0,1,0]
	;; [unrolled: 2-line block ×8, first 2 shown]
	s_waitcnt lgkmcnt(1)
	v_pk_fma_f16 v95, v57, v68, v98 op_sel_hi:[1,0,1]
	v_pk_fma_f16 v80, v57, v68, v80 op_sel:[0,1,0]
	v_pk_fma_f16 v81, v57, v69, v81 op_sel_hi:[1,0,1]
	v_pk_fma_f16 v74, v57, v69, v74 op_sel:[0,1,0]
	;; [unrolled: 2-line block ×7, first 2 shown]
	ds_load_2addr_b64 v[8:11], v56 offset0:64 offset1:96
	v_pk_fma_f16 v54, v60, v69, v54 op_sel_hi:[1,0,1]
	v_pk_fma_f16 v55, v60, v69, v55 op_sel:[0,1,0]
	ds_load_2addr_b64 v[57:60], v56 offset0:128 offset1:160
	s_waitcnt lgkmcnt(2)
	v_pk_fma_f16 v62, v4, v70, v62 op_sel_hi:[1,0,1]
	v_pk_fma_f16 v63, v4, v70, v63 op_sel:[0,1,0]
	v_pk_fma_f16 v64, v4, v71, v64 op_sel_hi:[1,0,1]
	v_pk_fma_f16 v65, v4, v71, v65 op_sel:[0,1,0]
	;; [unrolled: 2-line block ×8, first 2 shown]
	ds_load_2addr_b64 v[4:7], v56 offset0:192 offset1:224
	s_waitcnt lgkmcnt(2)
	v_pk_fma_f16 v93, v8, v70, v95 op_sel_hi:[1,0,1]
	v_pk_fma_f16 v80, v8, v70, v80 op_sel:[0,1,0]
	v_pk_fma_f16 v81, v8, v71, v81 op_sel_hi:[1,0,1]
	v_pk_fma_f16 v74, v8, v71, v74 op_sel:[0,1,0]
	;; [unrolled: 2-line block ×8, first 2 shown]
	s_waitcnt lgkmcnt(1)
	v_pk_fma_f16 v62, v57, v72, v62 op_sel_hi:[1,0,1]
	v_pk_fma_f16 v63, v57, v72, v63 op_sel:[0,1,0]
	v_pk_fma_f16 v64, v57, v73, v64 op_sel_hi:[1,0,1]
	v_pk_fma_f16 v65, v57, v73, v65 op_sel:[0,1,0]
	ds_load_2addr_b64 v[8:11], v53 offset1:32
	ds_load_b128 v[54:57], v43 offset:960
	v_pk_fma_f16 v66, v58, v72, v66 op_sel_hi:[1,0,1]
	v_pk_fma_f16 v67, v58, v72, v67 op_sel:[0,1,0]
	v_pk_fma_f16 v68, v58, v73, v68 op_sel_hi:[1,0,1]
	v_pk_fma_f16 v69, v58, v73, v69 op_sel:[0,1,0]
	;; [unrolled: 2-line block ×6, first 2 shown]
	s_waitcnt lgkmcnt(2)
	v_pk_fma_f16 v93, v4, v72, v93 op_sel_hi:[1,0,1]
	v_pk_fma_f16 v80, v4, v72, v80 op_sel:[0,1,0]
	v_pk_fma_f16 v94, v5, v72, v94 op_sel_hi:[1,0,1]
	v_pk_fma_f16 v85, v5, v72, v85 op_sel:[0,1,0]
	;; [unrolled: 2-line block ×4, first 2 shown]
	ds_load_2addr_b64 v[58:61], v53 offset0:64 offset1:96
	v_pk_fma_f16 v81, v4, v73, v81 op_sel_hi:[1,0,1]
	v_pk_fma_f16 v74, v4, v73, v74 op_sel:[0,1,0]
	v_pk_fma_f16 v87, v5, v73, v87 op_sel_hi:[1,0,1]
	v_pk_fma_f16 v75, v5, v73, v75 op_sel:[0,1,0]
	;; [unrolled: 2-line block ×4, first 2 shown]
	s_waitcnt lgkmcnt(1)
	v_pk_fma_f16 v73, v8, v54, v62 op_sel_hi:[1,0,1]
	v_pk_fma_f16 v99, v8, v54, v63 op_sel:[0,1,0]
	v_pk_fma_f16 v100, v8, v55, v64 op_sel_hi:[1,0,1]
	v_pk_fma_f16 v101, v8, v55, v65 op_sel:[0,1,0]
	v_pk_fma_f16 v66, v9, v54, v66 op_sel_hi:[1,0,1]
	v_pk_fma_f16 v67, v9, v54, v67 op_sel:[0,1,0]
	v_pk_fma_f16 v68, v9, v55, v68 op_sel_hi:[1,0,1]
	v_pk_fma_f16 v69, v9, v55, v69 op_sel:[0,1,0]
	v_pk_fma_f16 v77, v10, v54, v77 op_sel_hi:[1,0,1]
	v_pk_fma_f16 v88, v10, v54, v88 op_sel:[0,1,0]
	v_pk_fma_f16 v89, v10, v55, v89 op_sel_hi:[1,0,1]
	v_pk_fma_f16 v90, v10, v55, v90 op_sel:[0,1,0]
	v_pk_fma_f16 v91, v11, v54, v91 op_sel_hi:[1,0,1]
	v_pk_fma_f16 v78, v11, v54, v78 op_sel:[0,1,0]
	ds_load_2addr_b64 v[62:65], v53 offset0:128 offset1:160
	v_pk_fma_f16 v79, v11, v55, v79 op_sel_hi:[1,0,1]
	v_pk_fma_f16 v92, v11, v55, v92 op_sel:[0,1,0]
	ds_load_2addr_b64 v[8:11], v53 offset0:192 offset1:224
	s_waitcnt lgkmcnt(2)
	v_pk_fma_f16 v93, v58, v54, v93 op_sel_hi:[1,0,1]
	v_pk_fma_f16 v80, v58, v54, v80 op_sel:[0,1,0]
	v_pk_fma_f16 v94, v59, v54, v94 op_sel_hi:[1,0,1]
	v_pk_fma_f16 v85, v59, v54, v85 op_sel:[0,1,0]
	;; [unrolled: 2-line block ×4, first 2 shown]
	ds_load_b128 v[4:7], v43 offset:976
	v_pk_fma_f16 v81, v58, v55, v81 op_sel_hi:[1,0,1]
	v_pk_fma_f16 v74, v58, v55, v74 op_sel:[0,1,0]
	v_pk_fma_f16 v87, v59, v55, v87 op_sel_hi:[1,0,1]
	v_pk_fma_f16 v75, v59, v55, v75 op_sel:[0,1,0]
	v_pk_fma_f16 v97, v60, v55, v97 op_sel_hi:[1,0,1]
	v_pk_fma_f16 v76, v60, v55, v76 op_sel:[0,1,0]
	v_pk_fma_f16 v70, v61, v55, v70 op_sel_hi:[1,0,1]
	v_pk_fma_f16 v71, v61, v55, v71 op_sel:[0,1,0]
	s_waitcnt lgkmcnt(2)
	v_pk_fma_f16 v72, v62, v56, v73 op_sel_hi:[1,0,1]
	v_pk_fma_f16 v73, v62, v56, v99 op_sel:[0,1,0]
	v_pk_fma_f16 v66, v63, v56, v66 op_sel_hi:[1,0,1]
	v_pk_fma_f16 v67, v63, v56, v67 op_sel:[0,1,0]
	;; [unrolled: 2-line block ×6, first 2 shown]
	ds_load_2addr_b64 v[58:61], v52 offset1:32
	v_pk_fma_f16 v79, v65, v57, v79 op_sel_hi:[1,0,1]
	v_pk_fma_f16 v65, v65, v57, v92 op_sel:[0,1,0]
	s_waitcnt lgkmcnt(2)
	v_pk_fma_f16 v90, v8, v56, v93 op_sel_hi:[1,0,1]
	v_pk_fma_f16 v80, v8, v56, v80 op_sel:[0,1,0]
	v_pk_fma_f16 v91, v9, v56, v94 op_sel_hi:[1,0,1]
	v_pk_fma_f16 v85, v9, v56, v85 op_sel:[0,1,0]
	;; [unrolled: 2-line block ×4, first 2 shown]
	ds_load_2addr_b64 v[53:56], v52 offset0:64 offset1:96
	v_pk_fma_f16 v99, v62, v57, v100 op_sel_hi:[1,0,1]
	v_pk_fma_f16 v62, v62, v57, v101 op_sel:[0,1,0]
	v_pk_fma_f16 v81, v8, v57, v81 op_sel_hi:[1,0,1]
	v_pk_fma_f16 v74, v8, v57, v74 op_sel:[0,1,0]
	;; [unrolled: 2-line block ×5, first 2 shown]
	ds_load_2addr_b64 v[8:11], v52 offset0:128 offset1:160
	s_waitcnt lgkmcnt(2)
	v_pk_fma_f16 v71, v58, v4, v72 op_sel_hi:[1,0,1]
	v_pk_fma_f16 v72, v58, v4, v73 op_sel:[0,1,0]
	v_pk_fma_f16 v73, v58, v5, v99 op_sel_hi:[1,0,1]
	v_pk_fma_f16 v58, v58, v5, v62 op_sel:[0,1,0]
	;; [unrolled: 2-line block ×8, first 2 shown]
	s_waitcnt lgkmcnt(1)
	v_pk_fma_f16 v79, v53, v4, v90 op_sel_hi:[1,0,1]
	v_pk_fma_f16 v80, v53, v4, v80 op_sel:[0,1,0]
	v_pk_fma_f16 v81, v53, v5, v81 op_sel_hi:[1,0,1]
	v_pk_fma_f16 v74, v53, v5, v74 op_sel:[0,1,0]
	;; [unrolled: 2-line block ×6, first 2 shown]
	ds_load_2addr_b64 v[52:55], v52 offset0:192 offset1:224
	v_pk_fma_f16 v92, v56, v4, v95 op_sel_hi:[1,0,1]
	v_pk_fma_f16 v4, v56, v4, v96 op_sel:[0,1,0]
	v_pk_fma_f16 v70, v56, v5, v70 op_sel_hi:[1,0,1]
	v_pk_fma_f16 v5, v56, v5, v57 op_sel:[0,1,0]
	s_waitcnt lgkmcnt(1)
	v_pk_fma_f16 v71, v8, v6, v71 op_sel_hi:[1,0,1]
	v_pk_fma_f16 v72, v8, v6, v72 op_sel:[0,1,0]
	v_pk_fma_f16 v73, v8, v7, v73 op_sel_hi:[1,0,1]
	v_pk_fma_f16 v93, v8, v7, v58 op_sel:[0,1,0]
	;; [unrolled: 2-line block ×7, first 2 shown]
	v_pk_fma_f16 v78, v11, v7, v78 op_sel_hi:[1,0,1]
	ds_load_2addr_b64 v[56:59], v50 offset1:32
	ds_load_b128 v[60:63], v43 offset:992
	v_pk_fma_f16 v65, v11, v7, v65 op_sel:[0,1,0]
	ds_load_2addr_b64 v[8:11], v50 offset0:64 offset1:96
	s_waitcnt lgkmcnt(3)
	v_pk_fma_f16 v79, v52, v6, v79 op_sel_hi:[1,0,1]
	v_pk_fma_f16 v80, v52, v6, v80 op_sel:[0,1,0]
	v_pk_fma_f16 v81, v52, v7, v81 op_sel_hi:[1,0,1]
	v_pk_fma_f16 v74, v52, v7, v74 op_sel:[0,1,0]
	;; [unrolled: 2-line block ×8, first 2 shown]
	ds_load_2addr_b64 v[52:55], v50 offset0:128 offset1:160
	ds_load_b128 v[4:7], v43 offset:1008
	s_waitcnt lgkmcnt(3)
	v_pk_fma_f16 v71, v56, v60, v71 op_sel_hi:[1,0,1]
	v_pk_fma_f16 v72, v56, v60, v72 op_sel:[0,1,0]
	v_pk_fma_f16 v73, v56, v61, v73 op_sel_hi:[1,0,1]
	v_pk_fma_f16 v93, v56, v61, v93 op_sel:[0,1,0]
	v_pk_fma_f16 v94, v57, v60, v94 op_sel_hi:[1,0,1]
	v_pk_fma_f16 v66, v57, v60, v66 op_sel:[0,1,0]
	v_pk_fma_f16 v67, v57, v61, v67 op_sel_hi:[1,0,1]
	v_pk_fma_f16 v95, v57, v61, v95 op_sel:[0,1,0]
	v_pk_fma_f16 v96, v58, v60, v96 op_sel_hi:[1,0,1]
	v_pk_fma_f16 v68, v58, v60, v68 op_sel:[0,1,0]
	v_pk_fma_f16 v69, v58, v61, v69 op_sel_hi:[1,0,1]
	v_pk_fma_f16 v97, v58, v61, v97 op_sel:[0,1,0]
	v_pk_fma_f16 v64, v59, v60, v64 op_sel_hi:[1,0,1]
	v_pk_fma_f16 v77, v59, v60, v77 op_sel:[0,1,0]
	v_pk_fma_f16 v78, v59, v61, v78 op_sel_hi:[1,0,1]
	v_pk_fma_f16 v65, v59, v61, v65 op_sel:[0,1,0]
	s_waitcnt lgkmcnt(2)
	v_pk_fma_f16 v79, v8, v60, v79 op_sel_hi:[1,0,1]
	v_pk_fma_f16 v80, v8, v60, v80 op_sel:[0,1,0]
	v_pk_fma_f16 v81, v8, v61, v81 op_sel_hi:[1,0,1]
	v_pk_fma_f16 v74, v8, v61, v74 op_sel:[0,1,0]
	;; [unrolled: 2-line block ×7, first 2 shown]
	ds_load_2addr_b64 v[56:59], v50 offset0:192 offset1:224
	v_pk_fma_f16 v50, v11, v61, v70 op_sel_hi:[1,0,1]
	v_pk_fma_f16 v61, v11, v61, v99 op_sel:[0,1,0]
	ds_load_2addr_b64 v[8:11], v49 offset1:32
	s_waitcnt lgkmcnt(3)
	v_pk_fma_f16 v70, v52, v62, v71 op_sel_hi:[1,0,1]
	v_pk_fma_f16 v71, v52, v62, v72 op_sel:[0,1,0]
	v_pk_fma_f16 v72, v52, v63, v73 op_sel_hi:[1,0,1]
	v_pk_fma_f16 v73, v52, v63, v93 op_sel:[0,1,0]
	;; [unrolled: 2-line block ×8, first 2 shown]
	ds_load_2addr_b64 v[52:55], v49 offset0:64 offset1:96
	s_waitcnt lgkmcnt(2)
	v_pk_fma_f16 v79, v56, v62, v79 op_sel_hi:[1,0,1]
	v_pk_fma_f16 v80, v56, v62, v80 op_sel:[0,1,0]
	v_pk_fma_f16 v81, v56, v63, v81 op_sel_hi:[1,0,1]
	v_pk_fma_f16 v74, v56, v63, v74 op_sel:[0,1,0]
	;; [unrolled: 2-line block ×8, first 2 shown]
	s_waitcnt lgkmcnt(1)
	v_pk_fma_f16 v62, v8, v4, v70 op_sel_hi:[1,0,1]
	v_pk_fma_f16 v63, v8, v4, v71 op_sel:[0,1,0]
	v_pk_fma_f16 v70, v8, v5, v72 op_sel_hi:[1,0,1]
	v_pk_fma_f16 v71, v8, v5, v73 op_sel:[0,1,0]
	;; [unrolled: 2-line block ×7, first 2 shown]
	ds_load_2addr_b64 v[56:59], v49 offset0:128 offset1:160
	v_pk_fma_f16 v97, v11, v5, v78 op_sel_hi:[1,0,1]
	v_pk_fma_f16 v98, v11, v5, v65 op_sel:[0,1,0]
	ds_load_2addr_b64 v[8:11], v49 offset0:192 offset1:224
	s_waitcnt lgkmcnt(0)
	s_barrier
	buffer_gl0_inv
	s_load_b32 s8, s[4:5], 0x4
	v_pk_fma_f16 v79, v52, v4, v79 op_sel_hi:[1,0,1]
	v_pk_fma_f16 v99, v52, v4, v80 op_sel:[0,1,0]
	v_pk_fma_f16 v100, v52, v5, v81 op_sel_hi:[1,0,1]
	v_pk_fma_f16 v52, v52, v5, v74 op_sel:[0,1,0]
	;; [unrolled: 2-line block ×9, first 2 shown]
	v_pk_fma_f16 v61, v56, v7, v70 op_sel_hi:[1,0,1]
	s_waitcnt lgkmcnt(0)
	s_lshl_b32 s8, s8, 7
	v_pk_fma_f16 v56, v56, v7, v71 op_sel:[0,1,0]
	v_pk_fma_f16 v80, v57, v6, v72 op_sel_hi:[1,0,1]
	v_pk_fma_f16 v74, v57, v6, v73 op_sel:[0,1,0]
	v_pk_fma_f16 v65, v57, v7, v67 op_sel_hi:[1,0,1]
	;; [unrolled: 2-line block ×14, first 2 shown]
	v_pk_fma_f16 v49, v11, v7, v5 op_sel:[0,1,0]
	s_add_i32 s3, s8, s3
	s_delay_alu instid0(SALU_CYCLE_1)
	s_cmp_ge_i32 s3, s2
	s_cbranch_scc1 .LBB26_79
; %bb.78:                               ;   in Loop: Header=BB26_9 Depth=1
	v_dual_mov_b32 v93, v0 :: v_dual_mov_b32 v92, v82
	v_dual_mov_b32 v91, v1 :: v_dual_mov_b32 v90, v83
	;; [unrolled: 1-line block ×3, first 2 shown]
	v_mov_b32_e32 v87, v3
	v_mov_b32_e32 v85, v86
	s_branch .LBB26_9
.LBB26_79:
	v_mov_b32_e32 v8, v34
.LBB26_80:
	v_cmp_lt_i32_e32 vcc_lo, v51, v35
	s_cmp_lg_u64 s[24:25], 0
	s_cselect_b32 s2, -1, 0
	s_cmp_eq_u32 s14, 0
	v_cndmask_b32_e32 v4, v8, v51, vcc_lo
	v_cmp_lt_i32_e32 vcc_lo, v15, v35
	s_cselect_b32 s3, -1, 0
	s_delay_alu instid0(SALU_CYCLE_1) | instskip(SKIP_2) | instid1(VALU_DEP_2)
	s_and_b32 s2, s3, s2
	v_cndmask_b32_e32 v9, v8, v15, vcc_lo
	v_cmp_lt_i32_e32 vcc_lo, v14, v35
	v_lshlrev_b32_e32 v9, 2, v9
	v_lshlrev_b32_e32 v4, 2, v4
	ds_bpermute_b32 v5, v4, v82
	s_waitcnt lgkmcnt(0)
	v_add_f32_e32 v5, v82, v5
	ds_bpermute_b32 v7, v4, v84
	ds_bpermute_b32 v6, v4, v83
	ds_bpermute_b32 v4, v4, v86
	ds_bpermute_b32 v10, v9, v5
	s_waitcnt lgkmcnt(2)
	v_dual_add_f32 v7, v84, v7 :: v_dual_add_f32 v6, v83, v6
	s_waitcnt lgkmcnt(1)
	v_add_f32_e32 v4, v86, v4
	ds_bpermute_b32 v15, v9, v7
	ds_bpermute_b32 v11, v9, v6
	v_cndmask_b32_e32 v14, v8, v14, vcc_lo
	ds_bpermute_b32 v9, v9, v4
	v_cmp_lt_i32_e32 vcc_lo, v13, v35
	s_waitcnt lgkmcnt(3)
	v_add_f32_e32 v5, v5, v10
	v_cndmask_b32_e32 v13, v8, v13, vcc_lo
	v_cmp_lt_i32_e32 vcc_lo, v12, v35
	s_waitcnt lgkmcnt(2)
	v_add_f32_e32 v7, v7, v15
	s_waitcnt lgkmcnt(1)
	v_add_f32_e32 v6, v6, v11
	v_lshlrev_b32_e32 v14, 2, v14
	ds_bpermute_b32 v11, v14, v7
	s_waitcnt lgkmcnt(1)
	v_add_f32_e32 v4, v4, v9
	ds_bpermute_b32 v9, v14, v5
	ds_bpermute_b32 v10, v14, v6
	v_lshlrev_b32_e32 v13, 2, v13
	s_waitcnt lgkmcnt(2)
	v_add_f32_e32 v7, v7, v11
	ds_bpermute_b32 v14, v14, v4
	s_waitcnt lgkmcnt(1)
	v_dual_add_f32 v5, v5, v9 :: v_dual_add_f32 v6, v6, v10
	ds_bpermute_b32 v11, v13, v7
	ds_bpermute_b32 v10, v13, v6
	s_waitcnt lgkmcnt(2)
	v_add_f32_e32 v4, v4, v14
	ds_bpermute_b32 v9, v13, v5
	v_cndmask_b32_e32 v8, v8, v12, vcc_lo
	s_and_b32 vcc_lo, exec_lo, s2
	s_waitcnt lgkmcnt(2)
	v_add_f32_e32 v7, v7, v11
	ds_bpermute_b32 v13, v13, v4
	s_waitcnt lgkmcnt(1)
	v_dual_add_f32 v6, v6, v10 :: v_dual_add_f32 v5, v5, v9
	s_waitcnt lgkmcnt(0)
	v_dual_add_f32 v9, v4, v13 :: v_dual_lshlrev_b32 v8, 2, v8
	ds_bpermute_b32 v4, v8, v5
	ds_bpermute_b32 v10, v8, v6
	;; [unrolled: 1-line block ×4, first 2 shown]
	s_waitcnt lgkmcnt(2)
	v_dual_add_f32 v4, v5, v4 :: v_dual_add_f32 v5, v6, v10
	s_waitcnt lgkmcnt(0)
	v_dual_add_f32 v6, v7, v11 :: v_dual_add_f32 v7, v9, v8
	s_cbranch_vccz .LBB26_83
; %bb.81:
	v_dual_max_f32 v13, v1, v1 :: v_dual_add_nc_u32 v8, s12, v32
	s_delay_alu instid0(VALU_DEP_1) | instskip(NEXT) | instid1(VALU_DEP_1)
	v_ashrrev_i32_e32 v9, 31, v8
	v_lshlrev_b64 v[8:9], 2, v[8:9]
	s_delay_alu instid0(VALU_DEP_1) | instskip(NEXT) | instid1(VALU_DEP_2)
	v_add_co_u32 v8, vcc_lo, s24, v8
	v_add_co_ci_u32_e32 v9, vcc_lo, s25, v9, vcc_lo
	global_load_b128 v[8:11], v[8:9], off
	v_max_f32_e32 v12, v0, v0
	s_waitcnt vmcnt(0)
	v_dual_max_f32 v14, v2, v2 :: v_dual_max_f32 v15, v8, v8
	v_dual_max_f32 v19, v9, v9 :: v_dual_max_f32 v20, v10, v10
	v_max_f32_e32 v21, v11, v11
	s_delay_alu instid0(VALU_DEP_2) | instskip(NEXT) | instid1(VALU_DEP_1)
	v_dual_max_f32 v13, v13, v19 :: v_dual_max_f32 v14, v14, v20
	v_dual_max_f32 v18, v3, v3 :: v_dual_sub_f32 v19, v1, v13
	s_delay_alu instid0(VALU_DEP_1) | instskip(NEXT) | instid1(VALU_DEP_3)
	v_dual_max_f32 v12, v12, v15 :: v_dual_max_f32 v15, v18, v21
	v_sub_f32_e32 v10, v10, v14
	v_dual_sub_f32 v20, v2, v14 :: v_dual_sub_f32 v9, v9, v13
	s_delay_alu instid0(VALU_DEP_3) | instskip(NEXT) | instid1(VALU_DEP_4)
	v_sub_f32_e32 v18, v0, v12
	v_dual_sub_f32 v8, v8, v12 :: v_dual_sub_f32 v21, v3, v15
	v_dual_mov_b32 v0, v12 :: v_dual_mov_b32 v3, v15
	v_dual_mov_b32 v1, v13 :: v_dual_mov_b32 v2, v14
	s_delay_alu instid0(VALU_DEP_3) | instskip(SKIP_3) | instid1(VALU_DEP_4)
	v_dual_mul_f32 v13, 0x3fb8aa3b, v8 :: v_dual_mul_f32 v12, 0x3fb8aa3b, v18
	v_dual_mul_f32 v14, 0x3fb8aa3b, v19 :: v_dual_mul_f32 v23, 0x3fb8aa3b, v10
	v_sub_f32_e32 v11, v11, v15
	v_mul_f32_e32 v15, 0x3fb8aa3b, v9
	v_fma_f32 v26, 0x3fb8aa3b, v18, -v12
	v_rndne_f32_e32 v27, v12
	v_fma_f32 v28, 0x3fb8aa3b, v8, -v13
	v_rndne_f32_e32 v29, v13
	v_rndne_f32_e32 v39, v23
	v_fma_f32 v38, 0x3fb8aa3b, v10, -v23
	v_fmac_f32_e32 v26, 0x32a5705f, v18
	s_delay_alu instid0(VALU_DEP_4) | instskip(NEXT) | instid1(VALU_DEP_4)
	v_dual_fmac_f32 v28, 0x32a5705f, v8 :: v_dual_sub_f32 v13, v13, v29
	v_sub_f32_e32 v23, v23, v39
	v_sub_f32_e32 v12, v12, v27
	v_cvt_i32_f32_e32 v27, v27
	v_cvt_i32_f32_e32 v29, v29
	v_add_f32_e32 v13, v13, v28
	v_cmp_ngt_f32_e32 vcc_lo, 0xc2ce8ed0, v18
	v_add_f32_e32 v12, v12, v26
	v_dual_mul_f32 v22, 0x3fb8aa3b, v20 :: v_dual_mul_f32 v25, 0x3fb8aa3b, v11
	s_delay_alu instid0(VALU_DEP_4) | instskip(SKIP_1) | instid1(VALU_DEP_3)
	v_exp_f32_e32 v13, v13
	v_fma_f32 v30, 0x3fb8aa3b, v19, -v14
	v_exp_f32_e32 v12, v12
	v_rndne_f32_e32 v33, v14
	v_fma_f32 v34, 0x3fb8aa3b, v9, -v15
	v_rndne_f32_e32 v35, v15
	v_mul_f32_e32 v24, 0x3fb8aa3b, v21
	v_rndne_f32_e32 v43, v25
	v_sub_f32_e32 v14, v14, v33
	v_fma_f32 v42, 0x3fb8aa3b, v11, -v25
	v_ldexp_f32 v13, v13, v29
	v_sub_f32_e32 v15, v15, v35
	v_sub_f32_e32 v25, v25, v43
	v_ldexp_f32 v12, v12, v27
	v_cvt_i32_f32_e32 v33, v33
	v_fma_f32 v36, 0x3fb8aa3b, v20, -v22
	v_rndne_f32_e32 v37, v22
	v_cvt_i32_f32_e32 v35, v35
	v_cndmask_b32_e32 v12, 0, v12, vcc_lo
	v_cmp_ngt_f32_e32 vcc_lo, 0xc2ce8ed0, v8
	v_fmac_f32_e32 v38, 0x32a5705f, v10
	v_fmac_f32_e32 v42, 0x32a5705f, v11
	;; [unrolled: 1-line block ×3, first 2 shown]
	v_fma_f32 v40, 0x3fb8aa3b, v21, -v24
	v_cndmask_b32_e32 v13, 0, v13, vcc_lo
	v_dual_fmac_f32 v34, 0x32a5705f, v9 :: v_dual_add_f32 v23, v23, v38
	v_fmac_f32_e32 v30, 0x32a5705f, v19
	v_cmp_ngt_f32_e32 vcc_lo, 0xc2ce8ed0, v19
	v_add_f32_e32 v25, v25, v42
	s_delay_alu instid0(VALU_DEP_4)
	v_add_f32_e32 v15, v15, v34
	v_exp_f32_e32 v23, v23
	v_add_f32_e32 v14, v14, v30
	v_rndne_f32_e32 v41, v24
	v_cvt_i32_f32_e32 v39, v39
	v_exp_f32_e32 v15, v15
	v_exp_f32_e32 v25, v25
	;; [unrolled: 1-line block ×3, first 2 shown]
	v_cvt_i32_f32_e32 v26, v41
	v_cvt_i32_f32_e32 v28, v43
	v_ldexp_f32 v23, v23, v39
	s_delay_alu instid0(TRANS32_DEP_3) | instskip(SKIP_3) | instid1(VALU_DEP_1)
	v_ldexp_f32 v15, v15, v35
	s_waitcnt_depctr 0xfff
	v_ldexp_f32 v25, v25, v28
	v_ldexp_f32 v14, v14, v33
	v_cndmask_b32_e32 v14, 0, v14, vcc_lo
	v_cmp_ngt_f32_e32 vcc_lo, 0xc2ce8ed0, v9
	v_sub_f32_e32 v22, v22, v37
	v_cvt_i32_f32_e32 v37, v37
	v_dual_sub_f32 v24, v24, v41 :: v_dual_cndmask_b32 v15, 0, v15
	s_delay_alu instid0(VALU_DEP_3) | instskip(SKIP_1) | instid1(VALU_DEP_2)
	v_add_f32_e32 v22, v22, v36
	v_cmp_ngt_f32_e32 vcc_lo, 0xc2ce8ed0, v20
	v_exp_f32_e32 v22, v22
	s_waitcnt_depctr 0xfff
	v_ldexp_f32 v22, v22, v37
	s_delay_alu instid0(VALU_DEP_1) | instskip(SKIP_2) | instid1(VALU_DEP_1)
	v_cndmask_b32_e32 v22, 0, v22, vcc_lo
	v_cmp_ngt_f32_e32 vcc_lo, 0xc2ce8ed0, v10
	v_dual_fmac_f32 v40, 0x32a5705f, v21 :: v_dual_cndmask_b32 v23, 0, v23
	v_add_f32_e32 v24, v24, v40
	v_cmp_ngt_f32_e32 vcc_lo, 0xc2ce8ed0, v21
	s_delay_alu instid0(VALU_DEP_2) | instskip(SKIP_2) | instid1(VALU_DEP_1)
	v_exp_f32_e32 v24, v24
	s_waitcnt_depctr 0xfff
	v_ldexp_f32 v24, v24, v26
	v_cndmask_b32_e32 v24, 0, v24, vcc_lo
	v_cmp_ngt_f32_e32 vcc_lo, 0xc2ce8ed0, v11
	v_cndmask_b32_e32 v25, 0, v25, vcc_lo
	v_cmp_nlt_f32_e32 vcc_lo, 0x42b17218, v18
	v_cndmask_b32_e32 v12, 0x7f800000, v12, vcc_lo
	v_cmp_nlt_f32_e32 vcc_lo, 0x42b17218, v8
	;; [unrolled: 2-line block ×3, first 2 shown]
	s_delay_alu instid0(VALU_DEP_2) | instskip(SKIP_4) | instid1(VALU_DEP_3)
	v_dual_fmac_f32 v8, v4, v12 :: v_dual_cndmask_b32 v13, 0x7f800000, v14
	v_cmp_nlt_f32_e32 vcc_lo, 0x42b17218, v9
	v_cvt_f16_f32_e32 v4, v12
	v_cndmask_b32_e32 v9, 0x7f800000, v15, vcc_lo
	v_cmp_nlt_f32_e32 vcc_lo, 0x42b17218, v20
	v_pk_mul_f16 v69, v4, v69 op_sel_hi:[0,1]
	v_pk_mul_f16 v80, v4, v80 op_sel_hi:[0,1]
	;; [unrolled: 1-line block ×3, first 2 shown]
	v_dual_fmac_f32 v9, v5, v13 :: v_dual_cndmask_b32 v14, 0x7f800000, v22
	v_cmp_nlt_f32_e32 vcc_lo, 0x42b17218, v10
	v_cvt_f16_f32_e32 v5, v13
	v_pk_mul_f16 v81, v4, v81 op_sel_hi:[0,1]
	v_pk_mul_f16 v77, v4, v77 op_sel_hi:[0,1]
	;; [unrolled: 1-line block ×3, first 2 shown]
	v_cndmask_b32_e32 v10, 0x7f800000, v23, vcc_lo
	v_cmp_nlt_f32_e32 vcc_lo, 0x42b17218, v21
	v_pk_mul_f16 v75, v4, v75 op_sel_hi:[0,1]
	v_pk_mul_f16 v76, v4, v76 op_sel_hi:[0,1]
	;; [unrolled: 1-line block ×3, first 2 shown]
	v_dual_fmac_f32 v10, v6, v14 :: v_dual_cndmask_b32 v15, 0x7f800000, v24
	v_cmp_nlt_f32_e32 vcc_lo, 0x42b17218, v11
	v_cvt_f16_f32_e32 v6, v14
	v_pk_mul_f16 v74, v5, v74 op_sel_hi:[0,1]
	v_pk_mul_f16 v71, v5, v71 op_sel_hi:[0,1]
	;; [unrolled: 1-line block ×3, first 2 shown]
	v_cndmask_b32_e32 v11, 0x7f800000, v25, vcc_lo
	v_pk_mul_f16 v70, v5, v70 op_sel_hi:[0,1]
	v_pk_mul_f16 v72, v5, v72 op_sel_hi:[0,1]
	;; [unrolled: 1-line block ×4, first 2 shown]
	v_fmac_f32_e32 v11, v7, v15
	v_cvt_f16_f32_e32 v7, v15
	v_pk_mul_f16 v61, v6, v61 op_sel_hi:[0,1]
	v_pk_mul_f16 v65, v6, v65 op_sel_hi:[0,1]
	;; [unrolled: 1-line block ×16, first 2 shown]
	v_dual_mov_b32 v4, v8 :: v_dual_mov_b32 v5, v9
	v_dual_mov_b32 v6, v10 :: v_dual_mov_b32 v7, v11
	s_mov_b32 s2, exec_lo
	v_cmpx_gt_i32_e64 s6, v16
	s_cbranch_execnz .LBB26_84
.LBB26_82:
	s_nop 0
	s_sendmsg sendmsg(MSG_DEALLOC_VGPRS)
	s_endpgm
.LBB26_83:
	s_delay_alu instid0(VALU_DEP_1)
	v_dual_mov_b32 v11, v7 :: v_dual_mov_b32 v10, v6
	v_dual_mov_b32 v9, v5 :: v_dual_mov_b32 v8, v4
	s_mov_b32 s2, exec_lo
	v_cmpx_gt_i32_e64 s6, v16
	s_cbranch_execz .LBB26_82
.LBB26_84:
	s_load_b32 s1, s[0:1], 0xd4
	v_mov_b32_e32 v14, 1.0
	s_waitcnt lgkmcnt(0)
	s_cmp_lg_u32 s1, 1
	s_cselect_b32 s3, -1, 0
	s_cmp_eq_u32 s1, 1
	s_cselect_b32 s2, -1, 0
	s_and_b32 vcc_lo, exec_lo, s3
	s_cbranch_vccnz .LBB26_86
; %bb.85:
	v_div_scale_f32 v12, null, v4, v4, 1.0
	s_delay_alu instid0(VALU_DEP_1) | instskip(SKIP_2) | instid1(VALU_DEP_1)
	v_rcp_f32_e32 v13, v12
	s_waitcnt_depctr 0xfff
	v_fma_f32 v14, -v12, v13, 1.0
	v_fmac_f32_e32 v13, v14, v13
	v_div_scale_f32 v14, vcc_lo, 1.0, v4, 1.0
	s_delay_alu instid0(VALU_DEP_1) | instskip(NEXT) | instid1(VALU_DEP_1)
	v_mul_f32_e32 v15, v14, v13
	v_fma_f32 v18, -v12, v15, v14
	s_delay_alu instid0(VALU_DEP_1) | instskip(NEXT) | instid1(VALU_DEP_1)
	v_fmac_f32_e32 v15, v18, v13
	v_fma_f32 v12, -v12, v15, v14
	s_delay_alu instid0(VALU_DEP_1) | instskip(NEXT) | instid1(VALU_DEP_1)
	v_div_fmas_f32 v12, v12, v13, v15
	v_div_fixup_f32 v14, v12, v4, 1.0
.LBB26_86:
	v_mad_u64_u32 v[12:13], null, s33, s6, v[16:17]
	v_cmp_eq_u32_e32 vcc_lo, 0, v17
	v_lshrrev_b32_e32 v4, 16, v80
	v_cvt_f32_f16_e32 v15, v80
	v_cvt_f32_f16_e32 v18, v69
	v_mov_b32_e32 v28, 0
	v_lshrrev_b32_e32 v19, 16, v81
	v_mul_lo_u32 v12, v12, s7
	v_cvt_f32_f16_e32 v23, v78
	v_cvt_f32_f16_e32 v4, v4
	v_lshrrev_b32_e32 v16, 16, v69
	v_lshrrev_b32_e32 v25, 16, v79
	v_cvt_f32_f16_e32 v29, v19
	v_mul_f32_e32 v19, v14, v23
	v_cvt_f32_f16_e32 v20, v81
	v_add3_u32 v17, s12, v32, v12
	v_lshrrev_b32_e32 v22, 16, v78
	v_cvt_f32_f16_e32 v38, v25
	v_lshrrev_b32_e32 v37, 16, v77
	v_cvt_f32_f16_e32 v36, v79
	v_mad_u64_u32 v[12:13], null, s1, v17, s[14:15]
	v_mul_f32_e32 v17, v14, v15
	v_dual_mul_f32 v15, v14, v18 :: v_dual_mov_b32 v24, v28
	v_cvt_f32_f16_e32 v13, v16
	v_dual_mul_f32 v21, v14, v20 :: v_dual_mov_b32 v30, v28
	v_lshl_add_u32 v27, v12, 9, v31
	v_mul_f32_e32 v18, v14, v4
	s_delay_alu instid0(VALU_DEP_4)
	v_mul_f32_e32 v16, v14, v13
	v_cvt_f32_f16_e32 v13, v77
	v_cvt_f32_f16_e32 v20, v22
	v_add_nc_u32_e32 v23, 0x80, v27
	v_lshlrev_b64 v[25:26], 2, v[27:28]
	v_dual_mul_f32 v22, v14, v29 :: v_dual_add_nc_u32 v29, 0x100, v27
	v_add_nc_u32_e32 v27, 0x180, v27
	s_delay_alu instid0(VALU_DEP_4) | instskip(SKIP_2) | instid1(VALU_DEP_1)
	v_lshlrev_b64 v[23:24], 2, v[23:24]
	v_cvt_f32_f16_e32 v4, v37
	v_add_co_u32 v32, s0, s28, v25
	v_add_co_ci_u32_e64 v33, s0, s29, v26, s0
	s_delay_alu instid0(VALU_DEP_4)
	v_add_co_u32 v34, s0, s28, v23
	v_mul_f32_e32 v23, v14, v13
	v_lshrrev_b32_e32 v13, 16, v75
	v_lshlrev_b64 v[29:30], 2, v[29:30]
	v_add_co_ci_u32_e64 v35, s0, s29, v24, s0
	v_mul_f32_e32 v24, v14, v4
	v_lshrrev_b32_e32 v4, 16, v76
	v_mul_f32_e32 v26, v14, v38
	v_lshlrev_b64 v[38:39], 2, v[27:28]
	v_cvt_f32_f16_e32 v13, v13
	v_mul_f32_e32 v25, v14, v36
	v_add_co_u32 v36, s0, s28, v29
	v_cvt_f32_f16_e32 v4, v4
	v_cvt_f32_f16_e32 v29, v76
	;; [unrolled: 1-line block ×3, first 2 shown]
	v_add_co_ci_u32_e64 v37, s0, s29, v30, s0
	v_mul_f32_e32 v28, v14, v13
	v_add_co_u32 v13, s0, s28, v38
	v_mul_f32_e32 v20, v14, v20
	v_mul_f32_e32 v30, v14, v4
	;; [unrolled: 1-line block ×4, first 2 shown]
	v_add_co_ci_u32_e64 v14, s0, s29, v39, s0
	s_and_b32 s0, vcc_lo, s3
	s_clause 0x3
	global_store_b128 v[32:33], v[15:18], off
	global_store_b128 v[34:35], v[19:22], off
	;; [unrolled: 1-line block ×4, first 2 shown]
	s_and_saveexec_b32 s3, s0
	s_cbranch_execz .LBB26_88
; %bb.87:
	v_ashrrev_i32_e32 v13, 31, v12
	v_mov_b32_e32 v15, v0
	v_mov_b32_e32 v16, v8
	s_delay_alu instid0(VALU_DEP_3) | instskip(NEXT) | instid1(VALU_DEP_1)
	v_lshlrev_b64 v[13:14], 3, v[12:13]
	v_add_co_u32 v13, vcc_lo, s30, v13
	s_delay_alu instid0(VALU_DEP_2)
	v_add_co_ci_u32_e32 v14, vcc_lo, s31, v14, vcc_lo
	global_store_b64 v[13:14], v[15:16], off
.LBB26_88:
	s_or_b32 exec_lo, exec_lo, s3
	v_cndmask_b32_e64 v13, 0, 1, s2
	v_mov_b32_e32 v0, 1.0
	s_and_not1_b32 vcc_lo, exec_lo, s2
	s_cbranch_vccnz .LBB26_90
; %bb.89:
	v_div_scale_f32 v0, null, v5, v5, 1.0
	s_delay_alu instid0(VALU_DEP_1) | instskip(SKIP_2) | instid1(VALU_DEP_1)
	v_rcp_f32_e32 v4, v0
	s_waitcnt_depctr 0xfff
	v_fma_f32 v8, -v0, v4, 1.0
	v_fmac_f32_e32 v4, v8, v4
	v_div_scale_f32 v8, vcc_lo, 1.0, v5, 1.0
	s_delay_alu instid0(VALU_DEP_1) | instskip(NEXT) | instid1(VALU_DEP_1)
	v_mul_f32_e32 v14, v8, v4
	v_fma_f32 v15, -v0, v14, v8
	s_delay_alu instid0(VALU_DEP_1) | instskip(NEXT) | instid1(VALU_DEP_1)
	v_fmac_f32_e32 v14, v15, v4
	v_fma_f32 v0, -v0, v14, v8
	s_delay_alu instid0(VALU_DEP_1) | instskip(NEXT) | instid1(VALU_DEP_1)
	v_div_fmas_f32 v0, v0, v4, v14
	v_div_fixup_f32 v0, v0, v5, 1.0
.LBB26_90:
	v_dual_mov_b32 v27, 0 :: v_dual_add_nc_u32 v4, s1, v12
	v_lshrrev_b32_e32 v5, 16, v74
	v_cvt_f32_f16_e32 v8, v74
	v_lshrrev_b32_e32 v20, 16, v73
	s_delay_alu instid0(VALU_DEP_4)
	v_lshl_add_u32 v26, v4, 9, v31
	v_lshrrev_b32_e32 v12, 16, v66
	v_cvt_f32_f16_e32 v5, v5
	v_mul_f32_e32 v16, v0, v8
	v_cvt_f32_f16_e32 v8, v20
	v_lshlrev_b64 v[18:19], 2, v[26:27]
	v_cvt_f32_f16_e32 v14, v66
	v_mul_f32_e32 v17, v0, v5
	v_lshrrev_b32_e32 v5, 16, v71
	v_cvt_f32_f16_e32 v12, v12
	v_mul_f32_e32 v21, v0, v8
	v_add_co_u32 v32, vcc_lo, s28, v18
	v_add_co_ci_u32_e32 v33, vcc_lo, s29, v19, vcc_lo
	v_dual_mov_b32 v19, v27 :: v_dual_add_nc_u32 v18, 0x80, v26
	v_cvt_f32_f16_e32 v5, v5
	v_lshrrev_b32_e32 v8, 16, v70
	v_mul_f32_e32 v14, v0, v14
	v_mul_f32_e32 v15, v0, v12
	v_lshlrev_b64 v[22:23], 2, v[18:19]
	v_mul_f32_e32 v19, v0, v5
	v_lshrrev_b32_e32 v5, 16, v72
	v_cvt_f32_f16_e32 v12, v73
	v_cvt_f32_f16_e32 v8, v8
	;; [unrolled: 1-line block ×3, first 2 shown]
	v_add_co_u32 v34, vcc_lo, s28, v22
	v_add_nc_u32_e32 v22, 0x100, v26
	v_add_co_ci_u32_e32 v35, vcc_lo, s29, v23, vcc_lo
	v_mov_b32_e32 v23, v27
	v_cvt_f32_f16_e32 v5, v5
	v_add_nc_u32_e32 v26, 0x180, v26
	v_mul_f32_e32 v20, v0, v12
	v_cvt_f32_f16_e32 v12, v72
	v_lshlrev_b64 v[28:29], 2, v[22:23]
	v_cvt_f32_f16_e32 v30, v70
	v_mul_f32_e32 v25, v0, v5
	v_mul_f32_e32 v23, v0, v8
	v_lshrrev_b32_e32 v5, 16, v68
	v_lshrrev_b32_e32 v8, 16, v67
	v_lshlrev_b64 v[38:39], 2, v[26:27]
	v_mul_f32_e32 v18, v0, v24
	v_mul_f32_e32 v24, v0, v12
	;; [unrolled: 1-line block ×3, first 2 shown]
	v_add_co_u32 v36, vcc_lo, s28, v28
	v_cvt_f32_f16_e32 v5, v5
	v_cvt_f32_f16_e32 v12, v68
	;; [unrolled: 1-line block ×4, first 2 shown]
	v_add_co_ci_u32_e32 v37, vcc_lo, s29, v29, vcc_lo
	v_add_co_u32 v38, vcc_lo, s28, v38
	v_mul_f32_e32 v29, v0, v5
	v_mul_f32_e32 v28, v0, v12
	;; [unrolled: 1-line block ×4, first 2 shown]
	v_add_co_ci_u32_e32 v39, vcc_lo, s29, v39, vcc_lo
	s_clause 0x3
	global_store_b128 v[32:33], v[14:17], off
	global_store_b128 v[34:35], v[18:21], off
	;; [unrolled: 1-line block ×4, first 2 shown]
	s_and_saveexec_b32 s2, s0
	s_cbranch_execz .LBB26_92
; %bb.91:
	v_ashrrev_i32_e32 v5, 31, v4
	v_mov_b32_e32 v8, v1
	s_delay_alu instid0(VALU_DEP_2) | instskip(NEXT) | instid1(VALU_DEP_1)
	v_lshlrev_b64 v[14:15], 3, v[4:5]
	v_add_co_u32 v14, vcc_lo, s30, v14
	s_delay_alu instid0(VALU_DEP_2)
	v_add_co_ci_u32_e32 v15, vcc_lo, s31, v15, vcc_lo
	global_store_b64 v[14:15], v[8:9], off
.LBB26_92:
	s_or_b32 exec_lo, exec_lo, s2
	v_cmp_ne_u32_e32 vcc_lo, 1, v13
	v_mov_b32_e32 v1, 1.0
	s_cbranch_vccnz .LBB26_94
; %bb.93:
	v_div_scale_f32 v0, null, v6, v6, 1.0
	s_delay_alu instid0(VALU_DEP_1) | instskip(SKIP_2) | instid1(VALU_DEP_1)
	v_rcp_f32_e32 v1, v0
	s_waitcnt_depctr 0xfff
	v_fma_f32 v5, -v0, v1, 1.0
	v_fmac_f32_e32 v1, v5, v1
	v_div_scale_f32 v5, vcc_lo, 1.0, v6, 1.0
	s_delay_alu instid0(VALU_DEP_1) | instskip(NEXT) | instid1(VALU_DEP_1)
	v_mul_f32_e32 v8, v5, v1
	v_fma_f32 v9, -v0, v8, v5
	s_delay_alu instid0(VALU_DEP_1) | instskip(NEXT) | instid1(VALU_DEP_1)
	v_fmac_f32_e32 v8, v9, v1
	v_fma_f32 v0, -v0, v8, v5
	s_delay_alu instid0(VALU_DEP_1) | instskip(NEXT) | instid1(VALU_DEP_1)
	v_div_fmas_f32 v0, v0, v1, v8
	v_div_fixup_f32 v1, v0, v6, 1.0
.LBB26_94:
	v_lshrrev_b32_e32 v6, 16, v65
	v_dual_mov_b32 v5, 0 :: v_dual_add_nc_u32 v0, s1, v4
	v_cvt_f32_f16_e32 v12, v65
	v_lshrrev_b32_e32 v18, 16, v64
	s_delay_alu instid0(VALU_DEP_4) | instskip(NEXT) | instid1(VALU_DEP_4)
	v_cvt_f32_f16_e32 v6, v6
	v_lshl_add_u32 v4, v0, 9, v31
	v_lshrrev_b32_e32 v8, 16, v61
	v_mul_f32_e32 v16, v1, v12
	v_cvt_f32_f16_e32 v12, v18
	s_delay_alu instid0(VALU_DEP_4)
	v_dual_mul_f32 v17, v1, v6 :: v_dual_add_nc_u32 v18, 0x80, v4
	v_lshrrev_b32_e32 v6, 16, v62
	v_mov_b32_e32 v19, v5
	v_cvt_f32_f16_e32 v15, v8
	v_lshlrev_b64 v[8:9], 2, v[4:5]
	v_mul_f32_e32 v21, v1, v12
	v_cvt_f32_f16_e32 v6, v6
	v_lshlrev_b64 v[22:23], 2, v[18:19]
	v_lshrrev_b32_e32 v12, 16, v60
	v_mul_f32_e32 v15, v1, v15
	v_add_co_u32 v8, vcc_lo, s28, v8
	v_mul_f32_e32 v19, v1, v6
	v_lshrrev_b32_e32 v6, 16, v63
	v_add_co_ci_u32_e32 v9, vcc_lo, s29, v9, vcc_lo
	v_add_co_u32 v32, vcc_lo, s28, v22
	v_add_nc_u32_e32 v22, 0x100, v4
	v_add_co_ci_u32_e32 v33, vcc_lo, s29, v23, vcc_lo
	v_mov_b32_e32 v23, v5
	v_cvt_f32_f16_e32 v6, v6
	v_cvt_f32_f16_e32 v12, v12
	v_add_nc_u32_e32 v4, 0x180, v4
	v_cvt_f32_f16_e32 v24, v62
	v_lshlrev_b64 v[26:27], 2, v[22:23]
	v_mul_f32_e32 v25, v1, v6
	v_mul_f32_e32 v23, v1, v12
	v_lshrrev_b32_e32 v6, 16, v59
	v_lshrrev_b32_e32 v12, 16, v58
	v_cvt_f32_f16_e32 v14, v61
	v_lshlrev_b64 v[4:5], 2, v[4:5]
	v_cvt_f32_f16_e32 v20, v64
	v_mul_f32_e32 v18, v1, v24
	v_cvt_f32_f16_e32 v24, v63
	v_cvt_f32_f16_e32 v28, v60
	v_add_co_u32 v34, vcc_lo, s28, v26
	v_cvt_f32_f16_e32 v6, v6
	v_cvt_f32_f16_e32 v26, v59
	;; [unrolled: 1-line block ×4, first 2 shown]
	v_mul_f32_e32 v14, v1, v14
	v_add_co_ci_u32_e32 v35, vcc_lo, s29, v27, vcc_lo
	v_mul_f32_e32 v20, v1, v20
	v_add_co_u32 v4, vcc_lo, s28, v4
	v_mul_f32_e32 v24, v1, v24
	v_mul_f32_e32 v22, v1, v28
	v_mul_f32_e32 v29, v1, v6
	v_mul_f32_e32 v28, v1, v26
	v_mul_f32_e32 v27, v1, v12
	v_mul_f32_e32 v26, v1, v30
	v_add_co_ci_u32_e32 v5, vcc_lo, s29, v5, vcc_lo
	s_clause 0x3
	global_store_b128 v[8:9], v[14:17], off
	global_store_b128 v[32:33], v[18:21], off
	;; [unrolled: 1-line block ×4, first 2 shown]
	s_and_saveexec_b32 s2, s0
	s_cbranch_execz .LBB26_96
; %bb.95:
	v_ashrrev_i32_e32 v1, 31, v0
	v_mov_b32_e32 v9, v2
	s_delay_alu instid0(VALU_DEP_2) | instskip(NEXT) | instid1(VALU_DEP_1)
	v_lshlrev_b64 v[4:5], 3, v[0:1]
	v_add_co_u32 v4, vcc_lo, s30, v4
	s_delay_alu instid0(VALU_DEP_2)
	v_add_co_ci_u32_e32 v5, vcc_lo, s31, v5, vcc_lo
	global_store_b64 v[4:5], v[9:10], off
.LBB26_96:
	s_or_b32 exec_lo, exec_lo, s2
	v_cmp_ne_u32_e32 vcc_lo, 1, v13
	v_mov_b32_e32 v1, 1.0
	s_cbranch_vccnz .LBB26_98
; %bb.97:
	v_div_scale_f32 v1, null, v7, v7, 1.0
	s_delay_alu instid0(VALU_DEP_1) | instskip(SKIP_2) | instid1(VALU_DEP_1)
	v_rcp_f32_e32 v2, v1
	s_waitcnt_depctr 0xfff
	v_fma_f32 v4, -v1, v2, 1.0
	v_fmac_f32_e32 v2, v4, v2
	v_div_scale_f32 v4, vcc_lo, 1.0, v7, 1.0
	s_delay_alu instid0(VALU_DEP_1) | instskip(NEXT) | instid1(VALU_DEP_1)
	v_mul_f32_e32 v5, v4, v2
	v_fma_f32 v6, -v1, v5, v4
	s_delay_alu instid0(VALU_DEP_1) | instskip(NEXT) | instid1(VALU_DEP_1)
	v_fmac_f32_e32 v5, v6, v2
	v_fma_f32 v1, -v1, v5, v4
	s_delay_alu instid0(VALU_DEP_1) | instskip(NEXT) | instid1(VALU_DEP_1)
	v_div_fmas_f32 v1, v1, v2, v5
	v_div_fixup_f32 v1, v1, v7, 1.0
.LBB26_98:
	v_dual_mov_b32 v9, 0 :: v_dual_add_nc_u32 v0, s1, v0
	v_lshrrev_b32_e32 v2, 16, v57
	v_cvt_f32_f16_e32 v4, v57
	v_cvt_f32_f16_e32 v7, v56
	s_delay_alu instid0(VALU_DEP_4)
	v_lshl_add_u32 v8, v0, 9, v31
	v_lshrrev_b32_e32 v10, 16, v55
	v_cvt_f32_f16_e32 v2, v2
	v_mul_f32_e32 v6, v1, v4
	v_mul_f32_e32 v4, v1, v7
	v_lshlrev_b64 v[12:13], 2, v[8:9]
	v_lshrrev_b32_e32 v5, 16, v56
	v_mul_f32_e32 v7, v1, v2
	v_lshrrev_b32_e32 v2, 16, v53
	v_cvt_f32_f16_e32 v10, v10
	v_cvt_f32_f16_e32 v18, v53
	v_add_co_u32 v24, vcc_lo, s28, v12
	v_add_nc_u32_e32 v12, 0x80, v8
	v_add_co_ci_u32_e32 v25, vcc_lo, s29, v13, vcc_lo
	v_mov_b32_e32 v13, v9
	v_cvt_f32_f16_e32 v2, v2
	v_cvt_f32_f16_e32 v5, v5
	v_mul_f32_e32 v15, v1, v10
	v_lshrrev_b32_e32 v10, 16, v52
	v_lshlrev_b64 v[16:17], 2, v[12:13]
	v_mul_f32_e32 v13, v1, v2
	v_lshrrev_b32_e32 v2, 16, v54
	v_mul_f32_e32 v5, v1, v5
	v_cvt_f32_f16_e32 v10, v10
	v_cvt_f32_f16_e32 v14, v55
	v_add_co_u32 v26, vcc_lo, s28, v16
	v_add_nc_u32_e32 v16, 0x100, v8
	v_add_co_ci_u32_e32 v27, vcc_lo, s29, v17, vcc_lo
	v_mov_b32_e32 v17, v9
	v_cvt_f32_f16_e32 v2, v2
	v_add_nc_u32_e32 v8, 0x180, v8
	v_mul_f32_e32 v12, v1, v18
	v_cvt_f32_f16_e32 v18, v54
	v_lshlrev_b64 v[20:21], 2, v[16:17]
	v_mul_f32_e32 v19, v1, v2
	v_mul_f32_e32 v17, v1, v10
	v_lshrrev_b32_e32 v2, 16, v49
	v_lshrrev_b32_e32 v10, 16, v50
	v_lshlrev_b64 v[8:9], 2, v[8:9]
	v_cvt_f32_f16_e32 v22, v52
	v_add_co_u32 v28, vcc_lo, s28, v20
	v_cvt_f32_f16_e32 v2, v2
	v_cvt_f32_f16_e32 v20, v49
	;; [unrolled: 1-line block ×4, first 2 shown]
	v_add_co_ci_u32_e32 v29, vcc_lo, s29, v21, vcc_lo
	v_mul_f32_e32 v14, v1, v14
	v_mul_f32_e32 v18, v1, v18
	;; [unrolled: 1-line block ×7, first 2 shown]
	v_add_co_u32 v1, vcc_lo, s28, v8
	v_add_co_ci_u32_e32 v2, vcc_lo, s29, v9, vcc_lo
	s_clause 0x3
	global_store_b128 v[24:25], v[4:7], off
	global_store_b128 v[26:27], v[12:15], off
	;; [unrolled: 1-line block ×4, first 2 shown]
	s_and_b32 exec_lo, exec_lo, s0
	s_cbranch_execz .LBB26_82
; %bb.99:
	v_ashrrev_i32_e32 v1, 31, v0
	v_mov_b32_e32 v10, v3
	s_delay_alu instid0(VALU_DEP_2) | instskip(NEXT) | instid1(VALU_DEP_1)
	v_lshlrev_b64 v[0:1], 3, v[0:1]
	v_add_co_u32 v0, vcc_lo, s30, v0
	s_delay_alu instid0(VALU_DEP_2)
	v_add_co_ci_u32_e32 v1, vcc_lo, s31, v1, vcc_lo
	global_store_b64 v[0:1], v[10:11], off
	s_nop 0
	s_sendmsg sendmsg(MSG_DEALLOC_VGPRS)
	s_endpgm
	.section	.rodata,"a",@progbits
	.p2align	6, 0x0
	.amdhsa_kernel _ZL15flash_attn_tileILi512ELi512ELi4ELi8ELb1EEvPKcS1_S1_S1_S1_PKiPfP15HIP_vector_typeIfLj2EEffffjfiS5_IjLj3EEiiiiiiiiiiiliiliiiiil
		.amdhsa_group_segment_fixed_size 59392
		.amdhsa_private_segment_fixed_size 0
		.amdhsa_kernarg_size 464
		.amdhsa_user_sgpr_count 13
		.amdhsa_user_sgpr_dispatch_ptr 0
		.amdhsa_user_sgpr_queue_ptr 0
		.amdhsa_user_sgpr_kernarg_segment_ptr 1
		.amdhsa_user_sgpr_dispatch_id 0
		.amdhsa_user_sgpr_private_segment_size 0
		.amdhsa_wavefront_size32 1
		.amdhsa_uses_dynamic_stack 0
		.amdhsa_enable_private_segment 0
		.amdhsa_system_sgpr_workgroup_id_x 1
		.amdhsa_system_sgpr_workgroup_id_y 1
		.amdhsa_system_sgpr_workgroup_id_z 1
		.amdhsa_system_sgpr_workgroup_info 0
		.amdhsa_system_vgpr_workitem_id 1
		.amdhsa_next_free_vgpr 209
		.amdhsa_next_free_sgpr 40
		.amdhsa_reserve_vcc 1
		.amdhsa_float_round_mode_32 0
		.amdhsa_float_round_mode_16_64 0
		.amdhsa_float_denorm_mode_32 3
		.amdhsa_float_denorm_mode_16_64 3
		.amdhsa_dx10_clamp 1
		.amdhsa_ieee_mode 1
		.amdhsa_fp16_overflow 0
		.amdhsa_workgroup_processor_mode 1
		.amdhsa_memory_ordered 1
		.amdhsa_forward_progress 0
		.amdhsa_shared_vgpr_count 0
		.amdhsa_exception_fp_ieee_invalid_op 0
		.amdhsa_exception_fp_denorm_src 0
		.amdhsa_exception_fp_ieee_div_zero 0
		.amdhsa_exception_fp_ieee_overflow 0
		.amdhsa_exception_fp_ieee_underflow 0
		.amdhsa_exception_fp_ieee_inexact 0
		.amdhsa_exception_int_div_zero 0
	.end_amdhsa_kernel
	.section	.text._ZL15flash_attn_tileILi512ELi512ELi4ELi8ELb1EEvPKcS1_S1_S1_S1_PKiPfP15HIP_vector_typeIfLj2EEffffjfiS5_IjLj3EEiiiiiiiiiiiliiliiiiil,"axG",@progbits,_ZL15flash_attn_tileILi512ELi512ELi4ELi8ELb1EEvPKcS1_S1_S1_S1_PKiPfP15HIP_vector_typeIfLj2EEffffjfiS5_IjLj3EEiiiiiiiiiiiliiliiiiil,comdat
.Lfunc_end26:
	.size	_ZL15flash_attn_tileILi512ELi512ELi4ELi8ELb1EEvPKcS1_S1_S1_S1_PKiPfP15HIP_vector_typeIfLj2EEffffjfiS5_IjLj3EEiiiiiiiiiiiliiliiiiil, .Lfunc_end26-_ZL15flash_attn_tileILi512ELi512ELi4ELi8ELb1EEvPKcS1_S1_S1_S1_PKiPfP15HIP_vector_typeIfLj2EEffffjfiS5_IjLj3EEiiiiiiiiiiiliiliiiiil
                                        ; -- End function
	.section	.AMDGPU.csdata,"",@progbits
; Kernel info:
; codeLenInByte = 96156
; NumSgprs: 42
; NumVgprs: 209
; ScratchSize: 0
; MemoryBound: 0
; FloatMode: 240
; IeeeMode: 1
; LDSByteSize: 59392 bytes/workgroup (compile time only)
; SGPRBlocks: 5
; VGPRBlocks: 26
; NumSGPRsForWavesPerEU: 42
; NumVGPRsForWavesPerEU: 209
; Occupancy: 4
; WaveLimiterHint : 1
; COMPUTE_PGM_RSRC2:SCRATCH_EN: 0
; COMPUTE_PGM_RSRC2:USER_SGPR: 13
; COMPUTE_PGM_RSRC2:TRAP_HANDLER: 0
; COMPUTE_PGM_RSRC2:TGID_X_EN: 1
; COMPUTE_PGM_RSRC2:TGID_Y_EN: 1
; COMPUTE_PGM_RSRC2:TGID_Z_EN: 1
; COMPUTE_PGM_RSRC2:TIDIG_COMP_CNT: 1
	.section	.text._ZL15flash_attn_tileILi512ELi512ELi2ELi8ELb1EEvPKcS1_S1_S1_S1_PKiPfP15HIP_vector_typeIfLj2EEffffjfiS5_IjLj3EEiiiiiiiiiiiliiliiiiil,"axG",@progbits,_ZL15flash_attn_tileILi512ELi512ELi2ELi8ELb1EEvPKcS1_S1_S1_S1_PKiPfP15HIP_vector_typeIfLj2EEffffjfiS5_IjLj3EEiiiiiiiiiiiliiliiiiil,comdat
	.globl	_ZL15flash_attn_tileILi512ELi512ELi2ELi8ELb1EEvPKcS1_S1_S1_S1_PKiPfP15HIP_vector_typeIfLj2EEffffjfiS5_IjLj3EEiiiiiiiiiiiliiliiiiil ; -- Begin function _ZL15flash_attn_tileILi512ELi512ELi2ELi8ELb1EEvPKcS1_S1_S1_S1_PKiPfP15HIP_vector_typeIfLj2EEffffjfiS5_IjLj3EEiiiiiiiiiiiliiliiiiil
	.p2align	8
	.type	_ZL15flash_attn_tileILi512ELi512ELi2ELi8ELb1EEvPKcS1_S1_S1_S1_PKiPfP15HIP_vector_typeIfLj2EEffffjfiS5_IjLj3EEiiiiiiiiiiiliiliiiiil,@function
_ZL15flash_attn_tileILi512ELi512ELi2ELi8ELb1EEvPKcS1_S1_S1_S1_PKiPfP15HIP_vector_typeIfLj2EEffffjfiS5_IjLj3EEiiiiiiiiiiiliiliiiiil: ; @_ZL15flash_attn_tileILi512ELi512ELi2ELi8ELb1EEvPKcS1_S1_S1_S1_PKiPfP15HIP_vector_typeIfLj2EEffffjfiS5_IjLj3EEiiiiiiiiiiiliiliiiiil
; %bb.0:
	s_clause 0x3
	s_load_b128 s[4:7], s[0:1], 0x5c
	s_load_b64 s[2:3], s[0:1], 0x80
	s_load_b512 s[16:31], s[0:1], 0x0
	s_load_b64 s[36:37], s[0:1], 0xb8
	s_mov_b64 s[34:35], 0
	s_waitcnt lgkmcnt(0)
	s_ashr_i32 s8, s7, 31
	s_delay_alu instid0(SALU_CYCLE_1) | instskip(NEXT) | instid1(SALU_CYCLE_1)
	s_lshr_b32 s8, s8, 29
	s_add_i32 s8, s7, s8
	s_delay_alu instid0(SALU_CYCLE_1) | instskip(NEXT) | instid1(SALU_CYCLE_1)
	s_ashr_i32 s8, s8, 3
	v_cvt_f32_u32_e32 v1, s8
	s_sub_i32 s10, 0, s8
	s_delay_alu instid0(VALU_DEP_1) | instskip(SKIP_2) | instid1(VALU_DEP_1)
	v_rcp_iflag_f32_e32 v1, v1
	s_waitcnt_depctr 0xfff
	v_mul_f32_e32 v1, 0x4f7ffffe, v1
	v_cvt_u32_f32_e32 v1, v1
	s_delay_alu instid0(VALU_DEP_1) | instskip(NEXT) | instid1(VALU_DEP_1)
	v_readfirstlane_b32 s9, v1
	s_mul_i32 s10, s10, s9
	s_delay_alu instid0(SALU_CYCLE_1) | instskip(NEXT) | instid1(SALU_CYCLE_1)
	s_mul_hi_u32 s10, s9, s10
	s_add_i32 s9, s9, s10
	s_delay_alu instid0(SALU_CYCLE_1) | instskip(NEXT) | instid1(SALU_CYCLE_1)
	s_mul_hi_u32 s9, s15, s9
	s_mul_i32 s10, s9, s8
	s_add_i32 s11, s9, 1
	s_sub_i32 s10, s15, s10
	s_delay_alu instid0(SALU_CYCLE_1)
	s_sub_i32 s12, s10, s8
	s_cmp_ge_u32 s10, s8
	s_cselect_b32 s9, s11, s9
	s_cselect_b32 s10, s12, s10
	s_add_i32 s11, s9, 1
	s_cmp_ge_u32 s10, s8
	s_cselect_b32 s33, s11, s9
	s_abs_i32 s8, s3
	s_lshl_b32 s11, s15, 3
	v_cvt_f32_u32_e32 v1, s8
	s_sub_i32 s10, 0, s8
	s_abs_i32 s15, s7
	s_mul_i32 s12, s33, s7
	s_xor_b32 s3, s7, s3
	v_rcp_iflag_f32_e32 v1, v1
	s_sub_i32 s12, s11, s12
	s_ashr_i32 s3, s3, 31
	s_waitcnt_depctr 0xfff
	v_mul_f32_e32 v1, 0x4f7ffffe, v1
	s_delay_alu instid0(VALU_DEP_1) | instskip(NEXT) | instid1(VALU_DEP_1)
	v_cvt_u32_f32_e32 v1, v1
	v_readfirstlane_b32 s9, v1
	s_delay_alu instid0(VALU_DEP_1) | instskip(NEXT) | instid1(SALU_CYCLE_1)
	s_mul_i32 s10, s10, s9
	s_mul_hi_u32 s10, s9, s10
	s_delay_alu instid0(SALU_CYCLE_1) | instskip(NEXT) | instid1(SALU_CYCLE_1)
	s_add_i32 s9, s9, s10
	s_mul_hi_u32 s9, s15, s9
	s_delay_alu instid0(SALU_CYCLE_1) | instskip(SKIP_2) | instid1(SALU_CYCLE_1)
	s_mul_i32 s10, s9, s8
	s_add_i32 s11, s9, 1
	s_sub_i32 s10, s15, s10
	s_sub_i32 s15, s10, s8
	s_cmp_ge_u32 s10, s8
	s_cselect_b32 s9, s11, s9
	s_cselect_b32 s10, s15, s10
	s_add_i32 s11, s9, 1
	s_cmp_ge_u32 s10, s8
	s_cselect_b32 s8, s11, s9
	s_delay_alu instid0(SALU_CYCLE_1) | instskip(NEXT) | instid1(SALU_CYCLE_1)
	s_xor_b32 s8, s8, s3
	s_sub_i32 s38, s8, s3
	s_delay_alu instid0(SALU_CYCLE_1) | instskip(SKIP_2) | instid1(VALU_DEP_1)
	s_abs_i32 s15, s38
	s_cmp_eq_u64 s[22:23], 0
	v_cvt_f32_u32_e32 v1, s15
	v_rcp_iflag_f32_e32 v1, v1
	s_waitcnt_depctr 0xfff
	v_mul_f32_e32 v1, 0x4f7ffffe, v1
	s_delay_alu instid0(VALU_DEP_1) | instskip(NEXT) | instid1(VALU_DEP_1)
	v_cvt_u32_f32_e32 v1, v1
	v_readfirstlane_b32 s39, v1
	s_cbranch_scc1 .LBB27_2
; %bb.1:
	s_abs_i32 s3, s36
	s_abs_i32 s10, s33
	v_cvt_f32_u32_e32 v1, s3
	s_sub_i32 s9, 0, s3
	s_delay_alu instid0(VALU_DEP_1) | instskip(SKIP_2) | instid1(VALU_DEP_1)
	v_rcp_iflag_f32_e32 v1, v1
	s_waitcnt_depctr 0xfff
	v_mul_f32_e32 v1, 0x4f7ffffe, v1
	v_cvt_u32_f32_e32 v1, v1
	s_delay_alu instid0(VALU_DEP_1) | instskip(NEXT) | instid1(VALU_DEP_1)
	v_readfirstlane_b32 s8, v1
	s_mul_i32 s9, s9, s8
	s_delay_alu instid0(SALU_CYCLE_1) | instskip(NEXT) | instid1(SALU_CYCLE_1)
	s_mul_hi_u32 s9, s8, s9
	s_add_i32 s11, s8, s9
	s_load_b64 s[8:9], s[0:1], 0xc8
	s_mul_hi_u32 s11, s10, s11
	s_delay_alu instid0(SALU_CYCLE_1) | instskip(NEXT) | instid1(SALU_CYCLE_1)
	s_mul_i32 s11, s11, s3
	s_sub_i32 s10, s10, s11
	s_ashr_i32 s11, s33, 31
	s_sub_i32 s34, s10, s3
	s_cmp_ge_u32 s10, s3
	s_cselect_b32 s10, s34, s10
	s_delay_alu instid0(SALU_CYCLE_1) | instskip(SKIP_2) | instid1(SALU_CYCLE_1)
	s_sub_i32 s34, s10, s3
	s_cmp_ge_u32 s10, s3
	s_cselect_b32 s3, s34, s10
	s_xor_b32 s3, s3, s11
	s_delay_alu instid0(SALU_CYCLE_1)
	s_sub_i32 s3, s3, s11
	s_waitcnt lgkmcnt(0)
	s_mul_i32 s9, s3, s9
	s_mul_hi_u32 s10, s3, s8
	s_ashr_i32 s11, s3, 31
	s_add_i32 s9, s10, s9
	s_mul_i32 s11, s11, s8
	s_mul_i32 s3, s3, s8
	s_add_i32 s9, s9, s11
	s_add_u32 s34, s22, s3
	s_addc_u32 s35, s23, s9
.LBB27_2:
	v_bfe_u32 v1, v0, 10, 10
	s_load_b128 s[8:11], s[0:1], 0x70
	s_delay_alu instid0(VALU_DEP_1) | instskip(SKIP_1) | instid1(VALU_DEP_2)
	v_lshrrev_b32_e32 v2, 2, v1
	v_lshlrev_b32_e32 v6, 1, v1
	v_lshl_add_u32 v192, s13, 1, v2
	s_delay_alu instid0(VALU_DEP_2) | instskip(SKIP_1) | instid1(VALU_DEP_3)
	v_and_b32_e32 v202, 6, v6
	v_or_b32_e32 v35, 1, v6
	v_mul_hi_u32 v2, s4, v192
	s_waitcnt lgkmcnt(0)
	s_mul_i32 s3, s33, s10
	s_mul_i32 s4, s12, s9
	s_delay_alu instid0(VALU_DEP_1) | instskip(NEXT) | instid1(VALU_DEP_1)
	v_add_nc_u32_e32 v2, v192, v2
	v_lshrrev_b32_e32 v2, s5, v2
	s_ashr_i32 s5, s3, 31
	s_add_u32 s3, s16, s3
	s_addc_u32 s5, s17, s5
	s_ashr_i32 s10, s4, 31
	v_mul_lo_u32 v2, v2, s6
	s_add_u32 s3, s3, s4
	s_addc_u32 s4, s5, s10
	s_ashr_i32 s5, s8, 31
	s_delay_alu instid0(SALU_CYCLE_1) | instskip(SKIP_2) | instid1(VALU_DEP_2)
	v_alignbit_b32 v5, s5, s8, 2
	s_ashr_i32 s8, s9, 31
	s_lshr_b32 s5, s5, 2
	v_sub_nc_u32_e32 v2, v192, v2
	v_alignbit_b32 v10, s8, s9, 2
	s_delay_alu instid0(VALU_DEP_2) | instskip(NEXT) | instid1(VALU_DEP_2)
	v_mad_u64_u32 v[3:4], null, v5, v2, 0
	v_mad_u64_u32 v[5:6], null, v10, v202, 0
	s_delay_alu instid0(VALU_DEP_1) | instskip(SKIP_4) | instid1(VALU_DEP_3)
	v_mad_u64_u32 v[7:8], null, s5, v2, v[4:5]
	v_and_b32_e32 v13, 7, v35
	s_lshr_b32 s5, s8, 2
	v_lshlrev_b32_e32 v35, 8, v35
	s_cmp_eq_u64 s[26:27], 0
	v_mov_b32_e32 v4, v7
	v_mad_u64_u32 v[8:9], null, v10, v13, 0
	v_and_b32_e32 v193, 0x3ff, v0
	v_mad_u64_u32 v[10:11], null, s5, v202, v[6:7]
	s_delay_alu instid0(VALU_DEP_4) | instskip(NEXT) | instid1(VALU_DEP_3)
	v_lshlrev_b64 v[3:4], 2, v[3:4]
	v_dual_mov_b32 v0, v9 :: v_dual_lshlrev_b32 v7, 4, v193
	v_lshlrev_b32_e32 v36, 3, v193
	s_delay_alu instid0(VALU_DEP_4) | instskip(NEXT) | instid1(VALU_DEP_3)
	v_mov_b32_e32 v6, v10
	v_mad_u64_u32 v[11:12], null, s5, v13, v[0:1]
	v_add_co_u32 v0, vcc_lo, s3, v3
	v_add_co_ci_u32_e32 v9, vcc_lo, s4, v4, vcc_lo
	s_delay_alu instid0(VALU_DEP_4) | instskip(NEXT) | instid1(VALU_DEP_3)
	v_lshlrev_b64 v[3:4], 2, v[5:6]
	v_add_co_u32 v0, vcc_lo, v0, v7
	s_delay_alu instid0(VALU_DEP_3) | instskip(SKIP_1) | instid1(VALU_DEP_3)
	v_add_co_ci_u32_e32 v13, vcc_lo, 0, v9, vcc_lo
	v_mov_b32_e32 v9, v11
	v_add_co_u32 v15, vcc_lo, v0, v3
	s_delay_alu instid0(VALU_DEP_3) | instskip(NEXT) | instid1(VALU_DEP_3)
	v_add_co_ci_u32_e32 v16, vcc_lo, v13, v4, vcc_lo
	v_lshlrev_b64 v[11:12], 2, v[8:9]
	s_clause 0x1
	global_load_b128 v[3:6], v[15:16], off
	global_load_b128 v[7:10], v[15:16], off offset:512
	s_load_b32 s4, s[0:1], 0x40
	v_lshl_or_b32 v51, v1, 11, v36
	v_add_co_u32 v31, vcc_lo, v0, v11
	v_add_co_ci_u32_e32 v32, vcc_lo, v13, v12, vcc_lo
	s_clause 0x5
	global_load_b128 v[11:14], v[15:16], off offset:1024
	global_load_b128 v[15:18], v[15:16], off offset:1536
	global_load_b128 v[19:22], v[31:32], off
	global_load_b128 v[23:26], v[31:32], off offset:512
	global_load_b128 v[27:30], v[31:32], off offset:1024
	;; [unrolled: 1-line block ×3, first 2 shown]
	v_lshlrev_b32_e32 v0, 1, v193
	s_mov_b32 s3, 0
	s_delay_alu instid0(VALU_DEP_1)
	v_add_lshl_u32 v0, v35, v0, 2
	s_waitcnt vmcnt(7) lgkmcnt(0)
	v_fma_mixlo_f16 v35, v3, s4, 0
	v_fma_mixlo_f16 v36, v5, s4, 0
	s_waitcnt vmcnt(6)
	v_fma_mixlo_f16 v37, v7, s4, 0
	v_fma_mixlo_f16 v38, v9, s4, 0
	s_waitcnt vmcnt(5)
	;; [unrolled: 3-line block ×7, first 2 shown]
	v_fma_mixlo_f16 v49, v31, s4, 0
	v_fma_mixlo_f16 v50, v33, s4, 0
	v_fma_mixhi_f16 v36, v6, s4, 0
	v_fma_mixhi_f16 v35, v4, s4, 0
	;; [unrolled: 1-line block ×16, first 2 shown]
	ds_store_2addr_b64 v51, v[35:36], v[37:38] offset1:32
	ds_store_2addr_b64 v51, v[39:40], v[41:42] offset0:64 offset1:96
	ds_store_2addr_b64 v0, v[43:44], v[45:46] offset1:32
	ds_store_2addr_b64 v0, v[47:48], v[49:50] offset0:64 offset1:96
	s_waitcnt lgkmcnt(0)
	s_barrier
	buffer_gl0_inv
	s_cbranch_scc1 .LBB27_4
; %bb.3:
	s_load_b32 s2, s[0:1], 0xd0
	s_waitcnt lgkmcnt(0)
	s_mul_i32 s2, s2, s33
	s_delay_alu instid0(SALU_CYCLE_1) | instskip(NEXT) | instid1(SALU_CYCLE_1)
	s_add_i32 s2, s2, s13
	s_lshl_b64 s[2:3], s[2:3], 2
	s_delay_alu instid0(SALU_CYCLE_1)
	s_add_u32 s2, s26, s2
	s_addc_u32 s3, s27, s3
	s_load_b32 s2, s[2:3], 0x0
.LBB27_4:
	v_lshlrev_b32_e32 v201, 2, v193
	v_mbcnt_lo_u32_b32 v203, -1, 0
	s_lshl_b32 s3, s14, 6
	s_waitcnt lgkmcnt(0)
	s_cmp_lt_i32 s3, s2
	s_cbranch_scc1 .LBB27_6
; %bb.5:
	v_mbcnt_lo_u32_b32 v0, -1, 0
	v_mov_b32_e32 v204, 32
	s_mov_b32 s4, 0
	s_mov_b32 s5, 0xfeffffff
	s_delay_alu instid0(VALU_DEP_2)
	v_xor_b32_e32 v222, 16, v0
	v_xor_b32_e32 v218, 8, v0
	;; [unrolled: 1-line block ×5, first 2 shown]
	s_branch .LBB27_7
.LBB27_6:
	s_mov_b32 s4, -1
                                        ; implicit-def: $sgpr5
                                        ; implicit-def: $vgpr0
                                        ; implicit-def: $vgpr204
                                        ; implicit-def: $vgpr222
                                        ; implicit-def: $vgpr218
                                        ; implicit-def: $vgpr219
                                        ; implicit-def: $vgpr220
                                        ; implicit-def: $vgpr221
.LBB27_7:
	s_delay_alu instid0(SALU_CYCLE_1) | instskip(SKIP_2) | instid1(VALU_DEP_3)
	v_cndmask_b32_e64 v3, 0, 1, s4
	v_dual_mov_b32 v200, s5 :: v_dual_mov_b32 v169, s4
	v_dual_mov_b32 v155, s4 :: v_dual_mov_b32 v168, s4
	v_cmp_ne_u32_e32 vcc_lo, 1, v3
	v_dual_mov_b32 v199, s5 :: v_dual_mov_b32 v158, s4
	v_dual_mov_b32 v157, s4 :: v_dual_mov_b32 v154, s4
	;; [unrolled: 1-line block ×8, first 2 shown]
	s_cbranch_vccnz .LBB27_28
; %bb.8:
	s_clause 0x1
	s_load_b128 s[8:11], s[0:1], 0x98
	s_load_b64 s[4:5], s[0:1], 0x8c
	s_sub_i32 s13, 0, s15
	s_abs_i32 s22, s12
	s_mul_i32 s13, s13, s39
	s_ashr_i32 s27, s37, 1
	s_mul_hi_u32 s13, s39, s13
	s_ashr_i32 s37, s33, 31
	s_add_i32 s39, s39, s13
	s_ashr_i32 s23, s12, 31
	s_mul_hi_u32 s36, s22, s39
	s_ashr_i32 s26, s38, 31
	s_load_b64 s[16:17], s[0:1], 0xa8
	s_mul_i32 s38, s36, s15
	v_lshrrev_b32_e32 v0, 3, v193
	v_dual_mov_b32 v144, 0 :: v_dual_and_b32 v9, 28, v201
	v_dual_mov_b32 v145, 0 :: v_dual_lshlrev_b32 v208, 11, v1
	v_mov_b32_e32 v151, 0
	s_waitcnt lgkmcnt(0)
	s_mul_i32 s39, s37, s8
	s_ashr_i32 s13, s4, 2
	s_mul_i32 s4, s33, s9
	s_mul_hi_u32 s9, s33, s8
	s_mul_i32 s8, s33, s8
	s_add_i32 s4, s9, s4
	s_ashr_i32 s10, s10, 2
	s_add_i32 s4, s4, s39
	s_add_u32 s9, s18, s8
	s_addc_u32 s4, s19, s4
	s_sub_i32 s19, s22, s38
	s_xor_b32 s18, s23, s26
	s_add_i32 s22, s36, 1
	s_sub_i32 s23, s19, s15
	s_cmp_ge_u32 s19, s15
	v_mul_lo_u32 v5, s10, v1
	s_cselect_b32 s22, s22, s36
	s_cselect_b32 s19, s23, s19
	s_add_i32 s23, s22, 1
	s_cmp_ge_u32 s19, s15
	v_lshl_add_u32 v0, v1, 2, v0
	s_cselect_b32 s15, s23, s22
	v_lshlrev_b32_e32 v4, 2, v9
	s_xor_b32 s15, s15, s18
	v_ashrrev_i32_e32 v6, 31, v5
	s_sub_i32 s18, s15, s18
	v_mul_lo_u32 v3, s13, v0
	s_mul_i32 s5, s18, s5
	v_mad_u32_u24 v0, 0x90, v0, v4
	s_load_b32 s8, s[0:1], 0x54
	s_mul_i32 s17, s33, s17
	s_mul_hi_u32 s19, s33, s16
	s_ashr_i32 s15, s5, 31
	s_add_u32 s9, s9, s5
	s_mul_i32 s37, s37, s16
	s_addc_u32 s15, s4, s15
	s_add_i32 s4, s19, s17
	s_mul_i32 s5, s33, s16
	v_lshlrev_b64 v[5:6], 2, v[5:6]
	s_add_i32 s4, s4, s37
	s_mul_i32 s18, s18, s11
	v_dual_mov_b32 v204, 32 :: v_dual_add_nc_u32 v205, 0x4000, v0
	v_dual_mov_b32 v147, 0 :: v_dual_add_nc_u32 v206, 0x5200, v0
	v_dual_mov_b32 v149, 0 :: v_dual_lshlrev_b32 v0, 2, v201
	s_add_u32 s5, s20, s5
	v_lshl_add_u32 v7, s13, 5, v3
	s_addc_u32 s4, s21, s4
	s_ashr_i32 s11, s18, 31
	s_add_u32 s5, s5, s18
	s_addc_u32 s4, s4, s11
	v_lshl_add_u32 v10, v1, 10, v0
	v_lshl_add_u32 v209, v1, 8, 0x6400
	v_add_co_u32 v1, vcc_lo, s5, v5
	v_ashrrev_i32_e32 v4, 31, v3
	v_ashrrev_i32_e32 v8, 31, v7
	v_mad_u64_u32 v[194:195], null, v2, s27, v[193:194]
	v_add_co_ci_u32_e32 v2, vcc_lo, s4, v6, vcc_lo
	v_add_co_u32 v213, vcc_lo, v1, v0
	v_lshlrev_b64 v[195:196], 2, v[3:4]
	v_lshlrev_b64 v[197:198], 2, v[7:8]
	v_mul_u32_u24_e32 v207, 0x90, v193
	v_dual_mov_b32 v153, 0 :: v_dual_add_nc_u32 v210, 0x4000, v10
	v_dual_mov_b32 v146, 0 :: v_dual_add_nc_u32 v211, 0x4200, v10
	v_lshl_or_b32 v212, v193, 3, 0x4000
	v_add_co_ci_u32_e32 v214, vcc_lo, 0, v2, vcc_lo
	v_dual_mov_b32 v160, 0xfeffffff :: v_dual_lshlrev_b32 v215, 2, v9
	v_dual_mov_b32 v148, 0 :: v_dual_mov_b32 v159, 0
	v_dual_mov_b32 v150, 0 :: v_dual_mov_b32 v157, 0
	;; [unrolled: 1-line block ×5, first 2 shown]
	v_mov_b32_e32 v158, 0
	v_mov_b32_e32 v216, 0
	s_add_u32 s4, s0, 0xd0
	s_addc_u32 s5, s1, 0
	s_mov_b32 s11, 0xbbbac73d
.LBB27_9:                               ; =>This Inner Loop Header: Depth=1
	s_mul_hi_i32 s17, s3, s13
	s_mul_i32 s16, s3, s13
	s_delay_alu instid0(SALU_CYCLE_1) | instskip(NEXT) | instid1(SALU_CYCLE_1)
	s_lshl_b64 s[16:17], s[16:17], 2
	s_add_u32 s16, s9, s16
	s_addc_u32 s17, s15, s17
	v_add_co_u32 v0, vcc_lo, s16, v195
	v_add_co_ci_u32_e32 v1, vcc_lo, s17, v196, vcc_lo
	v_add_co_u32 v2, vcc_lo, s16, v197
	v_add_co_ci_u32_e32 v3, vcc_lo, s17, v198, vcc_lo
	s_delay_alu instid0(VALU_DEP_4) | instskip(NEXT) | instid1(VALU_DEP_4)
	v_add_co_u32 v0, vcc_lo, v0, v215
	v_add_co_ci_u32_e32 v1, vcc_lo, 0, v1, vcc_lo
	s_delay_alu instid0(VALU_DEP_4) | instskip(NEXT) | instid1(VALU_DEP_4)
	v_add_co_u32 v2, vcc_lo, v2, v215
	v_add_co_ci_u32_e32 v3, vcc_lo, 0, v3, vcc_lo
	s_clause 0x1
	global_load_b128 v[4:7], v[0:1], off
	global_load_b128 v[8:11], v[2:3], off
	s_waitcnt vmcnt(1)
	ds_store_b128 v205, v[4:7]
	s_waitcnt vmcnt(0)
	ds_store_b128 v206, v[8:11]
	s_waitcnt lgkmcnt(0)
	s_barrier
	buffer_gl0_inv
	ds_load_b128 v[8:11], v207 offset:16384
	ds_load_b128 v[12:15], v208
	ds_load_b128 v[16:19], v208 offset:1024
	ds_load_b128 v[20:23], v207 offset:20992
	v_dual_mov_b32 v6, 0 :: v_dual_mov_b32 v7, 0
	v_dual_mov_b32 v4, 0 :: v_dual_mov_b32 v5, 0
	s_waitcnt lgkmcnt(2)
	;;#ASMSTART
	v_dot2_f32_f16 v6, v8, v12, v6
	;;#ASMEND
	;;#ASMSTART
	v_dot2_f32_f16 v6, v9, v13, v6
	;;#ASMEND
	;;#ASMSTART
	v_dot2_f32_f16 v6, v10, v14, v6
	;;#ASMEND
	;;#ASMSTART
	v_dot2_f32_f16 v6, v11, v15, v6
	;;#ASMEND
	s_waitcnt lgkmcnt(1)
	;;#ASMSTART
	v_dot2_f32_f16 v4, v8, v16, v4
	;;#ASMEND
	;;#ASMSTART
	v_dot2_f32_f16 v4, v9, v17, v4
	;;#ASMEND
	;;#ASMSTART
	v_dot2_f32_f16 v4, v10, v18, v4
	;;#ASMEND
	;;#ASMSTART
	v_dot2_f32_f16 v4, v11, v19, v4
	;;#ASMEND
	s_waitcnt lgkmcnt(0)
	;;#ASMSTART
	v_dot2_f32_f16 v7, v20, v12, v7
	;;#ASMEND
	;;#ASMSTART
	v_dot2_f32_f16 v7, v21, v13, v7
	;;#ASMEND
	;;#ASMSTART
	v_dot2_f32_f16 v7, v22, v14, v7
	;;#ASMEND
	;;#ASMSTART
	v_dot2_f32_f16 v7, v23, v15, v7
	;;#ASMEND
	;;#ASMSTART
	v_dot2_f32_f16 v5, v20, v16, v5
	;;#ASMEND
	;;#ASMSTART
	v_dot2_f32_f16 v5, v21, v17, v5
	;;#ASMEND
	;;#ASMSTART
	v_dot2_f32_f16 v5, v22, v18, v5
	;;#ASMEND
	;;#ASMSTART
	v_dot2_f32_f16 v5, v23, v19, v5
	;;#ASMEND
	ds_load_b128 v[8:11], v207 offset:16400
	ds_load_b128 v[12:15], v208 offset:16
	ds_load_b128 v[16:19], v208 offset:1040
	ds_load_b128 v[20:23], v207 offset:21008
	s_waitcnt lgkmcnt(2)
	;;#ASMSTART
	v_dot2_f32_f16 v6, v8, v12, v6
	;;#ASMEND
	;;#ASMSTART
	v_dot2_f32_f16 v6, v9, v13, v6
	;;#ASMEND
	;;#ASMSTART
	v_dot2_f32_f16 v6, v10, v14, v6
	;;#ASMEND
	;;#ASMSTART
	v_dot2_f32_f16 v6, v11, v15, v6
	;;#ASMEND
	s_waitcnt lgkmcnt(1)
	;;#ASMSTART
	v_dot2_f32_f16 v4, v8, v16, v4
	;;#ASMEND
	;;#ASMSTART
	v_dot2_f32_f16 v4, v9, v17, v4
	;;#ASMEND
	;;#ASMSTART
	v_dot2_f32_f16 v4, v10, v18, v4
	;;#ASMEND
	;;#ASMSTART
	v_dot2_f32_f16 v4, v11, v19, v4
	;;#ASMEND
	s_waitcnt lgkmcnt(0)
	;;#ASMSTART
	v_dot2_f32_f16 v7, v20, v12, v7
	;;#ASMEND
	;;#ASMSTART
	v_dot2_f32_f16 v7, v21, v13, v7
	;;#ASMEND
	;;#ASMSTART
	v_dot2_f32_f16 v7, v22, v14, v7
	;;#ASMEND
	;;#ASMSTART
	v_dot2_f32_f16 v7, v23, v15, v7
	;;#ASMEND
	;;#ASMSTART
	v_dot2_f32_f16 v5, v20, v16, v5
	;;#ASMEND
	;;#ASMSTART
	v_dot2_f32_f16 v5, v21, v17, v5
	;;#ASMEND
	;;#ASMSTART
	v_dot2_f32_f16 v5, v22, v18, v5
	;;#ASMEND
	;;#ASMSTART
	v_dot2_f32_f16 v5, v23, v19, v5
	;;#ASMEND
	ds_load_b128 v[8:11], v207 offset:16416
	ds_load_b128 v[12:15], v208 offset:32
	ds_load_b128 v[16:19], v208 offset:1056
	ds_load_b128 v[20:23], v207 offset:21024
	s_waitcnt lgkmcnt(2)
	;;#ASMSTART
	v_dot2_f32_f16 v6, v8, v12, v6
	;;#ASMEND
	;;#ASMSTART
	v_dot2_f32_f16 v6, v9, v13, v6
	;;#ASMEND
	;;#ASMSTART
	v_dot2_f32_f16 v6, v10, v14, v6
	;;#ASMEND
	;;#ASMSTART
	v_dot2_f32_f16 v6, v11, v15, v6
	;;#ASMEND
	s_waitcnt lgkmcnt(1)
	;;#ASMSTART
	v_dot2_f32_f16 v4, v8, v16, v4
	;;#ASMEND
	;;#ASMSTART
	v_dot2_f32_f16 v4, v9, v17, v4
	;;#ASMEND
	;;#ASMSTART
	v_dot2_f32_f16 v4, v10, v18, v4
	;;#ASMEND
	;;#ASMSTART
	v_dot2_f32_f16 v4, v11, v19, v4
	;;#ASMEND
	s_waitcnt lgkmcnt(0)
	;;#ASMSTART
	v_dot2_f32_f16 v7, v20, v12, v7
	;;#ASMEND
	;;#ASMSTART
	v_dot2_f32_f16 v7, v21, v13, v7
	;;#ASMEND
	;;#ASMSTART
	v_dot2_f32_f16 v7, v22, v14, v7
	;;#ASMEND
	;;#ASMSTART
	v_dot2_f32_f16 v7, v23, v15, v7
	;;#ASMEND
	;;#ASMSTART
	v_dot2_f32_f16 v5, v20, v16, v5
	;;#ASMEND
	;;#ASMSTART
	v_dot2_f32_f16 v5, v21, v17, v5
	;;#ASMEND
	;;#ASMSTART
	v_dot2_f32_f16 v5, v22, v18, v5
	;;#ASMEND
	;;#ASMSTART
	v_dot2_f32_f16 v5, v23, v19, v5
	;;#ASMEND
	ds_load_b128 v[8:11], v207 offset:16432
	ds_load_b128 v[12:15], v208 offset:48
	ds_load_b128 v[16:19], v208 offset:1072
	ds_load_b128 v[20:23], v207 offset:21040
	s_waitcnt lgkmcnt(2)
	;;#ASMSTART
	v_dot2_f32_f16 v6, v8, v12, v6
	;;#ASMEND
	;;#ASMSTART
	v_dot2_f32_f16 v6, v9, v13, v6
	;;#ASMEND
	;;#ASMSTART
	v_dot2_f32_f16 v6, v10, v14, v6
	;;#ASMEND
	;;#ASMSTART
	v_dot2_f32_f16 v6, v11, v15, v6
	;;#ASMEND
	s_waitcnt lgkmcnt(1)
	;;#ASMSTART
	v_dot2_f32_f16 v4, v8, v16, v4
	;;#ASMEND
	;;#ASMSTART
	v_dot2_f32_f16 v4, v9, v17, v4
	;;#ASMEND
	;;#ASMSTART
	v_dot2_f32_f16 v4, v10, v18, v4
	;;#ASMEND
	;;#ASMSTART
	v_dot2_f32_f16 v4, v11, v19, v4
	;;#ASMEND
	s_waitcnt lgkmcnt(0)
	;;#ASMSTART
	v_dot2_f32_f16 v7, v20, v12, v7
	;;#ASMEND
	;;#ASMSTART
	v_dot2_f32_f16 v7, v21, v13, v7
	;;#ASMEND
	;;#ASMSTART
	v_dot2_f32_f16 v7, v22, v14, v7
	;;#ASMEND
	;;#ASMSTART
	v_dot2_f32_f16 v7, v23, v15, v7
	;;#ASMEND
	;;#ASMSTART
	v_dot2_f32_f16 v5, v20, v16, v5
	;;#ASMEND
	;;#ASMSTART
	v_dot2_f32_f16 v5, v21, v17, v5
	;;#ASMEND
	;;#ASMSTART
	v_dot2_f32_f16 v5, v22, v18, v5
	;;#ASMEND
	;;#ASMSTART
	v_dot2_f32_f16 v5, v23, v19, v5
	;;#ASMEND
	ds_load_b128 v[8:11], v207 offset:16448
	ds_load_b128 v[12:15], v208 offset:64
	ds_load_b128 v[16:19], v208 offset:1088
	ds_load_b128 v[20:23], v207 offset:21056
	s_waitcnt lgkmcnt(2)
	;;#ASMSTART
	v_dot2_f32_f16 v6, v8, v12, v6
	;;#ASMEND
	;;#ASMSTART
	v_dot2_f32_f16 v6, v9, v13, v6
	;;#ASMEND
	;;#ASMSTART
	v_dot2_f32_f16 v6, v10, v14, v6
	;;#ASMEND
	;;#ASMSTART
	v_dot2_f32_f16 v6, v11, v15, v6
	;;#ASMEND
	s_waitcnt lgkmcnt(1)
	;;#ASMSTART
	v_dot2_f32_f16 v4, v8, v16, v4
	;;#ASMEND
	;;#ASMSTART
	v_dot2_f32_f16 v4, v9, v17, v4
	;;#ASMEND
	;;#ASMSTART
	v_dot2_f32_f16 v4, v10, v18, v4
	;;#ASMEND
	;;#ASMSTART
	v_dot2_f32_f16 v4, v11, v19, v4
	;;#ASMEND
	s_waitcnt lgkmcnt(0)
	;;#ASMSTART
	v_dot2_f32_f16 v7, v20, v12, v7
	;;#ASMEND
	;;#ASMSTART
	v_dot2_f32_f16 v7, v21, v13, v7
	;;#ASMEND
	;;#ASMSTART
	v_dot2_f32_f16 v7, v22, v14, v7
	;;#ASMEND
	;;#ASMSTART
	v_dot2_f32_f16 v7, v23, v15, v7
	;;#ASMEND
	;;#ASMSTART
	v_dot2_f32_f16 v5, v20, v16, v5
	;;#ASMEND
	;;#ASMSTART
	v_dot2_f32_f16 v5, v21, v17, v5
	;;#ASMEND
	;;#ASMSTART
	v_dot2_f32_f16 v5, v22, v18, v5
	;;#ASMEND
	;;#ASMSTART
	v_dot2_f32_f16 v5, v23, v19, v5
	;;#ASMEND
	ds_load_b128 v[8:11], v207 offset:16464
	ds_load_b128 v[12:15], v208 offset:80
	ds_load_b128 v[16:19], v208 offset:1104
	ds_load_b128 v[20:23], v207 offset:21072
	s_waitcnt lgkmcnt(2)
	;;#ASMSTART
	v_dot2_f32_f16 v6, v8, v12, v6
	;;#ASMEND
	;;#ASMSTART
	v_dot2_f32_f16 v6, v9, v13, v6
	;;#ASMEND
	;;#ASMSTART
	v_dot2_f32_f16 v6, v10, v14, v6
	;;#ASMEND
	;;#ASMSTART
	v_dot2_f32_f16 v6, v11, v15, v6
	;;#ASMEND
	s_waitcnt lgkmcnt(1)
	;;#ASMSTART
	v_dot2_f32_f16 v4, v8, v16, v4
	;;#ASMEND
	;;#ASMSTART
	v_dot2_f32_f16 v4, v9, v17, v4
	;;#ASMEND
	;;#ASMSTART
	v_dot2_f32_f16 v4, v10, v18, v4
	;;#ASMEND
	;;#ASMSTART
	v_dot2_f32_f16 v4, v11, v19, v4
	;;#ASMEND
	s_waitcnt lgkmcnt(0)
	;;#ASMSTART
	v_dot2_f32_f16 v7, v20, v12, v7
	;;#ASMEND
	;;#ASMSTART
	v_dot2_f32_f16 v7, v21, v13, v7
	;;#ASMEND
	;;#ASMSTART
	v_dot2_f32_f16 v7, v22, v14, v7
	;;#ASMEND
	;;#ASMSTART
	v_dot2_f32_f16 v7, v23, v15, v7
	;;#ASMEND
	;;#ASMSTART
	v_dot2_f32_f16 v5, v20, v16, v5
	;;#ASMEND
	;;#ASMSTART
	v_dot2_f32_f16 v5, v21, v17, v5
	;;#ASMEND
	;;#ASMSTART
	v_dot2_f32_f16 v5, v22, v18, v5
	;;#ASMEND
	;;#ASMSTART
	v_dot2_f32_f16 v5, v23, v19, v5
	;;#ASMEND
	ds_load_b128 v[8:11], v207 offset:16480
	ds_load_b128 v[12:15], v208 offset:96
	ds_load_b128 v[16:19], v208 offset:1120
	ds_load_b128 v[20:23], v207 offset:21088
	s_waitcnt lgkmcnt(2)
	;;#ASMSTART
	v_dot2_f32_f16 v6, v8, v12, v6
	;;#ASMEND
	;;#ASMSTART
	v_dot2_f32_f16 v6, v9, v13, v6
	;;#ASMEND
	;;#ASMSTART
	v_dot2_f32_f16 v6, v10, v14, v6
	;;#ASMEND
	;;#ASMSTART
	v_dot2_f32_f16 v6, v11, v15, v6
	;;#ASMEND
	s_waitcnt lgkmcnt(1)
	;;#ASMSTART
	v_dot2_f32_f16 v4, v8, v16, v4
	;;#ASMEND
	;;#ASMSTART
	v_dot2_f32_f16 v4, v9, v17, v4
	;;#ASMEND
	;;#ASMSTART
	v_dot2_f32_f16 v4, v10, v18, v4
	;;#ASMEND
	;;#ASMSTART
	v_dot2_f32_f16 v4, v11, v19, v4
	;;#ASMEND
	s_waitcnt lgkmcnt(0)
	;;#ASMSTART
	v_dot2_f32_f16 v7, v20, v12, v7
	;;#ASMEND
	;;#ASMSTART
	v_dot2_f32_f16 v7, v21, v13, v7
	;;#ASMEND
	;;#ASMSTART
	v_dot2_f32_f16 v7, v22, v14, v7
	;;#ASMEND
	;;#ASMSTART
	v_dot2_f32_f16 v7, v23, v15, v7
	;;#ASMEND
	;;#ASMSTART
	v_dot2_f32_f16 v5, v20, v16, v5
	;;#ASMEND
	;;#ASMSTART
	v_dot2_f32_f16 v5, v21, v17, v5
	;;#ASMEND
	;;#ASMSTART
	v_dot2_f32_f16 v5, v22, v18, v5
	;;#ASMEND
	;;#ASMSTART
	v_dot2_f32_f16 v5, v23, v19, v5
	;;#ASMEND
	ds_load_b128 v[8:11], v207 offset:16496
	ds_load_b128 v[12:15], v208 offset:112
	ds_load_b128 v[16:19], v208 offset:1136
	ds_load_b128 v[20:23], v207 offset:21104
	s_waitcnt lgkmcnt(2)
	;;#ASMSTART
	v_dot2_f32_f16 v6, v8, v12, v6
	;;#ASMEND
	;;#ASMSTART
	v_dot2_f32_f16 v6, v9, v13, v6
	;;#ASMEND
	;;#ASMSTART
	v_dot2_f32_f16 v6, v10, v14, v6
	;;#ASMEND
	;;#ASMSTART
	v_dot2_f32_f16 v6, v11, v15, v6
	;;#ASMEND
	s_waitcnt lgkmcnt(1)
	;;#ASMSTART
	v_dot2_f32_f16 v4, v8, v16, v4
	;;#ASMEND
	;;#ASMSTART
	v_dot2_f32_f16 v4, v9, v17, v4
	;;#ASMEND
	;;#ASMSTART
	v_dot2_f32_f16 v4, v10, v18, v4
	;;#ASMEND
	;;#ASMSTART
	v_dot2_f32_f16 v4, v11, v19, v4
	;;#ASMEND
	;; [unrolled: 13-line block ×3, first 2 shown]
	;;#ASMSTART
	v_dot2_f32_f16 v5, v20, v16, v5
	;;#ASMEND
	;;#ASMSTART
	v_dot2_f32_f16 v5, v21, v17, v5
	;;#ASMEND
	;; [unrolled: 3-line block ×4, first 2 shown]
	s_barrier
	buffer_gl0_inv
	s_clause 0x1
	global_load_b128 v[8:11], v[0:1], off offset:128
	global_load_b128 v[12:15], v[2:3], off offset:128
	s_waitcnt vmcnt(1)
	ds_store_b128 v205, v[8:11]
	s_waitcnt vmcnt(0)
	ds_store_b128 v206, v[12:15]
	s_waitcnt lgkmcnt(0)
	s_barrier
	buffer_gl0_inv
	ds_load_b128 v[8:11], v207 offset:16384
	ds_load_b128 v[12:15], v208 offset:128
	ds_load_b128 v[16:19], v208 offset:1152
	ds_load_b128 v[20:23], v207 offset:20992
	s_waitcnt lgkmcnt(2)
	;;#ASMSTART
	v_dot2_f32_f16 v6, v8, v12, v6
	;;#ASMEND
	;;#ASMSTART
	v_dot2_f32_f16 v6, v9, v13, v6
	;;#ASMEND
	;;#ASMSTART
	v_dot2_f32_f16 v6, v10, v14, v6
	;;#ASMEND
	;;#ASMSTART
	v_dot2_f32_f16 v6, v11, v15, v6
	;;#ASMEND
	s_waitcnt lgkmcnt(1)
	;;#ASMSTART
	v_dot2_f32_f16 v4, v8, v16, v4
	;;#ASMEND
	;;#ASMSTART
	v_dot2_f32_f16 v4, v9, v17, v4
	;;#ASMEND
	;;#ASMSTART
	v_dot2_f32_f16 v4, v10, v18, v4
	;;#ASMEND
	;;#ASMSTART
	v_dot2_f32_f16 v4, v11, v19, v4
	;;#ASMEND
	s_waitcnt lgkmcnt(0)
	;;#ASMSTART
	v_dot2_f32_f16 v7, v20, v12, v7
	;;#ASMEND
	;;#ASMSTART
	v_dot2_f32_f16 v7, v21, v13, v7
	;;#ASMEND
	;;#ASMSTART
	v_dot2_f32_f16 v7, v22, v14, v7
	;;#ASMEND
	;;#ASMSTART
	v_dot2_f32_f16 v7, v23, v15, v7
	;;#ASMEND
	;;#ASMSTART
	v_dot2_f32_f16 v5, v20, v16, v5
	;;#ASMEND
	;;#ASMSTART
	v_dot2_f32_f16 v5, v21, v17, v5
	;;#ASMEND
	;;#ASMSTART
	v_dot2_f32_f16 v5, v22, v18, v5
	;;#ASMEND
	;;#ASMSTART
	v_dot2_f32_f16 v5, v23, v19, v5
	;;#ASMEND
	ds_load_b128 v[8:11], v207 offset:16400
	ds_load_b128 v[12:15], v208 offset:144
	ds_load_b128 v[16:19], v208 offset:1168
	ds_load_b128 v[20:23], v207 offset:21008
	s_waitcnt lgkmcnt(2)
	;;#ASMSTART
	v_dot2_f32_f16 v6, v8, v12, v6
	;;#ASMEND
	;;#ASMSTART
	v_dot2_f32_f16 v6, v9, v13, v6
	;;#ASMEND
	;;#ASMSTART
	v_dot2_f32_f16 v6, v10, v14, v6
	;;#ASMEND
	;;#ASMSTART
	v_dot2_f32_f16 v6, v11, v15, v6
	;;#ASMEND
	s_waitcnt lgkmcnt(1)
	;;#ASMSTART
	v_dot2_f32_f16 v4, v8, v16, v4
	;;#ASMEND
	;;#ASMSTART
	v_dot2_f32_f16 v4, v9, v17, v4
	;;#ASMEND
	;;#ASMSTART
	v_dot2_f32_f16 v4, v10, v18, v4
	;;#ASMEND
	;;#ASMSTART
	v_dot2_f32_f16 v4, v11, v19, v4
	;;#ASMEND
	s_waitcnt lgkmcnt(0)
	;;#ASMSTART
	v_dot2_f32_f16 v7, v20, v12, v7
	;;#ASMEND
	;;#ASMSTART
	v_dot2_f32_f16 v7, v21, v13, v7
	;;#ASMEND
	;;#ASMSTART
	v_dot2_f32_f16 v7, v22, v14, v7
	;;#ASMEND
	;;#ASMSTART
	v_dot2_f32_f16 v7, v23, v15, v7
	;;#ASMEND
	;;#ASMSTART
	v_dot2_f32_f16 v5, v20, v16, v5
	;;#ASMEND
	;;#ASMSTART
	v_dot2_f32_f16 v5, v21, v17, v5
	;;#ASMEND
	;;#ASMSTART
	v_dot2_f32_f16 v5, v22, v18, v5
	;;#ASMEND
	;;#ASMSTART
	v_dot2_f32_f16 v5, v23, v19, v5
	;;#ASMEND
	;; [unrolled: 55-line block ×8, first 2 shown]
	s_barrier
	buffer_gl0_inv
	s_clause 0x1
	global_load_b128 v[8:11], v[0:1], off offset:256
	global_load_b128 v[12:15], v[2:3], off offset:256
	s_waitcnt vmcnt(1)
	ds_store_b128 v205, v[8:11]
	s_waitcnt vmcnt(0)
	ds_store_b128 v206, v[12:15]
	s_waitcnt lgkmcnt(0)
	s_barrier
	buffer_gl0_inv
	ds_load_b128 v[8:11], v207 offset:16384
	ds_load_b128 v[12:15], v208 offset:256
	ds_load_b128 v[16:19], v208 offset:1280
	ds_load_b128 v[20:23], v207 offset:20992
	s_waitcnt lgkmcnt(2)
	;;#ASMSTART
	v_dot2_f32_f16 v6, v8, v12, v6
	;;#ASMEND
	;;#ASMSTART
	v_dot2_f32_f16 v6, v9, v13, v6
	;;#ASMEND
	;;#ASMSTART
	v_dot2_f32_f16 v6, v10, v14, v6
	;;#ASMEND
	;;#ASMSTART
	v_dot2_f32_f16 v6, v11, v15, v6
	;;#ASMEND
	s_waitcnt lgkmcnt(1)
	;;#ASMSTART
	v_dot2_f32_f16 v4, v8, v16, v4
	;;#ASMEND
	;;#ASMSTART
	v_dot2_f32_f16 v4, v9, v17, v4
	;;#ASMEND
	;;#ASMSTART
	v_dot2_f32_f16 v4, v10, v18, v4
	;;#ASMEND
	;;#ASMSTART
	v_dot2_f32_f16 v4, v11, v19, v4
	;;#ASMEND
	s_waitcnt lgkmcnt(0)
	;;#ASMSTART
	v_dot2_f32_f16 v7, v20, v12, v7
	;;#ASMEND
	;;#ASMSTART
	v_dot2_f32_f16 v7, v21, v13, v7
	;;#ASMEND
	;;#ASMSTART
	v_dot2_f32_f16 v7, v22, v14, v7
	;;#ASMEND
	;;#ASMSTART
	v_dot2_f32_f16 v7, v23, v15, v7
	;;#ASMEND
	;;#ASMSTART
	v_dot2_f32_f16 v5, v20, v16, v5
	;;#ASMEND
	;;#ASMSTART
	v_dot2_f32_f16 v5, v21, v17, v5
	;;#ASMEND
	;;#ASMSTART
	v_dot2_f32_f16 v5, v22, v18, v5
	;;#ASMEND
	;;#ASMSTART
	v_dot2_f32_f16 v5, v23, v19, v5
	;;#ASMEND
	ds_load_b128 v[8:11], v207 offset:16400
	ds_load_b128 v[12:15], v208 offset:272
	ds_load_b128 v[16:19], v208 offset:1296
	ds_load_b128 v[20:23], v207 offset:21008
	s_waitcnt lgkmcnt(2)
	;;#ASMSTART
	v_dot2_f32_f16 v6, v8, v12, v6
	;;#ASMEND
	;;#ASMSTART
	v_dot2_f32_f16 v6, v9, v13, v6
	;;#ASMEND
	;;#ASMSTART
	v_dot2_f32_f16 v6, v10, v14, v6
	;;#ASMEND
	;;#ASMSTART
	v_dot2_f32_f16 v6, v11, v15, v6
	;;#ASMEND
	s_waitcnt lgkmcnt(1)
	;;#ASMSTART
	v_dot2_f32_f16 v4, v8, v16, v4
	;;#ASMEND
	;;#ASMSTART
	v_dot2_f32_f16 v4, v9, v17, v4
	;;#ASMEND
	;;#ASMSTART
	v_dot2_f32_f16 v4, v10, v18, v4
	;;#ASMEND
	;;#ASMSTART
	v_dot2_f32_f16 v4, v11, v19, v4
	;;#ASMEND
	s_waitcnt lgkmcnt(0)
	;;#ASMSTART
	v_dot2_f32_f16 v7, v20, v12, v7
	;;#ASMEND
	;;#ASMSTART
	v_dot2_f32_f16 v7, v21, v13, v7
	;;#ASMEND
	;;#ASMSTART
	v_dot2_f32_f16 v7, v22, v14, v7
	;;#ASMEND
	;;#ASMSTART
	v_dot2_f32_f16 v7, v23, v15, v7
	;;#ASMEND
	;;#ASMSTART
	v_dot2_f32_f16 v5, v20, v16, v5
	;;#ASMEND
	;;#ASMSTART
	v_dot2_f32_f16 v5, v21, v17, v5
	;;#ASMEND
	;;#ASMSTART
	v_dot2_f32_f16 v5, v22, v18, v5
	;;#ASMEND
	;;#ASMSTART
	v_dot2_f32_f16 v5, v23, v19, v5
	;;#ASMEND
	;; [unrolled: 55-line block ×8, first 2 shown]
	s_barrier
	buffer_gl0_inv
	s_clause 0x1
	global_load_b128 v[8:11], v[0:1], off offset:384
	global_load_b128 v[12:15], v[2:3], off offset:384
	s_waitcnt vmcnt(1)
	ds_store_b128 v205, v[8:11]
	s_waitcnt vmcnt(0)
	ds_store_b128 v206, v[12:15]
	s_waitcnt lgkmcnt(0)
	s_barrier
	buffer_gl0_inv
	ds_load_b128 v[8:11], v207 offset:16384
	ds_load_b128 v[12:15], v208 offset:384
	ds_load_b128 v[16:19], v208 offset:1408
	ds_load_b128 v[20:23], v207 offset:20992
	s_waitcnt lgkmcnt(2)
	;;#ASMSTART
	v_dot2_f32_f16 v6, v8, v12, v6
	;;#ASMEND
	;;#ASMSTART
	v_dot2_f32_f16 v6, v9, v13, v6
	;;#ASMEND
	;;#ASMSTART
	v_dot2_f32_f16 v6, v10, v14, v6
	;;#ASMEND
	;;#ASMSTART
	v_dot2_f32_f16 v6, v11, v15, v6
	;;#ASMEND
	s_waitcnt lgkmcnt(1)
	;;#ASMSTART
	v_dot2_f32_f16 v4, v8, v16, v4
	;;#ASMEND
	;;#ASMSTART
	v_dot2_f32_f16 v4, v9, v17, v4
	;;#ASMEND
	;;#ASMSTART
	v_dot2_f32_f16 v4, v10, v18, v4
	;;#ASMEND
	;;#ASMSTART
	v_dot2_f32_f16 v4, v11, v19, v4
	;;#ASMEND
	s_waitcnt lgkmcnt(0)
	;;#ASMSTART
	v_dot2_f32_f16 v7, v20, v12, v7
	;;#ASMEND
	;;#ASMSTART
	v_dot2_f32_f16 v7, v21, v13, v7
	;;#ASMEND
	;;#ASMSTART
	v_dot2_f32_f16 v7, v22, v14, v7
	;;#ASMEND
	;;#ASMSTART
	v_dot2_f32_f16 v7, v23, v15, v7
	;;#ASMEND
	;;#ASMSTART
	v_dot2_f32_f16 v5, v20, v16, v5
	;;#ASMEND
	;;#ASMSTART
	v_dot2_f32_f16 v5, v21, v17, v5
	;;#ASMEND
	;;#ASMSTART
	v_dot2_f32_f16 v5, v22, v18, v5
	;;#ASMEND
	;;#ASMSTART
	v_dot2_f32_f16 v5, v23, v19, v5
	;;#ASMEND
	ds_load_b128 v[8:11], v207 offset:16400
	ds_load_b128 v[12:15], v208 offset:400
	ds_load_b128 v[16:19], v208 offset:1424
	ds_load_b128 v[20:23], v207 offset:21008
	s_waitcnt lgkmcnt(2)
	;;#ASMSTART
	v_dot2_f32_f16 v6, v8, v12, v6
	;;#ASMEND
	;;#ASMSTART
	v_dot2_f32_f16 v6, v9, v13, v6
	;;#ASMEND
	;;#ASMSTART
	v_dot2_f32_f16 v6, v10, v14, v6
	;;#ASMEND
	;;#ASMSTART
	v_dot2_f32_f16 v6, v11, v15, v6
	;;#ASMEND
	s_waitcnt lgkmcnt(1)
	;;#ASMSTART
	v_dot2_f32_f16 v4, v8, v16, v4
	;;#ASMEND
	;;#ASMSTART
	v_dot2_f32_f16 v4, v9, v17, v4
	;;#ASMEND
	;;#ASMSTART
	v_dot2_f32_f16 v4, v10, v18, v4
	;;#ASMEND
	;;#ASMSTART
	v_dot2_f32_f16 v4, v11, v19, v4
	;;#ASMEND
	s_waitcnt lgkmcnt(0)
	;;#ASMSTART
	v_dot2_f32_f16 v7, v20, v12, v7
	;;#ASMEND
	;;#ASMSTART
	v_dot2_f32_f16 v7, v21, v13, v7
	;;#ASMEND
	;;#ASMSTART
	v_dot2_f32_f16 v7, v22, v14, v7
	;;#ASMEND
	;;#ASMSTART
	v_dot2_f32_f16 v7, v23, v15, v7
	;;#ASMEND
	;;#ASMSTART
	v_dot2_f32_f16 v5, v20, v16, v5
	;;#ASMEND
	;;#ASMSTART
	v_dot2_f32_f16 v5, v21, v17, v5
	;;#ASMEND
	;;#ASMSTART
	v_dot2_f32_f16 v5, v22, v18, v5
	;;#ASMEND
	;;#ASMSTART
	v_dot2_f32_f16 v5, v23, v19, v5
	;;#ASMEND
	;; [unrolled: 55-line block ×8, first 2 shown]
	s_barrier
	buffer_gl0_inv
	s_clause 0x1
	global_load_b128 v[8:11], v[0:1], off offset:512
	global_load_b128 v[12:15], v[2:3], off offset:512
	s_waitcnt vmcnt(1)
	ds_store_b128 v205, v[8:11]
	s_waitcnt vmcnt(0)
	ds_store_b128 v206, v[12:15]
	s_waitcnt lgkmcnt(0)
	s_barrier
	buffer_gl0_inv
	ds_load_b128 v[8:11], v207 offset:16384
	ds_load_b128 v[12:15], v208 offset:512
	ds_load_b128 v[16:19], v208 offset:1536
	ds_load_b128 v[20:23], v207 offset:20992
	s_waitcnt lgkmcnt(2)
	;;#ASMSTART
	v_dot2_f32_f16 v6, v8, v12, v6
	;;#ASMEND
	;;#ASMSTART
	v_dot2_f32_f16 v6, v9, v13, v6
	;;#ASMEND
	;;#ASMSTART
	v_dot2_f32_f16 v6, v10, v14, v6
	;;#ASMEND
	;;#ASMSTART
	v_dot2_f32_f16 v6, v11, v15, v6
	;;#ASMEND
	s_waitcnt lgkmcnt(1)
	;;#ASMSTART
	v_dot2_f32_f16 v4, v8, v16, v4
	;;#ASMEND
	;;#ASMSTART
	v_dot2_f32_f16 v4, v9, v17, v4
	;;#ASMEND
	;;#ASMSTART
	v_dot2_f32_f16 v4, v10, v18, v4
	;;#ASMEND
	;;#ASMSTART
	v_dot2_f32_f16 v4, v11, v19, v4
	;;#ASMEND
	s_waitcnt lgkmcnt(0)
	;;#ASMSTART
	v_dot2_f32_f16 v7, v20, v12, v7
	;;#ASMEND
	;;#ASMSTART
	v_dot2_f32_f16 v7, v21, v13, v7
	;;#ASMEND
	;;#ASMSTART
	v_dot2_f32_f16 v7, v22, v14, v7
	;;#ASMEND
	;;#ASMSTART
	v_dot2_f32_f16 v7, v23, v15, v7
	;;#ASMEND
	;;#ASMSTART
	v_dot2_f32_f16 v5, v20, v16, v5
	;;#ASMEND
	;;#ASMSTART
	v_dot2_f32_f16 v5, v21, v17, v5
	;;#ASMEND
	;;#ASMSTART
	v_dot2_f32_f16 v5, v22, v18, v5
	;;#ASMEND
	;;#ASMSTART
	v_dot2_f32_f16 v5, v23, v19, v5
	;;#ASMEND
	ds_load_b128 v[8:11], v207 offset:16400
	ds_load_b128 v[12:15], v208 offset:528
	ds_load_b128 v[16:19], v208 offset:1552
	ds_load_b128 v[20:23], v207 offset:21008
	s_waitcnt lgkmcnt(2)
	;;#ASMSTART
	v_dot2_f32_f16 v6, v8, v12, v6
	;;#ASMEND
	;;#ASMSTART
	v_dot2_f32_f16 v6, v9, v13, v6
	;;#ASMEND
	;;#ASMSTART
	v_dot2_f32_f16 v6, v10, v14, v6
	;;#ASMEND
	;;#ASMSTART
	v_dot2_f32_f16 v6, v11, v15, v6
	;;#ASMEND
	s_waitcnt lgkmcnt(1)
	;;#ASMSTART
	v_dot2_f32_f16 v4, v8, v16, v4
	;;#ASMEND
	;;#ASMSTART
	v_dot2_f32_f16 v4, v9, v17, v4
	;;#ASMEND
	;;#ASMSTART
	v_dot2_f32_f16 v4, v10, v18, v4
	;;#ASMEND
	;;#ASMSTART
	v_dot2_f32_f16 v4, v11, v19, v4
	;;#ASMEND
	s_waitcnt lgkmcnt(0)
	;;#ASMSTART
	v_dot2_f32_f16 v7, v20, v12, v7
	;;#ASMEND
	;;#ASMSTART
	v_dot2_f32_f16 v7, v21, v13, v7
	;;#ASMEND
	;;#ASMSTART
	v_dot2_f32_f16 v7, v22, v14, v7
	;;#ASMEND
	;;#ASMSTART
	v_dot2_f32_f16 v7, v23, v15, v7
	;;#ASMEND
	;;#ASMSTART
	v_dot2_f32_f16 v5, v20, v16, v5
	;;#ASMEND
	;;#ASMSTART
	v_dot2_f32_f16 v5, v21, v17, v5
	;;#ASMEND
	;;#ASMSTART
	v_dot2_f32_f16 v5, v22, v18, v5
	;;#ASMEND
	;;#ASMSTART
	v_dot2_f32_f16 v5, v23, v19, v5
	;;#ASMEND
	;; [unrolled: 55-line block ×8, first 2 shown]
	s_barrier
	buffer_gl0_inv
	s_clause 0x1
	global_load_b128 v[8:11], v[0:1], off offset:640
	global_load_b128 v[12:15], v[2:3], off offset:640
	s_waitcnt vmcnt(1)
	ds_store_b128 v205, v[8:11]
	s_waitcnt vmcnt(0)
	ds_store_b128 v206, v[12:15]
	s_waitcnt lgkmcnt(0)
	s_barrier
	buffer_gl0_inv
	ds_load_b128 v[8:11], v207 offset:16384
	ds_load_b128 v[12:15], v208 offset:640
	ds_load_b128 v[16:19], v208 offset:1664
	ds_load_b128 v[20:23], v207 offset:20992
	s_waitcnt lgkmcnt(2)
	;;#ASMSTART
	v_dot2_f32_f16 v6, v8, v12, v6
	;;#ASMEND
	;;#ASMSTART
	v_dot2_f32_f16 v6, v9, v13, v6
	;;#ASMEND
	;;#ASMSTART
	v_dot2_f32_f16 v6, v10, v14, v6
	;;#ASMEND
	;;#ASMSTART
	v_dot2_f32_f16 v6, v11, v15, v6
	;;#ASMEND
	s_waitcnt lgkmcnt(1)
	;;#ASMSTART
	v_dot2_f32_f16 v4, v8, v16, v4
	;;#ASMEND
	;;#ASMSTART
	v_dot2_f32_f16 v4, v9, v17, v4
	;;#ASMEND
	;;#ASMSTART
	v_dot2_f32_f16 v4, v10, v18, v4
	;;#ASMEND
	;;#ASMSTART
	v_dot2_f32_f16 v4, v11, v19, v4
	;;#ASMEND
	s_waitcnt lgkmcnt(0)
	;;#ASMSTART
	v_dot2_f32_f16 v7, v20, v12, v7
	;;#ASMEND
	;;#ASMSTART
	v_dot2_f32_f16 v7, v21, v13, v7
	;;#ASMEND
	;;#ASMSTART
	v_dot2_f32_f16 v7, v22, v14, v7
	;;#ASMEND
	;;#ASMSTART
	v_dot2_f32_f16 v7, v23, v15, v7
	;;#ASMEND
	;;#ASMSTART
	v_dot2_f32_f16 v5, v20, v16, v5
	;;#ASMEND
	;;#ASMSTART
	v_dot2_f32_f16 v5, v21, v17, v5
	;;#ASMEND
	;;#ASMSTART
	v_dot2_f32_f16 v5, v22, v18, v5
	;;#ASMEND
	;;#ASMSTART
	v_dot2_f32_f16 v5, v23, v19, v5
	;;#ASMEND
	ds_load_b128 v[8:11], v207 offset:16400
	ds_load_b128 v[12:15], v208 offset:656
	ds_load_b128 v[16:19], v208 offset:1680
	ds_load_b128 v[20:23], v207 offset:21008
	s_waitcnt lgkmcnt(2)
	;;#ASMSTART
	v_dot2_f32_f16 v6, v8, v12, v6
	;;#ASMEND
	;;#ASMSTART
	v_dot2_f32_f16 v6, v9, v13, v6
	;;#ASMEND
	;;#ASMSTART
	v_dot2_f32_f16 v6, v10, v14, v6
	;;#ASMEND
	;;#ASMSTART
	v_dot2_f32_f16 v6, v11, v15, v6
	;;#ASMEND
	s_waitcnt lgkmcnt(1)
	;;#ASMSTART
	v_dot2_f32_f16 v4, v8, v16, v4
	;;#ASMEND
	;;#ASMSTART
	v_dot2_f32_f16 v4, v9, v17, v4
	;;#ASMEND
	;;#ASMSTART
	v_dot2_f32_f16 v4, v10, v18, v4
	;;#ASMEND
	;;#ASMSTART
	v_dot2_f32_f16 v4, v11, v19, v4
	;;#ASMEND
	s_waitcnt lgkmcnt(0)
	;;#ASMSTART
	v_dot2_f32_f16 v7, v20, v12, v7
	;;#ASMEND
	;;#ASMSTART
	v_dot2_f32_f16 v7, v21, v13, v7
	;;#ASMEND
	;;#ASMSTART
	v_dot2_f32_f16 v7, v22, v14, v7
	;;#ASMEND
	;;#ASMSTART
	v_dot2_f32_f16 v7, v23, v15, v7
	;;#ASMEND
	;;#ASMSTART
	v_dot2_f32_f16 v5, v20, v16, v5
	;;#ASMEND
	;;#ASMSTART
	v_dot2_f32_f16 v5, v21, v17, v5
	;;#ASMEND
	;;#ASMSTART
	v_dot2_f32_f16 v5, v22, v18, v5
	;;#ASMEND
	;;#ASMSTART
	v_dot2_f32_f16 v5, v23, v19, v5
	;;#ASMEND
	ds_load_b128 v[8:11], v207 offset:16416
	ds_load_b128 v[12:15], v208 offset:672
	ds_load_b128 v[16:19], v208 offset:1696
	ds_load_b128 v[20:23], v207 offset:21024
	s_waitcnt lgkmcnt(2)
	;;#ASMSTART
	v_dot2_f32_f16 v6, v8, v12, v6
	;;#ASMEND
	;;#ASMSTART
	v_dot2_f32_f16 v6, v9, v13, v6
	;;#ASMEND
	;;#ASMSTART
	v_dot2_f32_f16 v6, v10, v14, v6
	;;#ASMEND
	;;#ASMSTART
	v_dot2_f32_f16 v6, v11, v15, v6
	;;#ASMEND
	s_waitcnt lgkmcnt(1)
	;;#ASMSTART
	v_dot2_f32_f16 v4, v8, v16, v4
	;;#ASMEND
	;;#ASMSTART
	v_dot2_f32_f16 v4, v9, v17, v4
	;;#ASMEND
	;;#ASMSTART
	v_dot2_f32_f16 v4, v10, v18, v4
	;;#ASMEND
	;;#ASMSTART
	v_dot2_f32_f16 v4, v11, v19, v4
	;;#ASMEND
	s_waitcnt lgkmcnt(0)
	;;#ASMSTART
	v_dot2_f32_f16 v7, v20, v12, v7
	;;#ASMEND
	;;#ASMSTART
	v_dot2_f32_f16 v7, v21, v13, v7
	;;#ASMEND
	;;#ASMSTART
	v_dot2_f32_f16 v7, v22, v14, v7
	;;#ASMEND
	;;#ASMSTART
	v_dot2_f32_f16 v7, v23, v15, v7
	;;#ASMEND
	;;#ASMSTART
	v_dot2_f32_f16 v5, v20, v16, v5
	;;#ASMEND
	;;#ASMSTART
	v_dot2_f32_f16 v5, v21, v17, v5
	;;#ASMEND
	;;#ASMSTART
	v_dot2_f32_f16 v5, v22, v18, v5
	;;#ASMEND
	;;#ASMSTART
	v_dot2_f32_f16 v5, v23, v19, v5
	;;#ASMEND
	ds_load_b128 v[8:11], v207 offset:16432
	ds_load_b128 v[12:15], v208 offset:688
	ds_load_b128 v[16:19], v208 offset:1712
	ds_load_b128 v[20:23], v207 offset:21040
	s_waitcnt lgkmcnt(2)
	;;#ASMSTART
	v_dot2_f32_f16 v6, v8, v12, v6
	;;#ASMEND
	;;#ASMSTART
	v_dot2_f32_f16 v6, v9, v13, v6
	;;#ASMEND
	;;#ASMSTART
	v_dot2_f32_f16 v6, v10, v14, v6
	;;#ASMEND
	;;#ASMSTART
	v_dot2_f32_f16 v6, v11, v15, v6
	;;#ASMEND
	s_waitcnt lgkmcnt(1)
	;;#ASMSTART
	v_dot2_f32_f16 v4, v8, v16, v4
	;;#ASMEND
	;;#ASMSTART
	v_dot2_f32_f16 v4, v9, v17, v4
	;;#ASMEND
	;;#ASMSTART
	v_dot2_f32_f16 v4, v10, v18, v4
	;;#ASMEND
	;;#ASMSTART
	v_dot2_f32_f16 v4, v11, v19, v4
	;;#ASMEND
	s_waitcnt lgkmcnt(0)
	;;#ASMSTART
	v_dot2_f32_f16 v7, v20, v12, v7
	;;#ASMEND
	;;#ASMSTART
	v_dot2_f32_f16 v7, v21, v13, v7
	;;#ASMEND
	;;#ASMSTART
	v_dot2_f32_f16 v7, v22, v14, v7
	;;#ASMEND
	;;#ASMSTART
	v_dot2_f32_f16 v7, v23, v15, v7
	;;#ASMEND
	;;#ASMSTART
	v_dot2_f32_f16 v5, v20, v16, v5
	;;#ASMEND
	;;#ASMSTART
	v_dot2_f32_f16 v5, v21, v17, v5
	;;#ASMEND
	;;#ASMSTART
	v_dot2_f32_f16 v5, v22, v18, v5
	;;#ASMEND
	;;#ASMSTART
	v_dot2_f32_f16 v5, v23, v19, v5
	;;#ASMEND
	ds_load_b128 v[8:11], v207 offset:16448
	ds_load_b128 v[12:15], v208 offset:704
	ds_load_b128 v[16:19], v208 offset:1728
	ds_load_b128 v[20:23], v207 offset:21056
	s_waitcnt lgkmcnt(2)
	;;#ASMSTART
	v_dot2_f32_f16 v6, v8, v12, v6
	;;#ASMEND
	;;#ASMSTART
	v_dot2_f32_f16 v6, v9, v13, v6
	;;#ASMEND
	;;#ASMSTART
	v_dot2_f32_f16 v6, v10, v14, v6
	;;#ASMEND
	;;#ASMSTART
	v_dot2_f32_f16 v6, v11, v15, v6
	;;#ASMEND
	s_waitcnt lgkmcnt(1)
	;;#ASMSTART
	v_dot2_f32_f16 v4, v8, v16, v4
	;;#ASMEND
	;;#ASMSTART
	v_dot2_f32_f16 v4, v9, v17, v4
	;;#ASMEND
	;;#ASMSTART
	v_dot2_f32_f16 v4, v10, v18, v4
	;;#ASMEND
	;;#ASMSTART
	v_dot2_f32_f16 v4, v11, v19, v4
	;;#ASMEND
	s_waitcnt lgkmcnt(0)
	;;#ASMSTART
	v_dot2_f32_f16 v7, v20, v12, v7
	;;#ASMEND
	;;#ASMSTART
	v_dot2_f32_f16 v7, v21, v13, v7
	;;#ASMEND
	;;#ASMSTART
	v_dot2_f32_f16 v7, v22, v14, v7
	;;#ASMEND
	;;#ASMSTART
	v_dot2_f32_f16 v7, v23, v15, v7
	;;#ASMEND
	;;#ASMSTART
	v_dot2_f32_f16 v5, v20, v16, v5
	;;#ASMEND
	;;#ASMSTART
	v_dot2_f32_f16 v5, v21, v17, v5
	;;#ASMEND
	;;#ASMSTART
	v_dot2_f32_f16 v5, v22, v18, v5
	;;#ASMEND
	;;#ASMSTART
	v_dot2_f32_f16 v5, v23, v19, v5
	;;#ASMEND
	ds_load_b128 v[8:11], v207 offset:16464
	ds_load_b128 v[12:15], v208 offset:720
	ds_load_b128 v[16:19], v208 offset:1744
	ds_load_b128 v[20:23], v207 offset:21072
	s_waitcnt lgkmcnt(2)
	;;#ASMSTART
	v_dot2_f32_f16 v6, v8, v12, v6
	;;#ASMEND
	;;#ASMSTART
	v_dot2_f32_f16 v6, v9, v13, v6
	;;#ASMEND
	;;#ASMSTART
	v_dot2_f32_f16 v6, v10, v14, v6
	;;#ASMEND
	;;#ASMSTART
	v_dot2_f32_f16 v6, v11, v15, v6
	;;#ASMEND
	s_waitcnt lgkmcnt(1)
	;;#ASMSTART
	v_dot2_f32_f16 v4, v8, v16, v4
	;;#ASMEND
	;;#ASMSTART
	v_dot2_f32_f16 v4, v9, v17, v4
	;;#ASMEND
	;;#ASMSTART
	v_dot2_f32_f16 v4, v10, v18, v4
	;;#ASMEND
	;;#ASMSTART
	v_dot2_f32_f16 v4, v11, v19, v4
	;;#ASMEND
	s_waitcnt lgkmcnt(0)
	;;#ASMSTART
	v_dot2_f32_f16 v7, v20, v12, v7
	;;#ASMEND
	;;#ASMSTART
	v_dot2_f32_f16 v7, v21, v13, v7
	;;#ASMEND
	;;#ASMSTART
	v_dot2_f32_f16 v7, v22, v14, v7
	;;#ASMEND
	;;#ASMSTART
	v_dot2_f32_f16 v7, v23, v15, v7
	;;#ASMEND
	;;#ASMSTART
	v_dot2_f32_f16 v5, v20, v16, v5
	;;#ASMEND
	;;#ASMSTART
	v_dot2_f32_f16 v5, v21, v17, v5
	;;#ASMEND
	;;#ASMSTART
	v_dot2_f32_f16 v5, v22, v18, v5
	;;#ASMEND
	;;#ASMSTART
	v_dot2_f32_f16 v5, v23, v19, v5
	;;#ASMEND
	ds_load_b128 v[8:11], v207 offset:16480
	ds_load_b128 v[12:15], v208 offset:736
	ds_load_b128 v[16:19], v208 offset:1760
	ds_load_b128 v[20:23], v207 offset:21088
	s_waitcnt lgkmcnt(2)
	;;#ASMSTART
	v_dot2_f32_f16 v6, v8, v12, v6
	;;#ASMEND
	;;#ASMSTART
	v_dot2_f32_f16 v6, v9, v13, v6
	;;#ASMEND
	;;#ASMSTART
	v_dot2_f32_f16 v6, v10, v14, v6
	;;#ASMEND
	;;#ASMSTART
	v_dot2_f32_f16 v6, v11, v15, v6
	;;#ASMEND
	s_waitcnt lgkmcnt(1)
	;;#ASMSTART
	v_dot2_f32_f16 v4, v8, v16, v4
	;;#ASMEND
	;;#ASMSTART
	v_dot2_f32_f16 v4, v9, v17, v4
	;;#ASMEND
	;;#ASMSTART
	v_dot2_f32_f16 v4, v10, v18, v4
	;;#ASMEND
	;;#ASMSTART
	v_dot2_f32_f16 v4, v11, v19, v4
	;;#ASMEND
	s_waitcnt lgkmcnt(0)
	;;#ASMSTART
	v_dot2_f32_f16 v7, v20, v12, v7
	;;#ASMEND
	;;#ASMSTART
	v_dot2_f32_f16 v7, v21, v13, v7
	;;#ASMEND
	;;#ASMSTART
	v_dot2_f32_f16 v7, v22, v14, v7
	;;#ASMEND
	;;#ASMSTART
	v_dot2_f32_f16 v7, v23, v15, v7
	;;#ASMEND
	;;#ASMSTART
	v_dot2_f32_f16 v5, v20, v16, v5
	;;#ASMEND
	;;#ASMSTART
	v_dot2_f32_f16 v5, v21, v17, v5
	;;#ASMEND
	;;#ASMSTART
	v_dot2_f32_f16 v5, v22, v18, v5
	;;#ASMEND
	;;#ASMSTART
	v_dot2_f32_f16 v5, v23, v19, v5
	;;#ASMEND
	ds_load_b128 v[8:11], v207 offset:16496
	ds_load_b128 v[12:15], v208 offset:752
	ds_load_b128 v[16:19], v208 offset:1776
	ds_load_b128 v[20:23], v207 offset:21104
	s_waitcnt lgkmcnt(2)
	;;#ASMSTART
	v_dot2_f32_f16 v6, v8, v12, v6
	;;#ASMEND
	;;#ASMSTART
	v_dot2_f32_f16 v6, v9, v13, v6
	;;#ASMEND
	;;#ASMSTART
	v_dot2_f32_f16 v6, v10, v14, v6
	;;#ASMEND
	;;#ASMSTART
	v_dot2_f32_f16 v6, v11, v15, v6
	;;#ASMEND
	s_waitcnt lgkmcnt(1)
	;;#ASMSTART
	v_dot2_f32_f16 v4, v8, v16, v4
	;;#ASMEND
	;;#ASMSTART
	v_dot2_f32_f16 v4, v9, v17, v4
	;;#ASMEND
	;;#ASMSTART
	v_dot2_f32_f16 v4, v10, v18, v4
	;;#ASMEND
	;;#ASMSTART
	v_dot2_f32_f16 v4, v11, v19, v4
	;;#ASMEND
	s_waitcnt lgkmcnt(0)
	;;#ASMSTART
	v_dot2_f32_f16 v7, v20, v12, v7
	;;#ASMEND
	;;#ASMSTART
	v_dot2_f32_f16 v7, v21, v13, v7
	;;#ASMEND
	;;#ASMSTART
	v_dot2_f32_f16 v7, v22, v14, v7
	;;#ASMEND
	;;#ASMSTART
	v_dot2_f32_f16 v7, v23, v15, v7
	;;#ASMEND
	;;#ASMSTART
	v_dot2_f32_f16 v5, v20, v16, v5
	;;#ASMEND
	;;#ASMSTART
	v_dot2_f32_f16 v5, v21, v17, v5
	;;#ASMEND
	;;#ASMSTART
	v_dot2_f32_f16 v5, v22, v18, v5
	;;#ASMEND
	;;#ASMSTART
	v_dot2_f32_f16 v5, v23, v19, v5
	;;#ASMEND
	s_barrier
	buffer_gl0_inv
	s_clause 0x1
	global_load_b128 v[8:11], v[0:1], off offset:768
	global_load_b128 v[12:15], v[2:3], off offset:768
	s_waitcnt vmcnt(1)
	ds_store_b128 v205, v[8:11]
	s_waitcnt vmcnt(0)
	ds_store_b128 v206, v[12:15]
	s_waitcnt lgkmcnt(0)
	s_barrier
	buffer_gl0_inv
	ds_load_b128 v[8:11], v207 offset:16384
	ds_load_b128 v[12:15], v208 offset:768
	ds_load_b128 v[16:19], v208 offset:1792
	ds_load_b128 v[20:23], v207 offset:20992
	s_waitcnt lgkmcnt(2)
	;;#ASMSTART
	v_dot2_f32_f16 v6, v8, v12, v6
	;;#ASMEND
	;;#ASMSTART
	v_dot2_f32_f16 v6, v9, v13, v6
	;;#ASMEND
	;;#ASMSTART
	v_dot2_f32_f16 v6, v10, v14, v6
	;;#ASMEND
	;;#ASMSTART
	v_dot2_f32_f16 v6, v11, v15, v6
	;;#ASMEND
	s_waitcnt lgkmcnt(1)
	;;#ASMSTART
	v_dot2_f32_f16 v4, v8, v16, v4
	;;#ASMEND
	;;#ASMSTART
	v_dot2_f32_f16 v4, v9, v17, v4
	;;#ASMEND
	;;#ASMSTART
	v_dot2_f32_f16 v4, v10, v18, v4
	;;#ASMEND
	;;#ASMSTART
	v_dot2_f32_f16 v4, v11, v19, v4
	;;#ASMEND
	s_waitcnt lgkmcnt(0)
	;;#ASMSTART
	v_dot2_f32_f16 v7, v20, v12, v7
	;;#ASMEND
	;;#ASMSTART
	v_dot2_f32_f16 v7, v21, v13, v7
	;;#ASMEND
	;;#ASMSTART
	v_dot2_f32_f16 v7, v22, v14, v7
	;;#ASMEND
	;;#ASMSTART
	v_dot2_f32_f16 v7, v23, v15, v7
	;;#ASMEND
	;;#ASMSTART
	v_dot2_f32_f16 v5, v20, v16, v5
	;;#ASMEND
	;;#ASMSTART
	v_dot2_f32_f16 v5, v21, v17, v5
	;;#ASMEND
	;;#ASMSTART
	v_dot2_f32_f16 v5, v22, v18, v5
	;;#ASMEND
	;;#ASMSTART
	v_dot2_f32_f16 v5, v23, v19, v5
	;;#ASMEND
	ds_load_b128 v[8:11], v207 offset:16400
	ds_load_b128 v[12:15], v208 offset:784
	ds_load_b128 v[16:19], v208 offset:1808
	ds_load_b128 v[20:23], v207 offset:21008
	s_waitcnt lgkmcnt(2)
	;;#ASMSTART
	v_dot2_f32_f16 v6, v8, v12, v6
	;;#ASMEND
	;;#ASMSTART
	v_dot2_f32_f16 v6, v9, v13, v6
	;;#ASMEND
	;;#ASMSTART
	v_dot2_f32_f16 v6, v10, v14, v6
	;;#ASMEND
	;;#ASMSTART
	v_dot2_f32_f16 v6, v11, v15, v6
	;;#ASMEND
	s_waitcnt lgkmcnt(1)
	;;#ASMSTART
	v_dot2_f32_f16 v4, v8, v16, v4
	;;#ASMEND
	;;#ASMSTART
	v_dot2_f32_f16 v4, v9, v17, v4
	;;#ASMEND
	;;#ASMSTART
	v_dot2_f32_f16 v4, v10, v18, v4
	;;#ASMEND
	;;#ASMSTART
	v_dot2_f32_f16 v4, v11, v19, v4
	;;#ASMEND
	s_waitcnt lgkmcnt(0)
	;;#ASMSTART
	v_dot2_f32_f16 v7, v20, v12, v7
	;;#ASMEND
	;;#ASMSTART
	v_dot2_f32_f16 v7, v21, v13, v7
	;;#ASMEND
	;;#ASMSTART
	v_dot2_f32_f16 v7, v22, v14, v7
	;;#ASMEND
	;;#ASMSTART
	v_dot2_f32_f16 v7, v23, v15, v7
	;;#ASMEND
	;;#ASMSTART
	v_dot2_f32_f16 v5, v20, v16, v5
	;;#ASMEND
	;;#ASMSTART
	v_dot2_f32_f16 v5, v21, v17, v5
	;;#ASMEND
	;;#ASMSTART
	v_dot2_f32_f16 v5, v22, v18, v5
	;;#ASMEND
	;;#ASMSTART
	v_dot2_f32_f16 v5, v23, v19, v5
	;;#ASMEND
	;; [unrolled: 55-line block ×8, first 2 shown]
	s_barrier
	buffer_gl0_inv
	s_clause 0x1
	global_load_b128 v[8:11], v[0:1], off offset:896
	global_load_b128 v[0:3], v[2:3], off offset:896
	s_waitcnt vmcnt(1)
	ds_store_b128 v205, v[8:11]
	s_waitcnt vmcnt(0)
	ds_store_b128 v206, v[0:3]
	s_waitcnt lgkmcnt(0)
	s_barrier
	buffer_gl0_inv
	ds_load_b128 v[0:3], v207 offset:16384
	ds_load_b128 v[8:11], v208 offset:896
	ds_load_b128 v[12:15], v208 offset:1920
	ds_load_b128 v[16:19], v207 offset:20992
	s_waitcnt lgkmcnt(2)
	;;#ASMSTART
	v_dot2_f32_f16 v6, v0, v8, v6
	;;#ASMEND
	;;#ASMSTART
	v_dot2_f32_f16 v6, v1, v9, v6
	;;#ASMEND
	;;#ASMSTART
	v_dot2_f32_f16 v6, v2, v10, v6
	;;#ASMEND
	;;#ASMSTART
	v_dot2_f32_f16 v6, v3, v11, v6
	;;#ASMEND
	s_waitcnt lgkmcnt(1)
	;;#ASMSTART
	v_dot2_f32_f16 v4, v0, v12, v4
	;;#ASMEND
	;;#ASMSTART
	v_dot2_f32_f16 v4, v1, v13, v4
	;;#ASMEND
	;;#ASMSTART
	v_dot2_f32_f16 v4, v2, v14, v4
	;;#ASMEND
	;;#ASMSTART
	v_dot2_f32_f16 v4, v3, v15, v4
	;;#ASMEND
	s_waitcnt lgkmcnt(0)
	;;#ASMSTART
	v_dot2_f32_f16 v7, v16, v8, v7
	;;#ASMEND
	;;#ASMSTART
	v_dot2_f32_f16 v7, v17, v9, v7
	;;#ASMEND
	;;#ASMSTART
	v_dot2_f32_f16 v7, v18, v10, v7
	;;#ASMEND
	;;#ASMSTART
	v_dot2_f32_f16 v7, v19, v11, v7
	;;#ASMEND
	;;#ASMSTART
	v_dot2_f32_f16 v5, v16, v12, v5
	;;#ASMEND
	;;#ASMSTART
	v_dot2_f32_f16 v5, v17, v13, v5
	;;#ASMEND
	;;#ASMSTART
	v_dot2_f32_f16 v5, v18, v14, v5
	;;#ASMEND
	;;#ASMSTART
	v_dot2_f32_f16 v5, v19, v15, v5
	;;#ASMEND
	ds_load_b128 v[0:3], v207 offset:16400
	ds_load_b128 v[8:11], v208 offset:912
	ds_load_b128 v[12:15], v208 offset:1936
	ds_load_b128 v[16:19], v207 offset:21008
	s_waitcnt lgkmcnt(2)
	;;#ASMSTART
	v_dot2_f32_f16 v6, v0, v8, v6
	;;#ASMEND
	;;#ASMSTART
	v_dot2_f32_f16 v6, v1, v9, v6
	;;#ASMEND
	;;#ASMSTART
	v_dot2_f32_f16 v6, v2, v10, v6
	;;#ASMEND
	;;#ASMSTART
	v_dot2_f32_f16 v6, v3, v11, v6
	;;#ASMEND
	s_waitcnt lgkmcnt(1)
	;;#ASMSTART
	v_dot2_f32_f16 v4, v0, v12, v4
	;;#ASMEND
	;;#ASMSTART
	v_dot2_f32_f16 v4, v1, v13, v4
	;;#ASMEND
	;;#ASMSTART
	v_dot2_f32_f16 v4, v2, v14, v4
	;;#ASMEND
	;;#ASMSTART
	v_dot2_f32_f16 v4, v3, v15, v4
	;;#ASMEND
	s_waitcnt lgkmcnt(0)
	;;#ASMSTART
	v_dot2_f32_f16 v7, v16, v8, v7
	;;#ASMEND
	;;#ASMSTART
	v_dot2_f32_f16 v7, v17, v9, v7
	;;#ASMEND
	;;#ASMSTART
	v_dot2_f32_f16 v7, v18, v10, v7
	;;#ASMEND
	;;#ASMSTART
	v_dot2_f32_f16 v7, v19, v11, v7
	;;#ASMEND
	;;#ASMSTART
	v_dot2_f32_f16 v5, v16, v12, v5
	;;#ASMEND
	;;#ASMSTART
	v_dot2_f32_f16 v5, v17, v13, v5
	;;#ASMEND
	;;#ASMSTART
	v_dot2_f32_f16 v5, v18, v14, v5
	;;#ASMEND
	;;#ASMSTART
	v_dot2_f32_f16 v5, v19, v15, v5
	;;#ASMEND
	;; [unrolled: 55-line block ×7, first 2 shown]
	ds_load_b128 v[0:3], v207 offset:16496
	ds_load_b128 v[8:11], v208 offset:1008
	;; [unrolled: 1-line block ×4, first 2 shown]
	s_waitcnt lgkmcnt(2)
	;;#ASMSTART
	v_dot2_f32_f16 v6, v0, v8, v6
	;;#ASMEND
	;;#ASMSTART
	v_dot2_f32_f16 v6, v1, v9, v6
	;;#ASMEND
	;; [unrolled: 3-line block ×4, first 2 shown]
	s_waitcnt lgkmcnt(1)
	;;#ASMSTART
	v_dot2_f32_f16 v4, v0, v12, v4
	;;#ASMEND
	;;#ASMSTART
	v_dot2_f32_f16 v4, v1, v13, v4
	;;#ASMEND
	;; [unrolled: 3-line block ×4, first 2 shown]
	s_waitcnt lgkmcnt(0)
	;;#ASMSTART
	v_dot2_f32_f16 v7, v16, v8, v7
	;;#ASMEND
	v_cmp_ngt_f32_e64 s16, 0x3f200000, |v6|
	;;#ASMSTART
	v_dot2_f32_f16 v7, v17, v9, v7
	;;#ASMEND
	;;#ASMSTART
	v_dot2_f32_f16 v7, v18, v10, v7
	;;#ASMEND
	;; [unrolled: 3-line block ×7, first 2 shown]
                                        ; implicit-def: $vgpr8
	s_and_saveexec_b32 s17, s16
	s_delay_alu instid0(SALU_CYCLE_1)
	s_xor_b32 s16, exec_lo, s17
	s_cbranch_execz .LBB27_11
; %bb.10:                               ;   in Loop: Header=BB27_9 Depth=1
	v_add_f32_e64 v0, |v6|, |v6|
	s_delay_alu instid0(VALU_DEP_1) | instskip(SKIP_1) | instid1(VALU_DEP_2)
	v_mul_f32_e32 v1, 0x3fb8aa3b, v0
	v_cmp_ngt_f32_e32 vcc_lo, 0xc2ce8ed0, v0
	v_rndne_f32_e32 v2, v1
	v_fma_f32 v3, 0x3fb8aa3b, v0, -v1
	s_delay_alu instid0(VALU_DEP_2) | instskip(NEXT) | instid1(VALU_DEP_2)
	v_sub_f32_e32 v1, v1, v2
	v_fmac_f32_e32 v3, 0x32a5705f, v0
	v_cvt_i32_f32_e32 v2, v2
	s_delay_alu instid0(VALU_DEP_2) | instskip(NEXT) | instid1(VALU_DEP_1)
	v_add_f32_e32 v1, v1, v3
	v_exp_f32_e32 v1, v1
	s_waitcnt_depctr 0xfff
	v_ldexp_f32 v1, v1, v2
	s_delay_alu instid0(VALU_DEP_1) | instskip(SKIP_1) | instid1(VALU_DEP_2)
	v_cndmask_b32_e32 v1, 0, v1, vcc_lo
	v_cmp_nlt_f32_e32 vcc_lo, 0x42b17218, v0
	v_cndmask_b32_e32 v0, 0x7f800000, v1, vcc_lo
	s_delay_alu instid0(VALU_DEP_1) | instskip(NEXT) | instid1(VALU_DEP_1)
	v_add_f32_e32 v0, 1.0, v0
	v_rcp_f32_e32 v0, v0
	s_waitcnt_depctr 0xfff
	v_fma_f32 v8, v0, -2.0, 1.0
.LBB27_11:                              ;   in Loop: Header=BB27_9 Depth=1
	s_and_not1_saveexec_b32 s16, s16
; %bb.12:                               ;   in Loop: Header=BB27_9 Depth=1
	v_mul_f32_e32 v0, v6, v6
	s_delay_alu instid0(VALU_DEP_1) | instskip(NEXT) | instid1(VALU_DEP_1)
	v_fmaak_f32 v1, s11, v0, 0x3ca908c9
	v_fmaak_f32 v1, v0, v1, 0xbd5c1c4e
	s_delay_alu instid0(VALU_DEP_1) | instskip(NEXT) | instid1(VALU_DEP_1)
	v_fmaak_f32 v1, v0, v1, 0x3e088382
	v_fmaak_f32 v1, v0, v1, 0xbeaaaa99
	s_delay_alu instid0(VALU_DEP_1) | instskip(NEXT) | instid1(VALU_DEP_1)
	v_mul_f32_e64 v1, |v6|, v1
	v_fma_f32 v8, v0, v1, |v6|
; %bb.13:                               ;   in Loop: Header=BB27_9 Depth=1
	s_or_b32 exec_lo, exec_lo, s16
	v_add_nc_u32_e32 v0, s3, v194
	v_cmp_ngt_f32_e64 s16, 0x3f200000, |v7|
                                        ; implicit-def: $vgpr9
	s_delay_alu instid0(VALU_DEP_2) | instskip(NEXT) | instid1(VALU_DEP_1)
	v_ashrrev_i32_e32 v1, 31, v0
	v_lshlrev_b64 v[0:1], 1, v[0:1]
	s_delay_alu instid0(VALU_DEP_1) | instskip(NEXT) | instid1(VALU_DEP_2)
	v_add_co_u32 v0, vcc_lo, s34, v0
	v_add_co_ci_u32_e32 v1, vcc_lo, s35, v1, vcc_lo
	flat_load_u16 v2, v[0:1]
	s_and_saveexec_b32 s17, s16
	s_delay_alu instid0(SALU_CYCLE_1)
	s_xor_b32 s16, exec_lo, s17
	s_cbranch_execz .LBB27_15
; %bb.14:                               ;   in Loop: Header=BB27_9 Depth=1
	v_add_f32_e64 v3, |v7|, |v7|
	s_delay_alu instid0(VALU_DEP_1) | instskip(SKIP_1) | instid1(VALU_DEP_2)
	v_mul_f32_e32 v9, 0x3fb8aa3b, v3
	v_cmp_ngt_f32_e32 vcc_lo, 0xc2ce8ed0, v3
	v_rndne_f32_e32 v10, v9
	v_fma_f32 v11, 0x3fb8aa3b, v3, -v9
	s_delay_alu instid0(VALU_DEP_2) | instskip(NEXT) | instid1(VALU_DEP_2)
	v_sub_f32_e32 v9, v9, v10
	v_fmac_f32_e32 v11, 0x32a5705f, v3
	v_cvt_i32_f32_e32 v10, v10
	s_delay_alu instid0(VALU_DEP_2) | instskip(NEXT) | instid1(VALU_DEP_1)
	v_add_f32_e32 v9, v9, v11
	v_exp_f32_e32 v9, v9
	s_waitcnt_depctr 0xfff
	v_ldexp_f32 v9, v9, v10
	s_delay_alu instid0(VALU_DEP_1) | instskip(SKIP_1) | instid1(VALU_DEP_2)
	v_cndmask_b32_e32 v9, 0, v9, vcc_lo
	v_cmp_nlt_f32_e32 vcc_lo, 0x42b17218, v3
	v_cndmask_b32_e32 v3, 0x7f800000, v9, vcc_lo
	s_delay_alu instid0(VALU_DEP_1) | instskip(NEXT) | instid1(VALU_DEP_1)
	v_add_f32_e32 v3, 1.0, v3
	v_rcp_f32_e32 v3, v3
	s_waitcnt_depctr 0xfff
	v_fma_f32 v9, v3, -2.0, 1.0
.LBB27_15:                              ;   in Loop: Header=BB27_9 Depth=1
	s_and_not1_saveexec_b32 s16, s16
; %bb.16:                               ;   in Loop: Header=BB27_9 Depth=1
	v_mul_f32_e32 v3, v7, v7
	s_delay_alu instid0(VALU_DEP_1) | instskip(NEXT) | instid1(VALU_DEP_1)
	v_fmaak_f32 v9, s11, v3, 0x3ca908c9
	v_fmaak_f32 v9, v3, v9, 0xbd5c1c4e
	s_delay_alu instid0(VALU_DEP_1) | instskip(NEXT) | instid1(VALU_DEP_1)
	v_fmaak_f32 v9, v3, v9, 0x3e088382
	v_fmaak_f32 v9, v3, v9, 0xbeaaaa99
	s_delay_alu instid0(VALU_DEP_1) | instskip(NEXT) | instid1(VALU_DEP_1)
	v_mul_f32_e64 v9, |v7|, v9
	v_fma_f32 v9, v3, v9, |v7|
; %bb.17:                               ;   in Loop: Header=BB27_9 Depth=1
	s_or_b32 exec_lo, exec_lo, s16
	flat_load_u16 v3, v[0:1] offset:64
	v_bfi_b32 v0, 0x7fffffff, v8, v6
	v_bfi_b32 v1, 0x7fffffff, v9, v7
	v_xor_b32_e32 v222, 16, v203
	v_xor_b32_e32 v218, 8, v203
	;; [unrolled: 1-line block ×3, first 2 shown]
	s_waitcnt vmcnt(1) lgkmcnt(1)
	v_fma_mix_f32 v0, v0, s8, v2 op_sel_hi:[0,0,1]
	v_xor_b32_e32 v220, 2, v203
	v_cmp_gt_i32_e32 vcc_lo, 32, v222
	v_xor_b32_e32 v221, 1, v203
	v_cmp_ngt_f32_e64 s16, 0x3f200000, |v4|
	v_dual_add_f32 v7, 0x40051340, v0 :: v_dual_cndmask_b32 v6, v203, v222
	v_cmp_gt_i32_e32 vcc_lo, 32, v218
	s_delay_alu instid0(VALU_DEP_2) | instskip(SKIP_4) | instid1(VALU_DEP_1)
	v_lshlrev_b32_e32 v6, 2, v6
	v_cndmask_b32_e32 v9, v203, v218, vcc_lo
	v_cmp_gt_i32_e32 vcc_lo, 32, v219
	s_waitcnt vmcnt(0) lgkmcnt(0)
	v_fma_mix_f32 v1, v1, s8, v3 op_sel_hi:[0,0,1]
	v_add_f32_e32 v8, 0x40051340, v1
	s_delay_alu instid0(VALU_DEP_1) | instskip(SKIP_3) | instid1(VALU_DEP_1)
	v_max3_f32 v8, v160, v7, v8
	ds_bpermute_b32 v7, v6, v8
	s_waitcnt lgkmcnt(0)
	v_dual_max_f32 v10, v7, v7 :: v_dual_lshlrev_b32 v7, 2, v9
	v_dual_max_f32 v9, v8, v10 :: v_dual_cndmask_b32 v10, v203, v219
	v_cmp_gt_i32_e32 vcc_lo, 32, v220
	ds_bpermute_b32 v8, v7, v9
	s_waitcnt lgkmcnt(0)
	v_dual_max_f32 v11, v8, v8 :: v_dual_lshlrev_b32 v8, 2, v10
	s_delay_alu instid0(VALU_DEP_1) | instskip(SKIP_4) | instid1(VALU_DEP_1)
	v_dual_max_f32 v10, v9, v11 :: v_dual_cndmask_b32 v11, v203, v220
	v_cmp_gt_i32_e32 vcc_lo, 32, v221
	ds_bpermute_b32 v9, v8, v10
	s_waitcnt lgkmcnt(0)
	v_dual_max_f32 v12, v9, v9 :: v_dual_lshlrev_b32 v9, 2, v11
	v_max_f32_e32 v10, v10, v12
	v_cndmask_b32_e32 v12, v203, v221, vcc_lo
	ds_bpermute_b32 v11, v9, v10
	s_waitcnt lgkmcnt(0)
	v_max_f32_e32 v13, v11, v11
	s_delay_alu instid0(VALU_DEP_1) | instskip(SKIP_2) | instid1(SALU_CYCLE_1)
	v_dual_max_f32 v10, v10, v13 :: v_dual_lshlrev_b32 v11, 2, v12
                                        ; implicit-def: $vgpr13
	ds_bpermute_b32 v12, v11, v10
	s_and_saveexec_b32 s17, s16
	s_xor_b32 s16, exec_lo, s17
	s_cbranch_execz .LBB27_19
; %bb.18:                               ;   in Loop: Header=BB27_9 Depth=1
	v_add_f32_e64 v13, |v4|, |v4|
	s_delay_alu instid0(VALU_DEP_1) | instskip(SKIP_1) | instid1(VALU_DEP_2)
	v_mul_f32_e32 v14, 0x3fb8aa3b, v13
	v_cmp_ngt_f32_e32 vcc_lo, 0xc2ce8ed0, v13
	v_rndne_f32_e32 v15, v14
	v_fma_f32 v16, 0x3fb8aa3b, v13, -v14
	s_delay_alu instid0(VALU_DEP_2) | instskip(NEXT) | instid1(VALU_DEP_2)
	v_sub_f32_e32 v14, v14, v15
	v_fmac_f32_e32 v16, 0x32a5705f, v13
	v_cvt_i32_f32_e32 v15, v15
	s_delay_alu instid0(VALU_DEP_2) | instskip(NEXT) | instid1(VALU_DEP_1)
	v_add_f32_e32 v14, v14, v16
	v_exp_f32_e32 v14, v14
	s_waitcnt_depctr 0xfff
	v_ldexp_f32 v14, v14, v15
	s_delay_alu instid0(VALU_DEP_1) | instskip(SKIP_1) | instid1(VALU_DEP_2)
	v_cndmask_b32_e32 v14, 0, v14, vcc_lo
	v_cmp_nlt_f32_e32 vcc_lo, 0x42b17218, v13
	v_cndmask_b32_e32 v13, 0x7f800000, v14, vcc_lo
	s_delay_alu instid0(VALU_DEP_1) | instskip(NEXT) | instid1(VALU_DEP_1)
	v_add_f32_e32 v13, 1.0, v13
	v_rcp_f32_e32 v13, v13
	s_waitcnt_depctr 0xfff
	v_fma_f32 v13, v13, -2.0, 1.0
.LBB27_19:                              ;   in Loop: Header=BB27_9 Depth=1
	s_and_not1_saveexec_b32 s16, s16
; %bb.20:                               ;   in Loop: Header=BB27_9 Depth=1
	v_mul_f32_e32 v13, v4, v4
	s_delay_alu instid0(VALU_DEP_1) | instskip(NEXT) | instid1(VALU_DEP_1)
	v_fmaak_f32 v14, s11, v13, 0x3ca908c9
	v_fmaak_f32 v14, v13, v14, 0xbd5c1c4e
	s_delay_alu instid0(VALU_DEP_1) | instskip(NEXT) | instid1(VALU_DEP_1)
	v_fmaak_f32 v14, v13, v14, 0x3e088382
	v_fmaak_f32 v14, v13, v14, 0xbeaaaa99
	s_delay_alu instid0(VALU_DEP_1) | instskip(NEXT) | instid1(VALU_DEP_1)
	v_mul_f32_e64 v14, |v4|, v14
	v_fma_f32 v13, v13, v14, |v4|
; %bb.21:                               ;   in Loop: Header=BB27_9 Depth=1
	s_or_b32 exec_lo, exec_lo, s16
	v_cmp_ngt_f32_e64 s16, 0x3f200000, |v5|
                                        ; implicit-def: $vgpr14
	s_delay_alu instid0(VALU_DEP_1) | instskip(NEXT) | instid1(SALU_CYCLE_1)
	s_and_saveexec_b32 s17, s16
	s_xor_b32 s16, exec_lo, s17
	s_cbranch_execz .LBB27_23
; %bb.22:                               ;   in Loop: Header=BB27_9 Depth=1
	v_add_f32_e64 v14, |v5|, |v5|
	s_delay_alu instid0(VALU_DEP_1) | instskip(SKIP_1) | instid1(VALU_DEP_2)
	v_mul_f32_e32 v15, 0x3fb8aa3b, v14
	v_cmp_ngt_f32_e32 vcc_lo, 0xc2ce8ed0, v14
	v_rndne_f32_e32 v16, v15
	v_fma_f32 v17, 0x3fb8aa3b, v14, -v15
	s_delay_alu instid0(VALU_DEP_2) | instskip(NEXT) | instid1(VALU_DEP_2)
	v_sub_f32_e32 v15, v15, v16
	v_fmac_f32_e32 v17, 0x32a5705f, v14
	v_cvt_i32_f32_e32 v16, v16
	s_delay_alu instid0(VALU_DEP_2) | instskip(NEXT) | instid1(VALU_DEP_1)
	v_add_f32_e32 v15, v15, v17
	v_exp_f32_e32 v15, v15
	s_waitcnt_depctr 0xfff
	v_ldexp_f32 v15, v15, v16
	s_delay_alu instid0(VALU_DEP_1) | instskip(SKIP_1) | instid1(VALU_DEP_2)
	v_cndmask_b32_e32 v15, 0, v15, vcc_lo
	v_cmp_nlt_f32_e32 vcc_lo, 0x42b17218, v14
	v_cndmask_b32_e32 v14, 0x7f800000, v15, vcc_lo
	s_delay_alu instid0(VALU_DEP_1) | instskip(NEXT) | instid1(VALU_DEP_1)
	v_add_f32_e32 v14, 1.0, v14
	v_rcp_f32_e32 v14, v14
	s_waitcnt_depctr 0xfff
	v_fma_f32 v14, v14, -2.0, 1.0
.LBB27_23:                              ;   in Loop: Header=BB27_9 Depth=1
	s_and_not1_saveexec_b32 s16, s16
; %bb.24:                               ;   in Loop: Header=BB27_9 Depth=1
	v_mul_f32_e32 v14, v5, v5
	s_delay_alu instid0(VALU_DEP_1) | instskip(NEXT) | instid1(VALU_DEP_1)
	v_fmaak_f32 v15, s11, v14, 0x3ca908c9
	v_fmaak_f32 v15, v14, v15, 0xbd5c1c4e
	s_delay_alu instid0(VALU_DEP_1) | instskip(NEXT) | instid1(VALU_DEP_1)
	v_fmaak_f32 v15, v14, v15, 0x3e088382
	v_fmaak_f32 v15, v14, v15, 0xbeaaaa99
	s_delay_alu instid0(VALU_DEP_1) | instskip(NEXT) | instid1(VALU_DEP_1)
	v_mul_f32_e64 v15, |v5|, v15
	v_fma_f32 v14, v14, v15, |v5|
; %bb.25:                               ;   in Loop: Header=BB27_9 Depth=1
	s_or_b32 exec_lo, exec_lo, s16
	s_mul_hi_i32 s17, s3, s10
	s_mul_i32 s16, s3, s10
	s_waitcnt lgkmcnt(0)
	s_lshl_b64 s[16:17], s[16:17], 2
	s_barrier
	v_add_co_u32 v19, vcc_lo, v213, s16
	v_add_co_ci_u32_e32 v20, vcc_lo, s17, v214, vcc_lo
	buffer_gl0_inv
	v_cvt_f32_f16_e32 v2, v2
	s_clause 0x1
	global_load_b128 v[15:18], v[19:20], off
	global_load_b128 v[19:22], v[19:20], off offset:512
	v_cvt_f32_f16_e32 v3, v3
	v_bfi_b32 v4, 0x7fffffff, v13, v4
	v_bfi_b32 v5, 0x7fffffff, v14, v5
	s_or_b32 s16, s3, 8
	v_add_nc_u32_e32 v223, 0x800, v212
	s_mul_hi_i32 s17, s16, s10
	s_delay_alu instid0(VALU_DEP_2) | instskip(SKIP_1) | instid1(SALU_CYCLE_1)
	v_dual_fmac_f32 v2, s8, v4 :: v_dual_fmac_f32 v3, s8, v5
	s_mul_i32 s16, s16, s10
	s_lshl_b64 s[16:17], s[16:17], 2
	s_delay_alu instid0(VALU_DEP_1) | instskip(NEXT) | instid1(VALU_DEP_1)
	v_dual_add_f32 v4, 0x40051340, v2 :: v_dual_add_f32 v5, 0x40051340, v3
	v_max3_f32 v4, v161, v4, v5
	ds_bpermute_b32 v5, v6, v4
	s_waitcnt lgkmcnt(0)
	v_dual_max_f32 v6, v12, v12 :: v_dual_max_f32 v5, v5, v5
	s_delay_alu instid0(VALU_DEP_1) | instskip(SKIP_2) | instid1(VALU_DEP_1)
	v_max_f32_e32 v4, v4, v5
	ds_bpermute_b32 v5, v7, v4
	v_max_f32_e32 v7, v10, v10
	v_max_f32_e32 v199, v7, v6
	s_delay_alu instid0(VALU_DEP_1) | instskip(SKIP_1) | instid1(VALU_DEP_1)
	v_sub_f32_e32 v0, v0, v199
	v_sub_f32_e32 v1, v1, v199
	v_mul_f32_e32 v6, 0x3fb8aa3b, v1
	v_dual_sub_f32 v160, v160, v199 :: v_dual_add_nc_u32 v225, 0x1800, v212
	s_waitcnt lgkmcnt(0)
	v_max_f32_e32 v5, v5, v5
	v_cmp_ngt_f32_e32 vcc_lo, 0xc2ce8ed0, v1
	s_delay_alu instid0(VALU_DEP_3) | instskip(NEXT) | instid1(VALU_DEP_3)
	v_mul_f32_e32 v170, 0x3fb8aa3b, v160
	v_max_f32_e32 v4, v4, v5
	s_delay_alu instid0(VALU_DEP_2) | instskip(SKIP_4) | instid1(VALU_DEP_3)
	v_fma_f32 v171, 0x3fb8aa3b, v160, -v170
	ds_bpermute_b32 v5, v8, v4
	v_mul_f32_e32 v8, 0x3fb8aa3b, v0
	v_rndne_f32_e32 v172, v170
	v_fmac_f32_e32 v171, 0x32a5705f, v160
	v_rndne_f32_e32 v10, v8
	s_delay_alu instid0(VALU_DEP_3) | instskip(SKIP_1) | instid1(VALU_DEP_2)
	v_dual_sub_f32 v170, v170, v172 :: v_dual_add_nc_u32 v7, v209, v201
	v_cvt_i32_f32_e32 v172, v172
	v_add_f32_e32 v170, v170, v171
	s_delay_alu instid0(VALU_DEP_1) | instskip(SKIP_2) | instid1(VALU_DEP_1)
	v_exp_f32_e32 v170, v170
	s_waitcnt lgkmcnt(0)
	v_max_f32_e32 v5, v5, v5
	v_max_f32_e32 v4, v4, v5
	s_waitcnt_depctr 0xfff
	v_ldexp_f32 v170, v170, v172
	ds_bpermute_b32 v5, v9, v4
	v_fma_f32 v9, 0x3fb8aa3b, v0, -v8
	v_sub_f32_e32 v8, v8, v10
	v_cvt_i32_f32_e32 v10, v10
	s_delay_alu instid0(VALU_DEP_3) | instskip(SKIP_2) | instid1(VALU_DEP_1)
	v_fmac_f32_e32 v9, 0x32a5705f, v0
	s_waitcnt lgkmcnt(0)
	v_max_f32_e32 v5, v5, v5
	v_max_f32_e32 v4, v4, v5
	ds_bpermute_b32 v5, v11, v4
	s_waitcnt lgkmcnt(0)
	v_max_f32_e32 v5, v5, v5
	s_delay_alu instid0(VALU_DEP_1) | instskip(SKIP_2) | instid1(VALU_DEP_3)
	v_max_f32_e32 v200, v4, v5
	v_fma_f32 v4, 0x3fb8aa3b, v1, -v6
	v_rndne_f32_e32 v5, v6
	v_sub_f32_e32 v2, v2, v200
	s_delay_alu instid0(VALU_DEP_3) | instskip(NEXT) | instid1(VALU_DEP_2)
	v_fmac_f32_e32 v4, 0x32a5705f, v1
	v_mul_f32_e32 v11, 0x3fb8aa3b, v2
	v_sub_f32_e32 v3, v3, v200
	v_sub_f32_e32 v161, v161, v200
	s_delay_alu instid0(VALU_DEP_3) | instskip(NEXT) | instid1(VALU_DEP_2)
	v_rndne_f32_e32 v13, v11
	v_dual_mul_f32 v12, 0x3fb8aa3b, v3 :: v_dual_mul_f32 v173, 0x3fb8aa3b, v161
	s_delay_alu instid0(VALU_DEP_1)
	v_rndne_f32_e32 v23, v12
	v_sub_f32_e32 v6, v6, v5
	v_fma_f32 v14, 0x3fb8aa3b, v3, -v12
	v_cvt_i32_f32_e32 v5, v5
	v_fma_f32 v174, 0x3fb8aa3b, v161, -v173
	v_rndne_f32_e32 v175, v173
	v_add_f32_e32 v4, v6, v4
	v_fmac_f32_e32 v14, 0x32a5705f, v3
	v_add_f32_e32 v8, v8, v9
	v_sub_f32_e32 v9, v11, v13
	v_fma_f32 v6, 0x3fb8aa3b, v2, -v11
	v_exp_f32_e32 v4, v4
	v_dual_sub_f32 v11, v12, v23 :: v_dual_add_nc_u32 v224, 0x1000, v212
	v_dual_sub_f32 v171, v173, v175 :: v_dual_fmac_f32 v174, 0x32a5705f, v161
	v_cvt_i32_f32_e32 v172, v175
	s_delay_alu instid0(VALU_DEP_2) | instskip(SKIP_3) | instid1(VALU_DEP_1)
	v_add_f32_e32 v171, v171, v174
	s_waitcnt_depctr 0xfff
	v_ldexp_f32 v4, v4, v5
	v_exp_f32_e32 v171, v171
	v_cndmask_b32_e32 v4, 0, v4, vcc_lo
	v_cmp_ngt_f32_e32 vcc_lo, 0xc2ce8ed0, v0
	v_fmac_f32_e32 v6, 0x32a5705f, v2
	s_delay_alu instid0(VALU_DEP_1) | instskip(SKIP_2) | instid1(TRANS32_DEP_2)
	v_add_f32_e32 v6, v9, v6
	v_add_f32_e32 v9, v11, v14
	v_exp_f32_e32 v8, v8
	v_ldexp_f32 v171, v171, v172
	s_delay_alu instid0(VALU_DEP_3) | instskip(NEXT) | instid1(VALU_DEP_2)
	v_exp_f32_e32 v6, v6
	v_exp_f32_e32 v9, v9
	s_delay_alu instid0(TRANS32_DEP_3) | instskip(SKIP_2) | instid1(VALU_DEP_3)
	v_ldexp_f32 v5, v8, v10
	v_cvt_i32_f32_e32 v8, v13
	v_cvt_i32_f32_e32 v10, v23
	v_cndmask_b32_e32 v5, 0, v5, vcc_lo
	v_cmp_nlt_f32_e32 vcc_lo, 0x42b17218, v1
	s_delay_alu instid0(TRANS32_DEP_2) | instid1(VALU_DEP_4)
	v_ldexp_f32 v6, v6, v8
	s_delay_alu instid0(TRANS32_DEP_1) | instid1(VALU_DEP_4)
	v_ldexp_f32 v8, v9, v10
	v_cndmask_b32_e32 v228, 0x7f800000, v4, vcc_lo
	v_cmp_ngt_f32_e32 vcc_lo, 0xc2ce8ed0, v2
	s_delay_alu instid0(VALU_DEP_4)
	v_cndmask_b32_e32 v1, 0, v6, vcc_lo
	v_cmp_ngt_f32_e32 vcc_lo, 0xc2ce8ed0, v3
	v_cndmask_b32_e32 v4, 0, v8, vcc_lo
	v_cmp_nlt_f32_e32 vcc_lo, 0x42b17218, v0
	v_cvt_f16_f32_e64 v0, v228
	v_cndmask_b32_e32 v229, 0x7f800000, v5, vcc_lo
	v_cmp_nlt_f32_e32 vcc_lo, 0x42b17218, v2
	v_cndmask_b32_e32 v226, 0x7f800000, v1, vcc_lo
	v_cmp_nlt_f32_e32 vcc_lo, 0x42b17218, v3
	s_delay_alu instid0(VALU_DEP_4) | instskip(NEXT) | instid1(VALU_DEP_3)
	v_cvt_f16_f32_e64 v1, v229
	v_cvt_f16_f32_e64 v2, v226
	v_cndmask_b32_e32 v227, 0x7f800000, v4, vcc_lo
	v_add_co_u32 v32, vcc_lo, v213, s16
	v_add_co_ci_u32_e32 v33, vcc_lo, s17, v214, vcc_lo
	s_delay_alu instid0(VALU_DEP_3) | instskip(SKIP_2) | instid1(SALU_CYCLE_1)
	v_cvt_f16_f32_e64 v3, v227
	v_pack_b32_f16 v1, v1, v2
	s_or_b32 s16, s3, 16
	s_mul_hi_i32 s17, s16, s10
	s_delay_alu instid0(VALU_DEP_2)
	v_pack_b32_f16 v0, v0, v3
	s_mul_i32 s16, s16, s10
	ds_store_2addr_b32 v7, v1, v0 offset1:32
	s_waitcnt vmcnt(1)
	ds_store_b128 v210, v[15:18]
	s_waitcnt vmcnt(0)
	ds_store_b128 v211, v[19:22]
	s_waitcnt lgkmcnt(0)
	s_barrier
	buffer_gl0_inv
	ds_load_2addr_b64 v[88:91], v212 offset1:32
	ds_load_2addr_b64 v[92:95], v212 offset0:64 offset1:96
	ds_load_b128 v[52:55], v209
	ds_load_b128 v[0:3], v209 offset:16
	ds_load_2addr_b64 v[80:83], v212 offset0:128 offset1:160
	ds_load_2addr_b64 v[84:87], v212 offset0:192 offset1:224
	ds_load_2addr_b64 v[72:75], v223 offset1:32
	ds_load_2addr_b64 v[76:79], v223 offset0:64 offset1:96
	ds_load_2addr_b64 v[60:63], v223 offset0:128 offset1:160
	ds_load_2addr_b64 v[68:71], v223 offset0:192 offset1:224
	ds_load_2addr_b64 v[36:39], v224 offset1:32
	ds_load_2addr_b64 v[44:47], v224 offset0:64 offset1:96
	;; [unrolled: 4-line block ×3, first 2 shown]
	ds_load_2addr_b64 v[8:11], v225 offset0:128 offset1:160
	ds_load_2addr_b64 v[4:7], v225 offset0:192 offset1:224
	s_waitcnt lgkmcnt(0)
	s_barrier
	buffer_gl0_inv
	s_clause 0x1
	global_load_b128 v[24:27], v[32:33], off
	global_load_b128 v[32:35], v[32:33], off offset:512
	s_lshl_b64 s[16:17], s[16:17], 2
	s_waitcnt vmcnt(1)
	ds_store_b128 v210, v[24:27]
	s_waitcnt vmcnt(0)
	ds_store_b128 v211, v[32:35]
	v_add_co_u32 v166, vcc_lo, v213, s16
	v_add_co_ci_u32_e32 v167, vcc_lo, s17, v214, vcc_lo
	s_waitcnt lgkmcnt(0)
	s_barrier
	buffer_gl0_inv
	ds_load_2addr_b64 v[140:143], v212 offset1:32
	ds_load_2addr_b64 v[136:139], v212 offset0:64 offset1:96
	ds_load_b128 v[104:107], v209 offset:32
	ds_load_b128 v[24:27], v209 offset:48
	ds_load_2addr_b64 v[132:135], v212 offset0:128 offset1:160
	ds_load_2addr_b64 v[128:131], v212 offset0:192 offset1:224
	ds_load_2addr_b64 v[124:127], v223 offset1:32
	ds_load_2addr_b64 v[120:123], v223 offset0:64 offset1:96
	ds_load_2addr_b64 v[116:119], v223 offset0:128 offset1:160
	ds_load_2addr_b64 v[112:115], v223 offset0:192 offset1:224
	ds_load_2addr_b64 v[108:111], v224 offset1:32
	ds_load_2addr_b64 v[100:103], v224 offset0:64 offset1:96
	ds_load_2addr_b64 v[96:99], v224 offset0:128 offset1:160
	ds_load_2addr_b64 v[64:67], v224 offset0:192 offset1:224
	ds_load_2addr_b64 v[56:59], v225 offset1:32
	ds_load_2addr_b64 v[48:51], v225 offset0:64 offset1:96
	ds_load_2addr_b64 v[40:43], v225 offset0:128 offset1:160
	ds_load_2addr_b64 v[32:35], v225 offset0:192 offset1:224
	s_waitcnt lgkmcnt(0)
	s_barrier
	buffer_gl0_inv
	s_clause 0x1
	global_load_b128 v[162:165], v[166:167], off
	global_load_b128 v[166:169], v[166:167], off offset:512
	v_cmp_ngt_f32_e32 vcc_lo, 0xc2ce8ed0, v160
	s_or_b32 s16, s3, 24
	s_waitcnt vmcnt(1)
	ds_store_b128 v210, v[162:165]
	s_waitcnt vmcnt(0)
	ds_store_b128 v211, v[166:169]
	v_cndmask_b32_e32 v170, 0, v170, vcc_lo
	v_cmp_nlt_f32_e32 vcc_lo, 0x42b17218, v160
	s_mul_hi_i32 s17, s16, s10
	s_mul_i32 s16, s16, s10
	s_waitcnt lgkmcnt(0)
	s_lshl_b64 s[16:17], s[16:17], 2
	v_cndmask_b32_e32 v231, 0x7f800000, v170, vcc_lo
	v_cmp_ngt_f32_e32 vcc_lo, 0xc2ce8ed0, v161
	s_barrier
	buffer_gl0_inv
	v_cvt_f16_f32_e64 v170, v231
	v_cndmask_b32_e32 v160, 0, v171, vcc_lo
	v_cmp_nlt_f32_e32 vcc_lo, 0x42b17218, v161
	s_delay_alu instid0(VALU_DEP_3) | instskip(SKIP_1) | instid1(VALU_DEP_4)
	v_pk_mul_f16 v154, v170, v154 op_sel_hi:[0,1]
	v_pk_mul_f16 v156, v170, v156 op_sel_hi:[0,1]
	v_cndmask_b32_e32 v230, 0x7f800000, v160, vcc_lo
	v_pk_mul_f16 v152, v170, v152 op_sel_hi:[0,1]
	v_pk_mul_f16 v153, v170, v153 op_sel_hi:[0,1]
	;; [unrolled: 1-line block ×4, first 2 shown]
	v_cvt_f16_f32_e64 v160, v230
	v_pk_fma_f16 v154, v92, v52, v154 op_sel_hi:[1,0,1]
	v_add_co_u32 v172, vcc_lo, v213, s16
	v_add_co_ci_u32_e32 v173, vcc_lo, s17, v214, vcc_lo
	s_delay_alu instid0(VALU_DEP_4)
	v_pk_mul_f16 v146, v160, v146 op_sel_hi:[0,1]
	v_pk_mul_f16 v147, v160, v147 op_sel_hi:[0,1]
	;; [unrolled: 1-line block ×7, first 2 shown]
	v_pk_fma_f16 v92, v92, v52, v146 op_sel:[0,1,0]
	v_pk_fma_f16 v146, v93, v52, v156 op_sel_hi:[1,0,1]
	v_pk_fma_f16 v93, v93, v52, v147 op_sel:[0,1,0]
	v_pk_fma_f16 v147, v94, v52, v152 op_sel_hi:[1,0,1]
	;; [unrolled: 2-line block ×3, first 2 shown]
	v_pk_fma_f16 v95, v95, v52, v144 op_sel:[0,1,0]
	v_pk_mul_f16 v144, v88, v52 op_sel_hi:[1,0]
	v_pk_mul_f16 v88, v88, v52 op_sel:[0,1]
	v_pk_fma_f16 v151, v89, v52, v151 op_sel:[0,1,0]
	v_pk_fma_f16 v152, v90, v52, v158 op_sel_hi:[1,0,1]
	v_pk_fma_f16 v90, v90, v52, v148 op_sel:[0,1,0]
	v_pk_fma_f16 v148, v91, v52, v159 op_sel_hi:[1,0,1]
	v_pk_fma_f16 v91, v91, v52, v149 op_sel:[0,1,0]
	v_pk_mul_f16 v52, v89, v52 op_sel_hi:[1,0]
	v_pk_fma_f16 v89, v84, v53, v154 op_sel_hi:[1,0,1]
	v_pk_fma_f16 v84, v84, v53, v92 op_sel:[0,1,0]
	v_pk_fma_f16 v92, v85, v53, v146 op_sel_hi:[1,0,1]
	v_pk_fma_f16 v85, v85, v53, v93 op_sel:[0,1,0]
	;; [unrolled: 2-line block ×4, first 2 shown]
	v_pk_fma_f16 v88, v160, v150, v88 op_sel_hi:[0,1,1]
	v_pk_fma_f16 v95, v170, v155, v144 op_sel_hi:[0,1,1]
	;; [unrolled: 1-line block ×3, first 2 shown]
	v_pk_fma_f16 v144, v81, v53, v151 op_sel:[0,1,0]
	v_pk_fma_f16 v145, v82, v53, v152 op_sel_hi:[1,0,1]
	v_pk_fma_f16 v82, v82, v53, v90 op_sel:[0,1,0]
	v_pk_fma_f16 v90, v83, v53, v148 op_sel_hi:[1,0,1]
	;; [unrolled: 2-line block ×28, first 2 shown]
	v_pk_fma_f16 v189, v28, v1, v38 op_sel_hi:[1,0,1]
	v_pk_fma_f16 v190, v28, v1, v39 op_sel:[0,1,0]
	v_pk_fma_f16 v191, v29, v1, v44 op_sel_hi:[1,0,1]
	v_pk_fma_f16 v234, v29, v1, v45 op_sel:[0,1,0]
	;; [unrolled: 2-line block ×4, first 2 shown]
	ds_load_2addr_b64 v[184:187], v212 offset1:32
	ds_load_2addr_b64 v[176:179], v212 offset0:64 offset1:96
	ds_load_b128 v[80:83], v209 offset:64
	ds_load_b128 v[28:31], v209 offset:80
	ds_load_2addr_b64 v[168:171], v212 offset0:128 offset1:160
	ds_load_2addr_b64 v[160:163], v212 offset0:192 offset1:224
	ds_load_2addr_b64 v[152:155], v223 offset1:32
	ds_load_2addr_b64 v[144:147], v223 offset0:64 offset1:96
	ds_load_2addr_b64 v[92:95], v223 offset0:128 offset1:160
	ds_load_2addr_b64 v[88:91], v223 offset0:192 offset1:224
	ds_load_2addr_b64 v[84:87], v224 offset1:32
	ds_load_2addr_b64 v[76:79], v224 offset0:64 offset1:96
	;; [unrolled: 4-line block ×3, first 2 shown]
	ds_load_2addr_b64 v[44:47], v225 offset0:128 offset1:160
	ds_load_2addr_b64 v[36:39], v225 offset0:192 offset1:224
	s_waitcnt lgkmcnt(0)
	s_barrier
	buffer_gl0_inv
	s_clause 0x1
	global_load_b128 v[148:151], v[172:173], off
	global_load_b128 v[156:159], v[172:173], off offset:512
	v_pk_fma_f16 v164, v21, v1, v174 op_sel:[0,1,0]
	v_pk_fma_f16 v165, v22, v1, v175 op_sel_hi:[1,0,1]
	v_pk_fma_f16 v22, v22, v1, v180 op_sel:[0,1,0]
	v_pk_fma_f16 v166, v23, v1, v181 op_sel_hi:[1,0,1]
	;; [unrolled: 2-line block ×9, first 2 shown]
	v_pk_fma_f16 v23, v16, v2, v189 op_sel_hi:[1,0,1]
	v_pk_fma_f16 v16, v16, v2, v190 op_sel:[0,1,0]
	v_pk_fma_f16 v165, v18, v2, v235 op_sel_hi:[1,0,1]
	v_pk_fma_f16 v18, v18, v2, v236 op_sel:[0,1,0]
	;; [unrolled: 2-line block ×3, first 2 shown]
	v_pk_fma_f16 v1, v9, v3, v1 op_sel:[0,1,0]
	v_pk_fma_f16 v2, v10, v3, v21 op_sel_hi:[1,0,1]
	v_pk_fma_f16 v10, v10, v3, v14 op_sel:[0,1,0]
	v_pk_fma_f16 v13, v11, v3, v22 op_sel_hi:[1,0,1]
	;; [unrolled: 2-line block ×5, first 2 shown]
	v_pk_fma_f16 v14, v4, v3, v23 op_sel_hi:[1,0,1]
	v_pk_fma_f16 v4, v4, v3, v16 op_sel:[0,1,0]
	v_pk_fma_f16 v16, v6, v3, v165 op_sel_hi:[1,0,1]
	v_pk_fma_f16 v6, v6, v3, v18 op_sel:[0,1,0]
	v_pk_fma_f16 v9, v7, v3, v166 op_sel_hi:[1,0,1]
	v_pk_fma_f16 v3, v7, v3, v19 op_sel:[0,1,0]
	v_pk_fma_f16 v7, v140, v104, v17 op_sel_hi:[1,0,1]
	v_pk_fma_f16 v8, v140, v104, v8 op_sel:[0,1,0]
	v_pk_fma_f16 v0, v141, v104, v0 op_sel_hi:[1,0,1]
	v_pk_fma_f16 v1, v141, v104, v1 op_sel:[0,1,0]
	v_pk_fma_f16 v2, v142, v104, v2 op_sel_hi:[1,0,1]
	v_pk_fma_f16 v10, v142, v104, v10 op_sel:[0,1,0]
	v_pk_fma_f16 v12, v143, v104, v13 op_sel_hi:[1,0,1]
	v_pk_fma_f16 v11, v143, v104, v11 op_sel:[0,1,0]
	v_pk_fma_f16 v13, v136, v104, v14 op_sel_hi:[1,0,1]
	v_pk_fma_f16 v4, v136, v104, v4 op_sel:[0,1,0]
	v_pk_fma_f16 v14, v137, v104, v15 op_sel_hi:[1,0,1]
	v_pk_fma_f16 v5, v137, v104, v5 op_sel:[0,1,0]
	v_pk_fma_f16 v15, v138, v104, v16 op_sel_hi:[1,0,1]
	v_pk_fma_f16 v6, v138, v104, v6 op_sel:[0,1,0]
	v_pk_fma_f16 v9, v139, v104, v9 op_sel_hi:[1,0,1]
	v_pk_fma_f16 v3, v139, v104, v3 op_sel:[0,1,0]
	v_pk_fma_f16 v7, v132, v105, v7 op_sel_hi:[1,0,1]
	v_pk_fma_f16 v8, v132, v105, v8 op_sel:[0,1,0]
	v_pk_fma_f16 v0, v133, v105, v0 op_sel_hi:[1,0,1]
	v_pk_fma_f16 v1, v133, v105, v1 op_sel:[0,1,0]
	v_pk_fma_f16 v2, v134, v105, v2 op_sel_hi:[1,0,1]
	v_pk_fma_f16 v10, v134, v105, v10 op_sel:[0,1,0]
	v_pk_fma_f16 v12, v135, v105, v12 op_sel_hi:[1,0,1]
	v_pk_fma_f16 v11, v135, v105, v11 op_sel:[0,1,0]
	v_pk_fma_f16 v13, v128, v105, v13 op_sel_hi:[1,0,1]
	v_pk_fma_f16 v4, v128, v105, v4 op_sel:[0,1,0]
	v_pk_fma_f16 v14, v129, v105, v14 op_sel_hi:[1,0,1]
	v_pk_fma_f16 v5, v129, v105, v5 op_sel:[0,1,0]
	v_pk_fma_f16 v15, v130, v105, v15 op_sel_hi:[1,0,1]
	v_pk_fma_f16 v6, v130, v105, v6 op_sel:[0,1,0]
	v_pk_fma_f16 v9, v131, v105, v9 op_sel_hi:[1,0,1]
	v_pk_fma_f16 v3, v131, v105, v3 op_sel:[0,1,0]
	v_pk_fma_f16 v7, v124, v106, v7 op_sel_hi:[1,0,1]
	v_pk_fma_f16 v8, v124, v106, v8 op_sel:[0,1,0]
	v_pk_fma_f16 v0, v125, v106, v0 op_sel_hi:[1,0,1]
	v_pk_fma_f16 v1, v125, v106, v1 op_sel:[0,1,0]
	v_pk_fma_f16 v2, v126, v106, v2 op_sel_hi:[1,0,1]
	v_pk_fma_f16 v10, v126, v106, v10 op_sel:[0,1,0]
	v_pk_fma_f16 v12, v127, v106, v12 op_sel_hi:[1,0,1]
	v_pk_fma_f16 v11, v127, v106, v11 op_sel:[0,1,0]
	s_or_b32 s16, s3, 32
	v_pk_fma_f16 v13, v120, v106, v13 op_sel_hi:[1,0,1]
	s_mul_hi_i32 s17, s16, s10
	s_mul_i32 s16, s16, s10
	v_pk_fma_f16 v4, v120, v106, v4 op_sel:[0,1,0]
	v_pk_fma_f16 v14, v121, v106, v14 op_sel_hi:[1,0,1]
	v_pk_fma_f16 v5, v121, v106, v5 op_sel:[0,1,0]
	v_pk_fma_f16 v15, v122, v106, v15 op_sel_hi:[1,0,1]
	;; [unrolled: 2-line block ×7, first 2 shown]
	v_pk_fma_f16 v11, v119, v107, v11 op_sel:[0,1,0]
	s_lshl_b64 s[16:17], s[16:17], 2
	v_pk_fma_f16 v13, v112, v107, v13 op_sel_hi:[1,0,1]
	v_add_co_u32 v232, vcc_lo, v213, s16
	v_add_co_ci_u32_e32 v233, vcc_lo, s17, v214, vcc_lo
	v_pk_fma_f16 v4, v112, v107, v4 op_sel:[0,1,0]
	v_pk_fma_f16 v14, v113, v107, v14 op_sel_hi:[1,0,1]
	v_pk_fma_f16 v5, v113, v107, v5 op_sel:[0,1,0]
	v_pk_fma_f16 v15, v114, v107, v15 op_sel_hi:[1,0,1]
	;; [unrolled: 2-line block ×31, first 2 shown]
	s_waitcnt vmcnt(1)
	ds_store_b128 v210, v[148:151]
	s_waitcnt vmcnt(0)
	ds_store_b128 v211, v[156:159]
	s_waitcnt lgkmcnt(0)
	s_barrier
	buffer_gl0_inv
	ds_load_2addr_b64 v[188:191], v212 offset1:32
	ds_load_2addr_b64 v[180:183], v212 offset0:64 offset1:96
	ds_load_b128 v[128:131], v209 offset:96
	ds_load_b128 v[0:3], v209 offset:112
	ds_load_2addr_b64 v[172:175], v212 offset0:128 offset1:160
	ds_load_2addr_b64 v[164:167], v212 offset0:192 offset1:224
	ds_load_2addr_b64 v[156:159], v223 offset1:32
	ds_load_2addr_b64 v[148:151], v223 offset0:64 offset1:96
	ds_load_2addr_b64 v[140:143], v223 offset0:128 offset1:160
	ds_load_2addr_b64 v[136:139], v223 offset0:192 offset1:224
	ds_load_2addr_b64 v[132:135], v224 offset1:32
	ds_load_2addr_b64 v[124:127], v224 offset0:64 offset1:96
	;; [unrolled: 4-line block ×3, first 2 shown]
	ds_load_2addr_b64 v[8:11], v225 offset0:128 offset1:160
	ds_load_2addr_b64 v[4:7], v225 offset0:192 offset1:224
	s_waitcnt lgkmcnt(0)
	s_barrier
	buffer_gl0_inv
	s_clause 0x1
	global_load_b128 v[96:99], v[232:233], off
	global_load_b128 v[100:103], v[232:233], off offset:512
	v_pk_fma_f16 v43, v43, v27, v59 op_sel:[0,1,0]
	v_pk_fma_f16 v57, v32, v27, v104 op_sel_hi:[1,0,1]
	v_pk_fma_f16 v32, v32, v27, v48 op_sel:[0,1,0]
	v_pk_fma_f16 v48, v33, v27, v64 op_sel_hi:[1,0,1]
	;; [unrolled: 2-line block ×24, first 2 shown]
	v_pk_fma_f16 v43, v155, v82, v43 op_sel:[0,1,0]
	s_or_b32 s16, s3, 40
	v_pk_fma_f16 v51, v144, v82, v51 op_sel_hi:[1,0,1]
	s_mul_hi_i32 s17, s16, s10
	s_mul_i32 s16, s16, s10
	v_pk_fma_f16 v32, v144, v82, v32 op_sel:[0,1,0]
	v_pk_fma_f16 v48, v145, v82, v48 op_sel_hi:[1,0,1]
	v_pk_fma_f16 v33, v145, v82, v33 op_sel:[0,1,0]
	v_pk_fma_f16 v49, v146, v82, v49 op_sel_hi:[1,0,1]
	;; [unrolled: 2-line block ×7, first 2 shown]
	v_pk_fma_f16 v43, v95, v83, v43 op_sel:[0,1,0]
	s_lshl_b64 s[16:17], s[16:17], 2
	v_pk_fma_f16 v51, v88, v83, v51 op_sel_hi:[1,0,1]
	v_add_co_u32 v232, vcc_lo, v213, s16
	v_add_co_ci_u32_e32 v233, vcc_lo, s17, v214, vcc_lo
	v_pk_fma_f16 v32, v88, v83, v32 op_sel:[0,1,0]
	v_pk_fma_f16 v48, v89, v83, v48 op_sel_hi:[1,0,1]
	v_pk_fma_f16 v33, v89, v83, v33 op_sel:[0,1,0]
	v_pk_fma_f16 v49, v90, v83, v49 op_sel_hi:[1,0,1]
	;; [unrolled: 2-line block ×42, first 2 shown]
	v_pk_fma_f16 v38, v182, v128, v38 op_sel:[0,1,0]
	s_waitcnt vmcnt(1)
	ds_store_b128 v210, v[96:99]
	s_waitcnt vmcnt(0)
	ds_store_b128 v211, v[100:103]
	s_waitcnt lgkmcnt(0)
	s_barrier
	buffer_gl0_inv
	ds_load_2addr_b64 v[116:119], v212 offset1:32
	ds_load_2addr_b64 v[112:115], v212 offset0:64 offset1:96
	ds_load_b128 v[80:83], v209 offset:128
	ds_load_b128 v[24:27], v209 offset:144
	ds_load_2addr_b64 v[108:111], v212 offset0:128 offset1:160
	ds_load_2addr_b64 v[104:107], v212 offset0:192 offset1:224
	ds_load_2addr_b64 v[100:103], v223 offset1:32
	ds_load_2addr_b64 v[96:99], v223 offset0:64 offset1:96
	ds_load_2addr_b64 v[92:95], v223 offset0:128 offset1:160
	ds_load_2addr_b64 v[88:91], v223 offset0:192 offset1:224
	ds_load_2addr_b64 v[84:87], v224 offset1:32
	ds_load_2addr_b64 v[76:79], v224 offset0:64 offset1:96
	ds_load_2addr_b64 v[68:71], v224 offset0:128 offset1:160
	ds_load_2addr_b64 v[64:67], v224 offset0:192 offset1:224
	ds_load_2addr_b64 v[56:59], v225 offset1:32
	ds_load_2addr_b64 v[48:51], v225 offset0:64 offset1:96
	ds_load_2addr_b64 v[40:43], v225 offset0:128 offset1:160
	ds_load_2addr_b64 v[32:35], v225 offset0:192 offset1:224
	s_waitcnt lgkmcnt(0)
	s_barrier
	buffer_gl0_inv
	s_clause 0x1
	global_load_b128 v[144:147], v[232:233], off
	global_load_b128 v[152:155], v[232:233], off offset:512
	v_pk_fma_f16 v54, v183, v128, v54 op_sel_hi:[1,0,1]
	v_pk_fma_f16 v28, v183, v128, v28 op_sel:[0,1,0]
	v_pk_fma_f16 v29, v172, v129, v29 op_sel_hi:[1,0,1]
	v_pk_fma_f16 v30, v172, v129, v30 op_sel:[0,1,0]
	;; [unrolled: 2-line block ×13, first 2 shown]
	s_or_b32 s16, s3, 48
	v_pk_fma_f16 v55, v148, v130, v55 op_sel_hi:[1,0,1]
	s_mul_hi_i32 s17, s16, s10
	s_mul_i32 s16, s16, s10
	v_pk_fma_f16 v36, v148, v130, v36 op_sel:[0,1,0]
	v_pk_fma_f16 v52, v149, v130, v52 op_sel_hi:[1,0,1]
	v_pk_fma_f16 v37, v149, v130, v37 op_sel:[0,1,0]
	v_pk_fma_f16 v53, v150, v130, v53 op_sel_hi:[1,0,1]
	;; [unrolled: 2-line block ×7, first 2 shown]
	v_pk_fma_f16 v47, v143, v131, v47 op_sel:[0,1,0]
	s_lshl_b64 s[16:17], s[16:17], 2
	v_pk_fma_f16 v55, v136, v131, v55 op_sel_hi:[1,0,1]
	v_add_co_u32 v168, vcc_lo, v213, s16
	v_add_co_ci_u32_e32 v169, vcc_lo, s17, v214, vcc_lo
	v_pk_fma_f16 v36, v136, v131, v36 op_sel:[0,1,0]
	v_pk_fma_f16 v52, v137, v131, v52 op_sel_hi:[1,0,1]
	v_pk_fma_f16 v37, v137, v131, v37 op_sel:[0,1,0]
	v_pk_fma_f16 v53, v138, v131, v53 op_sel_hi:[1,0,1]
	;; [unrolled: 2-line block ×50, first 2 shown]
	s_waitcnt vmcnt(1)
	ds_store_b128 v210, v[144:147]
	s_waitcnt vmcnt(0)
	ds_store_b128 v211, v[152:155]
	s_waitcnt lgkmcnt(0)
	s_barrier
	buffer_gl0_inv
	ds_load_2addr_b64 v[164:167], v212 offset1:32
	ds_load_2addr_b64 v[160:163], v212 offset0:64 offset1:96
	ds_load_b128 v[128:131], v209 offset:160
	ds_load_b128 v[28:31], v209 offset:176
	ds_load_2addr_b64 v[156:159], v212 offset0:128 offset1:160
	ds_load_2addr_b64 v[152:155], v212 offset0:192 offset1:224
	ds_load_2addr_b64 v[148:151], v223 offset1:32
	ds_load_2addr_b64 v[144:147], v223 offset0:64 offset1:96
	ds_load_2addr_b64 v[140:143], v223 offset0:128 offset1:160
	ds_load_2addr_b64 v[136:139], v223 offset0:192 offset1:224
	ds_load_2addr_b64 v[132:135], v224 offset1:32
	ds_load_2addr_b64 v[124:127], v224 offset0:64 offset1:96
	;; [unrolled: 4-line block ×3, first 2 shown]
	ds_load_2addr_b64 v[44:47], v225 offset0:128 offset1:160
	ds_load_2addr_b64 v[36:39], v225 offset0:192 offset1:224
	s_waitcnt lgkmcnt(0)
	s_barrier
	buffer_gl0_inv
	s_clause 0x1
	global_load_b128 v[185:188], v[168:169], off
	global_load_b128 v[232:235], v[168:169], off offset:512
	v_add_f32_e32 v168, v229, v228
	v_pk_fma_f16 v6, v106, v81, v6 op_sel:[0,1,0]
	v_pk_fma_f16 v14, v107, v81, v14 op_sel_hi:[1,0,1]
	v_pk_fma_f16 v0, v107, v81, v0 op_sel:[0,1,0]
	s_or_b32 s16, s3, 56
	v_pk_fma_f16 v1, v100, v82, v1 op_sel_hi:[1,0,1]
	s_mul_hi_i32 s17, s16, s10
	s_mul_i32 s16, s16, s10
	v_pk_fma_f16 v2, v100, v82, v2 op_sel:[0,1,0]
	v_pk_fma_f16 v3, v101, v82, v3 op_sel_hi:[1,0,1]
	v_pk_fma_f16 v7, v101, v82, v7 op_sel:[0,1,0]
	v_pk_fma_f16 v8, v102, v82, v8 op_sel_hi:[1,0,1]
	;; [unrolled: 2-line block ×7, first 2 shown]
	v_pk_fma_f16 v0, v99, v82, v0 op_sel:[0,1,0]
	s_lshl_b64 s[16:17], s[16:17], 2
	v_pk_fma_f16 v1, v92, v83, v1 op_sel_hi:[1,0,1]
	v_add_co_u32 v189, vcc_lo, v213, s16
	v_add_co_ci_u32_e32 v190, vcc_lo, s17, v214, vcc_lo
	v_pk_fma_f16 v2, v92, v83, v2 op_sel:[0,1,0]
	v_pk_fma_f16 v3, v93, v83, v3 op_sel_hi:[1,0,1]
	v_pk_fma_f16 v7, v93, v83, v7 op_sel:[0,1,0]
	v_pk_fma_f16 v8, v94, v83, v8 op_sel_hi:[1,0,1]
	v_pk_fma_f16 v9, v94, v83, v9 op_sel:[0,1,0]
	v_pk_fma_f16 v10, v95, v83, v10 op_sel_hi:[1,0,1]
	v_pk_fma_f16 v11, v95, v83, v11 op_sel:[0,1,0]
	v_pk_fma_f16 v15, v88, v83, v15 op_sel_hi:[1,0,1]
	v_pk_fma_f16 v4, v88, v83, v4 op_sel:[0,1,0]
	v_pk_fma_f16 v12, v89, v83, v12 op_sel_hi:[1,0,1]
	v_pk_fma_f16 v5, v89, v83, v5 op_sel:[0,1,0]
	v_pk_fma_f16 v13, v90, v83, v13 op_sel_hi:[1,0,1]
	v_pk_fma_f16 v6, v90, v83, v6 op_sel:[0,1,0]
	v_pk_fma_f16 v14, v91, v83, v14 op_sel_hi:[1,0,1]
	v_pk_fma_f16 v0, v91, v83, v0 op_sel:[0,1,0]
	v_fmac_f32_e32 v168, v217, v231
	v_add_f32_e32 v169, v226, v227
	v_pk_fma_f16 v182, v84, v24, v1 op_sel_hi:[1,0,1]
	v_pk_fma_f16 v183, v84, v24, v2 op_sel:[0,1,0]
	v_pk_fma_f16 v184, v85, v24, v3 op_sel_hi:[1,0,1]
	v_pk_fma_f16 v191, v85, v24, v7 op_sel:[0,1,0]
	;; [unrolled: 2-line block ×11, first 2 shown]
	v_pk_fma_f16 v24, v67, v25, v24 op_sel:[0,1,0]
	v_fmac_f32_e32 v169, v216, v230
	s_waitcnt vmcnt(1)
	ds_store_b128 v210, v[185:188]
	s_waitcnt vmcnt(0)
	ds_store_b128 v211, v[232:235]
	s_waitcnt lgkmcnt(0)
	s_barrier
	buffer_gl0_inv
	ds_load_2addr_b64 v[4:7], v212 offset1:32
	ds_load_2addr_b64 v[8:11], v212 offset0:64 offset1:96
	ds_load_b128 v[12:15], v209 offset:192
	ds_load_b128 v[0:3], v209 offset:208
	ds_load_2addr_b64 v[16:19], v212 offset0:128 offset1:160
	ds_load_2addr_b64 v[20:23], v212 offset0:192 offset1:224
	ds_load_2addr_b64 v[76:79], v223 offset1:32
	ds_load_2addr_b64 v[80:83], v223 offset0:64 offset1:96
	ds_load_2addr_b64 v[84:87], v223 offset0:128 offset1:160
	ds_load_2addr_b64 v[88:91], v223 offset0:192 offset1:224
	ds_load_2addr_b64 v[92:95], v224 offset1:32
	ds_load_2addr_b64 v[96:99], v224 offset0:64 offset1:96
	;; [unrolled: 4-line block ×3, first 2 shown]
	ds_load_2addr_b64 v[116:119], v225 offset0:128 offset1:160
	ds_load_2addr_b64 v[170:173], v225 offset0:192 offset1:224
	s_waitcnt lgkmcnt(0)
	s_barrier
	buffer_gl0_inv
	s_clause 0x1
	global_load_b128 v[174:177], v[189:190], off
	global_load_b128 v[178:181], v[189:190], off offset:512
	v_pk_fma_f16 v185, v71, v25, v227 op_sel_hi:[1,0,1]
	v_pk_fma_f16 v71, v71, v25, v228 op_sel:[0,1,0]
	v_pk_fma_f16 v186, v64, v25, v229 op_sel_hi:[1,0,1]
	v_pk_fma_f16 v64, v64, v25, v231 op_sel:[0,1,0]
	v_pk_fma_f16 v187, v65, v25, v236 op_sel_hi:[1,0,1]
	v_pk_fma_f16 v65, v65, v25, v237 op_sel:[0,1,0]
	v_pk_fma_f16 v188, v66, v25, v238 op_sel_hi:[1,0,1]
	v_pk_fma_f16 v66, v66, v25, v239 op_sel:[0,1,0]
	v_pk_fma_f16 v189, v67, v25, v240 op_sel_hi:[1,0,1]
	v_pk_fma_f16 v25, v56, v26, v182 op_sel_hi:[1,0,1]
	v_pk_fma_f16 v56, v56, v26, v68 op_sel:[0,1,0]
	v_pk_fma_f16 v67, v57, v26, v183 op_sel_hi:[1,0,1]
	v_pk_fma_f16 v57, v57, v26, v69 op_sel:[0,1,0]
	;; [unrolled: 2-line block ×142, first 2 shown]
	v_pk_fma_f16 v88, v172, v3, v16 op_sel_hi:[1,0,1]
	s_waitcnt vmcnt(1)
	ds_store_b128 v210, v[174:177]
	s_waitcnt vmcnt(0)
	ds_store_b128 v211, v[178:181]
	s_waitcnt lgkmcnt(0)
	s_barrier
	buffer_gl0_inv
	ds_load_2addr_b64 v[4:7], v212 offset1:32
	ds_load_2addr_b64 v[8:11], v212 offset0:64 offset1:96
	ds_load_b128 v[12:15], v209 offset:224
	ds_load_b128 v[16:19], v209 offset:240
	ds_load_2addr_b64 v[20:23], v212 offset0:128 offset1:160
	ds_load_2addr_b64 v[24:27], v212 offset0:192 offset1:224
	ds_load_2addr_b64 v[28:31], v223 offset1:32
	ds_load_2addr_b64 v[32:35], v223 offset0:64 offset1:96
	ds_load_2addr_b64 v[36:39], v223 offset0:128 offset1:160
	ds_load_2addr_b64 v[40:43], v223 offset0:192 offset1:224
	ds_load_2addr_b64 v[44:47], v224 offset1:32
	ds_load_2addr_b64 v[48:51], v224 offset0:64 offset1:96
	;; [unrolled: 4-line block ×3, first 2 shown]
	ds_load_2addr_b64 v[68:71], v225 offset0:128 offset1:160
	ds_load_2addr_b64 v[72:75], v225 offset0:192 offset1:224
	v_pk_fma_f16 v76, v172, v3, v76 op_sel:[0,1,0]
	v_pk_fma_f16 v77, v173, v3, v77 op_sel_hi:[1,0,1]
	v_pk_fma_f16 v0, v173, v3, v0 op_sel:[0,1,0]
	s_waitcnt lgkmcnt(0)
	v_pk_fma_f16 v1, v4, v12, v1 op_sel_hi:[1,0,1]
	v_pk_fma_f16 v2, v4, v12, v2 op_sel:[0,1,0]
	v_pk_fma_f16 v3, v5, v12, v78 op_sel_hi:[1,0,1]
	v_pk_fma_f16 v4, v5, v12, v79 op_sel:[0,1,0]
	;; [unrolled: 2-line block ×24, first 2 shown]
	s_barrier
	buffer_gl0_inv
	s_load_b32 s16, s[4:5], 0x4
	v_pk_fma_f16 v1, v36, v15, v1 op_sel_hi:[1,0,1]
	v_pk_fma_f16 v2, v36, v15, v2 op_sel:[0,1,0]
	v_pk_fma_f16 v3, v37, v15, v3 op_sel_hi:[1,0,1]
	v_pk_fma_f16 v4, v37, v15, v4 op_sel:[0,1,0]
	;; [unrolled: 2-line block ×32, first 2 shown]
	s_waitcnt lgkmcnt(0)
	s_lshl_b32 s16, s16, 6
	v_pk_fma_f16 v155, v68, v19, v1 op_sel_hi:[1,0,1]
	v_pk_fma_f16 v150, v68, v19, v2 op_sel:[0,1,0]
	v_pk_fma_f16 v157, v69, v19, v3 op_sel_hi:[1,0,1]
	v_pk_fma_f16 v151, v69, v19, v4 op_sel:[0,1,0]
	;; [unrolled: 2-line block ×8, first 2 shown]
	s_add_i32 s3, s16, s3
	s_delay_alu instid0(SALU_CYCLE_1)
	s_cmp_ge_i32 s3, s2
	s_cbranch_scc1 .LBB27_27
; %bb.26:                               ;   in Loop: Header=BB27_9 Depth=1
	v_dual_mov_b32 v160, v199 :: v_dual_mov_b32 v161, v200
	v_dual_mov_b32 v217, v168 :: v_dual_mov_b32 v216, v169
	s_branch .LBB27_9
.LBB27_27:
	v_mov_b32_e32 v0, v203
.LBB27_28:
	v_cmp_lt_i32_e32 vcc_lo, v222, v204
	s_cmp_lg_u64 s[24:25], 0
	s_cselect_b32 s2, -1, 0
	s_cmp_eq_u32 s14, 0
	v_cndmask_b32_e32 v1, v0, v222, vcc_lo
	v_cmp_lt_i32_e32 vcc_lo, v218, v204
	s_cselect_b32 s3, -1, 0
	s_delay_alu instid0(SALU_CYCLE_1) | instskip(NEXT) | instid1(VALU_DEP_2)
	s_and_b32 s2, s3, s2
	v_lshlrev_b32_e32 v1, 2, v1
	v_cndmask_b32_e32 v3, v0, v218, vcc_lo
	v_cmp_lt_i32_e32 vcc_lo, v219, v204
	ds_bpermute_b32 v2, v1, v168
	v_lshlrev_b32_e32 v3, 2, v3
	v_cndmask_b32_e32 v5, v0, v219, vcc_lo
	v_cmp_lt_i32_e32 vcc_lo, v220, v204
	s_waitcnt lgkmcnt(0)
	s_delay_alu instid0(VALU_DEP_2)
	v_dual_add_f32 v2, v168, v2 :: v_dual_lshlrev_b32 v5, 2, v5
	ds_bpermute_b32 v1, v1, v169
	ds_bpermute_b32 v4, v3, v2
	s_waitcnt lgkmcnt(0)
	v_dual_add_f32 v2, v2, v4 :: v_dual_add_f32 v1, v169, v1
	ds_bpermute_b32 v3, v3, v1
	s_waitcnt lgkmcnt(0)
	v_add_f32_e32 v1, v1, v3
	ds_bpermute_b32 v3, v5, v2
	ds_bpermute_b32 v4, v5, v1
	v_cndmask_b32_e32 v5, v0, v220, vcc_lo
	v_cmp_lt_i32_e32 vcc_lo, v221, v204
	s_delay_alu instid0(VALU_DEP_2) | instskip(SKIP_2) | instid1(VALU_DEP_1)
	v_lshlrev_b32_e32 v5, 2, v5
	v_cndmask_b32_e32 v0, v0, v221, vcc_lo
	s_and_b32 vcc_lo, exec_lo, s2
	v_lshlrev_b32_e32 v0, 2, v0
	s_waitcnt lgkmcnt(0)
	v_dual_add_f32 v2, v2, v3 :: v_dual_add_f32 v1, v1, v4
	ds_bpermute_b32 v3, v5, v2
	ds_bpermute_b32 v4, v5, v1
	s_waitcnt lgkmcnt(0)
	v_dual_add_f32 v2, v2, v3 :: v_dual_add_f32 v1, v1, v4
	ds_bpermute_b32 v3, v0, v2
	ds_bpermute_b32 v0, v0, v1
	s_waitcnt lgkmcnt(0)
	v_dual_add_f32 v2, v2, v3 :: v_dual_add_f32 v3, v1, v0
	s_cbranch_vccz .LBB27_31
; %bb.29:
	v_add_nc_u32_e32 v0, s12, v202
	s_delay_alu instid0(VALU_DEP_1) | instskip(NEXT) | instid1(VALU_DEP_1)
	v_ashrrev_i32_e32 v1, 31, v0
	v_lshlrev_b64 v[0:1], 2, v[0:1]
	s_delay_alu instid0(VALU_DEP_1) | instskip(NEXT) | instid1(VALU_DEP_2)
	v_add_co_u32 v0, vcc_lo, s24, v0
	v_add_co_ci_u32_e32 v1, vcc_lo, s25, v1, vcc_lo
	global_load_b64 v[0:1], v[0:1], off
	v_max_f32_e32 v4, v199, v199
	v_max_f32_e32 v6, v200, v200
	s_waitcnt vmcnt(0)
	v_max_f32_e32 v5, v0, v0
	v_max_f32_e32 v7, v1, v1
	s_delay_alu instid0(VALU_DEP_1) | instskip(NEXT) | instid1(VALU_DEP_1)
	v_dual_max_f32 v4, v4, v5 :: v_dual_max_f32 v5, v6, v7
	v_dual_sub_f32 v6, v199, v4 :: v_dual_sub_f32 v7, v200, v5
	v_dual_sub_f32 v1, v1, v5 :: v_dual_sub_f32 v0, v0, v4
	v_mov_b32_e32 v200, v5
	s_delay_alu instid0(VALU_DEP_3) | instskip(SKIP_1) | instid1(VALU_DEP_4)
	v_cmp_ngt_f32_e32 vcc_lo, 0xc2ce8ed0, v6
	v_mov_b32_e32 v199, v4
	v_dual_mul_f32 v11, 0x3fb8aa3b, v1 :: v_dual_mul_f32 v8, 0x3fb8aa3b, v6
	v_mul_f32_e32 v9, 0x3fb8aa3b, v0
	s_delay_alu instid0(VALU_DEP_2) | instskip(NEXT) | instid1(VALU_DEP_3)
	v_fma_f32 v18, 0x3fb8aa3b, v1, -v11
	v_fma_f32 v12, 0x3fb8aa3b, v6, -v8
	v_rndne_f32_e32 v13, v8
	s_delay_alu instid0(VALU_DEP_4) | instskip(SKIP_4) | instid1(VALU_DEP_4)
	v_fma_f32 v14, 0x3fb8aa3b, v0, -v9
	v_rndne_f32_e32 v15, v9
	v_rndne_f32_e32 v19, v11
	v_fmac_f32_e32 v12, 0x32a5705f, v6
	v_sub_f32_e32 v8, v8, v13
	v_dual_fmac_f32 v18, 0x32a5705f, v1 :: v_dual_sub_f32 v9, v9, v15
	s_delay_alu instid0(VALU_DEP_4) | instskip(NEXT) | instid1(VALU_DEP_3)
	v_dual_sub_f32 v11, v11, v19 :: v_dual_fmac_f32 v14, 0x32a5705f, v0
	v_add_f32_e32 v8, v8, v12
	v_cvt_i32_f32_e32 v12, v13
	v_cvt_i32_f32_e32 v13, v15
	s_delay_alu instid0(VALU_DEP_4) | instskip(SKIP_3) | instid1(VALU_DEP_3)
	v_dual_add_f32 v11, v11, v18 :: v_dual_mul_f32 v10, 0x3fb8aa3b, v7
	v_add_f32_e32 v9, v9, v14
	v_exp_f32_e32 v8, v8
	v_cvt_i32_f32_e32 v15, v19
	v_exp_f32_e32 v11, v11
	v_fma_f32 v16, 0x3fb8aa3b, v7, -v10
	v_exp_f32_e32 v9, v9
	v_rndne_f32_e32 v17, v10
	s_delay_alu instid0(TRANS32_DEP_3) | instskip(NEXT) | instid1(VALU_DEP_2)
	v_ldexp_f32 v8, v8, v12
	v_cvt_i32_f32_e32 v14, v17
	s_waitcnt_depctr 0xfff
	v_ldexp_f32 v11, v11, v15
	v_sub_f32_e32 v10, v10, v17
	v_ldexp_f32 v9, v9, v13
	v_cndmask_b32_e32 v8, 0, v8, vcc_lo
	v_cmp_ngt_f32_e32 vcc_lo, 0xc2ce8ed0, v0
	s_delay_alu instid0(VALU_DEP_3) | instskip(NEXT) | instid1(VALU_DEP_1)
	v_dual_fmac_f32 v16, 0x32a5705f, v7 :: v_dual_cndmask_b32 v9, 0, v9
	v_add_f32_e32 v10, v10, v16
	v_cmp_ngt_f32_e32 vcc_lo, 0xc2ce8ed0, v7
	s_delay_alu instid0(VALU_DEP_2) | instskip(SKIP_2) | instid1(VALU_DEP_1)
	v_exp_f32_e32 v10, v10
	s_waitcnt_depctr 0xfff
	v_ldexp_f32 v10, v10, v14
	v_cndmask_b32_e32 v10, 0, v10, vcc_lo
	v_cmp_ngt_f32_e32 vcc_lo, 0xc2ce8ed0, v1
	v_cndmask_b32_e32 v11, 0, v11, vcc_lo
	v_cmp_nlt_f32_e32 vcc_lo, 0x42b17218, v6
	v_cndmask_b32_e32 v6, 0x7f800000, v8, vcc_lo
	v_cmp_nlt_f32_e32 vcc_lo, 0x42b17218, v0
	s_delay_alu instid0(VALU_DEP_2) | instskip(SKIP_2) | instid1(VALU_DEP_3)
	v_cvt_f16_f32_e32 v8, v6
	v_cndmask_b32_e32 v0, 0x7f800000, v9, vcc_lo
	v_cmp_nlt_f32_e32 vcc_lo, 0x42b17218, v7
	v_pk_mul_f16 v155, v8, v155 op_sel_hi:[0,1]
	s_delay_alu instid0(VALU_DEP_3)
	v_fmac_f32_e32 v0, v2, v6
	v_cndmask_b32_e32 v7, 0x7f800000, v10, vcc_lo
	v_cmp_nlt_f32_e32 vcc_lo, 0x42b17218, v1
	v_pk_mul_f16 v157, v8, v157 op_sel_hi:[0,1]
	v_pk_mul_f16 v158, v8, v158 op_sel_hi:[0,1]
	;; [unrolled: 1-line block ×3, first 2 shown]
	v_cvt_f16_f32_e32 v2, v7
	v_cndmask_b32_e32 v1, 0x7f800000, v11, vcc_lo
	v_pk_mul_f16 v154, v8, v154 op_sel_hi:[0,1]
	v_pk_mul_f16 v156, v8, v156 op_sel_hi:[0,1]
	v_pk_mul_f16 v152, v8, v152 op_sel_hi:[0,1]
	v_pk_mul_f16 v153, v8, v153 op_sel_hi:[0,1]
	v_fmac_f32_e32 v1, v3, v7
	v_pk_mul_f16 v150, v2, v150 op_sel_hi:[0,1]
	v_pk_mul_f16 v151, v2, v151 op_sel_hi:[0,1]
	;; [unrolled: 1-line block ×4, first 2 shown]
	v_mov_b32_e32 v3, v1
	v_pk_mul_f16 v146, v2, v146 op_sel_hi:[0,1]
	v_pk_mul_f16 v147, v2, v147 op_sel_hi:[0,1]
	;; [unrolled: 1-line block ×4, first 2 shown]
	v_mov_b32_e32 v2, v0
	s_mov_b32 s2, exec_lo
	v_cmpx_gt_i32_e64 s6, v192
	s_cbranch_execnz .LBB27_32
.LBB27_30:
	s_nop 0
	s_sendmsg sendmsg(MSG_DEALLOC_VGPRS)
	s_endpgm
.LBB27_31:
	s_delay_alu instid0(VALU_DEP_1)
	v_dual_mov_b32 v0, v2 :: v_dual_mov_b32 v1, v3
	s_mov_b32 s2, exec_lo
	v_cmpx_gt_i32_e64 s6, v192
	s_cbranch_execz .LBB27_30
.LBB27_32:
	s_load_b32 s1, s[0:1], 0xd4
	v_mov_b32_e32 v6, 1.0
	s_waitcnt lgkmcnt(0)
	s_cmp_lg_u32 s1, 1
	s_cselect_b32 s3, -1, 0
	s_cmp_eq_u32 s1, 1
	s_cselect_b32 s2, -1, 0
	s_and_b32 vcc_lo, exec_lo, s3
	s_cbranch_vccnz .LBB27_34
; %bb.33:
	v_div_scale_f32 v4, null, v2, v2, 1.0
	s_delay_alu instid0(VALU_DEP_1) | instskip(SKIP_2) | instid1(VALU_DEP_1)
	v_rcp_f32_e32 v5, v4
	s_waitcnt_depctr 0xfff
	v_fma_f32 v6, -v4, v5, 1.0
	v_fmac_f32_e32 v5, v6, v5
	v_div_scale_f32 v6, vcc_lo, 1.0, v2, 1.0
	s_delay_alu instid0(VALU_DEP_1) | instskip(NEXT) | instid1(VALU_DEP_1)
	v_mul_f32_e32 v7, v6, v5
	v_fma_f32 v8, -v4, v7, v6
	s_delay_alu instid0(VALU_DEP_1) | instskip(NEXT) | instid1(VALU_DEP_1)
	v_fmac_f32_e32 v7, v8, v5
	v_fma_f32 v4, -v4, v7, v6
	s_delay_alu instid0(VALU_DEP_1) | instskip(NEXT) | instid1(VALU_DEP_1)
	v_div_fmas_f32 v4, v4, v5, v7
	v_div_fixup_f32 v6, v4, v2, 1.0
.LBB27_34:
	v_mad_u64_u32 v[4:5], null, s33, s6, v[192:193]
	v_lshrrev_b32_e32 v2, 16, v157
	v_cvt_f32_f16_e64 v7, v157
	v_cvt_f32_f16_e64 v10, v155
	v_mov_b32_e32 v20, 0
	v_lshrrev_b32_e32 v11, 16, v159
	v_cvt_f32_f16_e64 v15, v158
	v_mul_lo_u32 v4, v4, s7
	v_cvt_f32_f16_e32 v2, v2
	v_lshrrev_b32_e32 v8, 16, v155
	v_lshrrev_b32_e32 v17, 16, v156
	v_cvt_f32_f16_e32 v21, v11
	v_mul_f32_e32 v11, v6, v15
	v_cvt_f32_f16_e64 v12, v159
	v_lshrrev_b32_e32 v14, 16, v158
	v_add3_u32 v9, s12, v202, v4
	v_cvt_f32_f16_e32 v29, v17
	v_lshrrev_b32_e32 v28, 16, v154
	v_cvt_f32_f16_e64 v27, v156
	v_cvt_f32_f16_e64 v31, v152
	v_mad_u64_u32 v[4:5], null, s1, v9, s[14:15]
	v_mul_f32_e32 v9, v6, v7
	v_dual_mul_f32 v7, v6, v10 :: v_dual_mov_b32 v16, v20
	v_cvt_f32_f16_e32 v5, v8
	v_dual_mul_f32 v13, v6, v12 :: v_dual_mov_b32 v22, v20
	v_lshl_add_u32 v19, v4, 9, v201
	v_mul_f32_e32 v10, v6, v2
	s_delay_alu instid0(VALU_DEP_4)
	v_mul_f32_e32 v8, v6, v5
	v_cvt_f32_f16_e64 v5, v154
	v_cvt_f32_f16_e32 v12, v14
	v_add_nc_u32_e32 v15, 0x80, v19
	v_lshlrev_b64 v[17:18], 2, v[19:20]
	v_dual_mul_f32 v14, v6, v21 :: v_dual_add_nc_u32 v21, 0x100, v19
	v_add_nc_u32_e32 v19, 0x180, v19
	s_delay_alu instid0(VALU_DEP_4) | instskip(SKIP_2) | instid1(VALU_DEP_1)
	v_lshlrev_b64 v[15:16], 2, v[15:16]
	v_cvt_f32_f16_e32 v2, v28
	v_add_co_u32 v23, s0, s28, v17
	v_add_co_ci_u32_e64 v24, s0, s29, v18, s0
	s_delay_alu instid0(VALU_DEP_4)
	v_add_co_u32 v25, s0, s28, v15
	v_mul_f32_e32 v15, v6, v5
	v_lshrrev_b32_e32 v5, 16, v152
	v_lshlrev_b64 v[21:22], 2, v[21:22]
	v_add_co_ci_u32_e64 v26, s0, s29, v16, s0
	v_mul_f32_e32 v16, v6, v2
	v_lshrrev_b32_e32 v2, 16, v153
	v_mul_f32_e32 v18, v6, v29
	v_lshlrev_b64 v[29:30], 2, v[19:20]
	v_cvt_f32_f16_e32 v5, v5
	v_mul_f32_e32 v17, v6, v27
	v_add_co_u32 v27, s0, s28, v21
	v_cvt_f32_f16_e32 v2, v2
	v_cvt_f32_f16_e64 v21, v153
	v_cmp_eq_u32_e32 vcc_lo, 0, v193
	v_add_co_ci_u32_e64 v28, s0, s29, v22, s0
	v_mul_f32_e32 v20, v6, v5
	v_add_co_u32 v5, s0, s28, v29
	v_mul_f32_e32 v12, v6, v12
	v_mul_f32_e32 v22, v6, v2
	;; [unrolled: 1-line block ×4, first 2 shown]
	v_add_co_ci_u32_e64 v6, s0, s29, v30, s0
	s_and_b32 s0, vcc_lo, s3
	s_clause 0x3
	global_store_b128 v[23:24], v[7:10], off
	global_store_b128 v[25:26], v[11:14], off
	;; [unrolled: 1-line block ×4, first 2 shown]
	s_and_saveexec_b32 s3, s0
	s_cbranch_execz .LBB27_36
; %bb.35:
	v_ashrrev_i32_e32 v5, 31, v4
	v_dual_mov_b32 v7, v199 :: v_dual_mov_b32 v8, v0
	s_delay_alu instid0(VALU_DEP_2) | instskip(NEXT) | instid1(VALU_DEP_1)
	v_lshlrev_b64 v[5:6], 3, v[4:5]
	v_add_co_u32 v5, vcc_lo, s30, v5
	s_delay_alu instid0(VALU_DEP_2)
	v_add_co_ci_u32_e32 v6, vcc_lo, s31, v6, vcc_lo
	global_store_b64 v[5:6], v[7:8], off
.LBB27_36:
	s_or_b32 exec_lo, exec_lo, s3
	v_mov_b32_e32 v0, 1.0
	s_and_not1_b32 vcc_lo, exec_lo, s2
	s_cbranch_vccnz .LBB27_38
; %bb.37:
	v_div_scale_f32 v0, null, v3, v3, 1.0
	s_delay_alu instid0(VALU_DEP_1) | instskip(SKIP_2) | instid1(VALU_DEP_1)
	v_rcp_f32_e32 v2, v0
	s_waitcnt_depctr 0xfff
	v_fma_f32 v5, -v0, v2, 1.0
	v_fmac_f32_e32 v2, v5, v2
	v_div_scale_f32 v5, vcc_lo, 1.0, v3, 1.0
	s_delay_alu instid0(VALU_DEP_1) | instskip(NEXT) | instid1(VALU_DEP_1)
	v_mul_f32_e32 v6, v5, v2
	v_fma_f32 v7, -v0, v6, v5
	s_delay_alu instid0(VALU_DEP_1) | instskip(NEXT) | instid1(VALU_DEP_1)
	v_fmac_f32_e32 v6, v7, v2
	v_fma_f32 v0, -v0, v6, v5
	s_delay_alu instid0(VALU_DEP_1) | instskip(NEXT) | instid1(VALU_DEP_1)
	v_div_fmas_f32 v0, v0, v2, v6
	v_div_fixup_f32 v0, v0, v3, 1.0
.LBB27_38:
	v_lshrrev_b32_e32 v3, 16, v151
	v_cvt_f32_f16_e64 v6, v150
	v_add_nc_u32_e32 v2, s1, v4
	v_cvt_f32_f16_e64 v4, v151
	v_lshrrev_b32_e32 v5, 16, v150
	v_mov_b32_e32 v16, 0
	v_cvt_f32_f16_e32 v10, v3
	v_mul_f32_e32 v3, v0, v6
	v_lshl_add_u32 v15, v2, 9, v201
	v_cvt_f32_f16_e32 v11, v5
	v_mul_f32_e32 v5, v0, v4
	v_lshrrev_b32_e32 v9, 16, v149
	v_mul_f32_e32 v6, v0, v10
	v_lshlrev_b64 v[7:8], 2, v[15:16]
	v_lshrrev_b32_e32 v10, 16, v148
	v_cvt_f32_f16_e64 v13, v149
	v_cvt_f32_f16_e32 v9, v9
	v_mul_f32_e32 v4, v0, v11
	v_cvt_f32_f16_e64 v17, v148
	v_add_co_u32 v19, vcc_lo, s28, v7
	v_add_nc_u32_e32 v7, 0x80, v15
	v_add_co_ci_u32_e32 v20, vcc_lo, s29, v8, vcc_lo
	v_mov_b32_e32 v8, v16
	v_cvt_f32_f16_e32 v14, v10
	v_mul_f32_e32 v10, v0, v9
	v_mul_f32_e32 v9, v0, v13
	v_lshrrev_b32_e32 v13, 16, v147
	v_lshlrev_b64 v[11:12], 2, v[7:8]
	v_mul_f32_e32 v8, v0, v14
	v_mul_f32_e32 v7, v0, v17
	v_lshrrev_b32_e32 v14, 16, v146
	v_cvt_f32_f16_e32 v13, v13
	v_cvt_f32_f16_e64 v17, v147
	v_add_co_u32 v21, vcc_lo, s28, v11
	v_add_co_ci_u32_e32 v22, vcc_lo, s29, v12, vcc_lo
	v_add_nc_u32_e32 v11, 0x100, v15
	v_dual_mov_b32 v12, v16 :: v_dual_add_nc_u32 v15, 0x180, v15
	v_cvt_f32_f16_e32 v23, v14
	v_mul_f32_e32 v14, v0, v13
	v_mul_f32_e32 v13, v0, v17
	v_lshrrev_b32_e32 v25, 16, v144
	v_lshlrev_b64 v[17:18], 2, v[11:12]
	v_lshrrev_b32_e32 v26, 16, v145
	v_cvt_f32_f16_e64 v24, v146
	v_mul_f32_e32 v12, v0, v23
	v_cvt_f32_f16_e64 v27, v144
	v_cvt_f32_f16_e64 v29, v145
	v_add_co_u32 v23, vcc_lo, s28, v17
	v_cvt_f32_f16_e32 v17, v25
	v_cvt_f32_f16_e32 v28, v26
	v_lshlrev_b64 v[25:26], 2, v[15:16]
	v_mul_f32_e32 v11, v0, v24
	v_add_co_ci_u32_e32 v24, vcc_lo, s29, v18, vcc_lo
	v_mul_f32_e32 v18, v0, v17
	v_mul_f32_e32 v17, v0, v27
	v_add_co_u32 v25, vcc_lo, s28, v25
	v_mul_f32_e32 v16, v0, v28
	v_mul_f32_e32 v15, v0, v29
	v_add_co_ci_u32_e32 v26, vcc_lo, s29, v26, vcc_lo
	s_clause 0x3
	global_store_b128 v[19:20], v[3:6], off
	global_store_b128 v[21:22], v[7:10], off
	;; [unrolled: 1-line block ×4, first 2 shown]
	s_and_b32 exec_lo, exec_lo, s0
	s_cbranch_execz .LBB27_30
; %bb.39:
	v_ashrrev_i32_e32 v3, 31, v2
	v_mov_b32_e32 v0, v200
	s_delay_alu instid0(VALU_DEP_2) | instskip(NEXT) | instid1(VALU_DEP_1)
	v_lshlrev_b64 v[2:3], 3, v[2:3]
	v_add_co_u32 v2, vcc_lo, s30, v2
	s_delay_alu instid0(VALU_DEP_2)
	v_add_co_ci_u32_e32 v3, vcc_lo, s31, v3, vcc_lo
	global_store_b64 v[2:3], v[0:1], off
	s_nop 0
	s_sendmsg sendmsg(MSG_DEALLOC_VGPRS)
	s_endpgm
	.section	.rodata,"a",@progbits
	.p2align	6, 0x0
	.amdhsa_kernel _ZL15flash_attn_tileILi512ELi512ELi2ELi8ELb1EEvPKcS1_S1_S1_S1_PKiPfP15HIP_vector_typeIfLj2EEffffjfiS5_IjLj3EEiiiiiiiiiiiliiliiiiil
		.amdhsa_group_segment_fixed_size 27648
		.amdhsa_private_segment_fixed_size 0
		.amdhsa_kernarg_size 464
		.amdhsa_user_sgpr_count 13
		.amdhsa_user_sgpr_dispatch_ptr 0
		.amdhsa_user_sgpr_queue_ptr 0
		.amdhsa_user_sgpr_kernarg_segment_ptr 1
		.amdhsa_user_sgpr_dispatch_id 0
		.amdhsa_user_sgpr_private_segment_size 0
		.amdhsa_wavefront_size32 1
		.amdhsa_uses_dynamic_stack 0
		.amdhsa_enable_private_segment 0
		.amdhsa_system_sgpr_workgroup_id_x 1
		.amdhsa_system_sgpr_workgroup_id_y 1
		.amdhsa_system_sgpr_workgroup_id_z 1
		.amdhsa_system_sgpr_workgroup_info 0
		.amdhsa_system_vgpr_workitem_id 1
		.amdhsa_next_free_vgpr 241
		.amdhsa_next_free_sgpr 40
		.amdhsa_reserve_vcc 1
		.amdhsa_float_round_mode_32 0
		.amdhsa_float_round_mode_16_64 0
		.amdhsa_float_denorm_mode_32 3
		.amdhsa_float_denorm_mode_16_64 3
		.amdhsa_dx10_clamp 1
		.amdhsa_ieee_mode 1
		.amdhsa_fp16_overflow 0
		.amdhsa_workgroup_processor_mode 1
		.amdhsa_memory_ordered 1
		.amdhsa_forward_progress 0
		.amdhsa_shared_vgpr_count 0
		.amdhsa_exception_fp_ieee_invalid_op 0
		.amdhsa_exception_fp_denorm_src 0
		.amdhsa_exception_fp_ieee_div_zero 0
		.amdhsa_exception_fp_ieee_overflow 0
		.amdhsa_exception_fp_ieee_underflow 0
		.amdhsa_exception_fp_ieee_inexact 0
		.amdhsa_exception_int_div_zero 0
	.end_amdhsa_kernel
	.section	.text._ZL15flash_attn_tileILi512ELi512ELi2ELi8ELb1EEvPKcS1_S1_S1_S1_PKiPfP15HIP_vector_typeIfLj2EEffffjfiS5_IjLj3EEiiiiiiiiiiiliiliiiiil,"axG",@progbits,_ZL15flash_attn_tileILi512ELi512ELi2ELi8ELb1EEvPKcS1_S1_S1_S1_PKiPfP15HIP_vector_typeIfLj2EEffffjfiS5_IjLj3EEiiiiiiiiiiiliiliiiiil,comdat
.Lfunc_end27:
	.size	_ZL15flash_attn_tileILi512ELi512ELi2ELi8ELb1EEvPKcS1_S1_S1_S1_PKiPfP15HIP_vector_typeIfLj2EEffffjfiS5_IjLj3EEiiiiiiiiiiiliiliiiiil, .Lfunc_end27-_ZL15flash_attn_tileILi512ELi512ELi2ELi8ELb1EEvPKcS1_S1_S1_S1_PKiPfP15HIP_vector_typeIfLj2EEffffjfiS5_IjLj3EEiiiiiiiiiiiliiliiiiil
                                        ; -- End function
	.section	.AMDGPU.csdata,"",@progbits
; Kernel info:
; codeLenInByte = 40684
; NumSgprs: 42
; NumVgprs: 241
; ScratchSize: 0
; MemoryBound: 0
; FloatMode: 240
; IeeeMode: 1
; LDSByteSize: 27648 bytes/workgroup (compile time only)
; SGPRBlocks: 5
; VGPRBlocks: 30
; NumSGPRsForWavesPerEU: 42
; NumVGPRsForWavesPerEU: 241
; Occupancy: 5
; WaveLimiterHint : 1
; COMPUTE_PGM_RSRC2:SCRATCH_EN: 0
; COMPUTE_PGM_RSRC2:USER_SGPR: 13
; COMPUTE_PGM_RSRC2:TRAP_HANDLER: 0
; COMPUTE_PGM_RSRC2:TGID_X_EN: 1
; COMPUTE_PGM_RSRC2:TGID_Y_EN: 1
; COMPUTE_PGM_RSRC2:TGID_Z_EN: 1
; COMPUTE_PGM_RSRC2:TIDIG_COMP_CNT: 1
	.section	.text._ZL15flash_attn_tileILi512ELi512ELi1ELi8ELb1EEvPKcS1_S1_S1_S1_PKiPfP15HIP_vector_typeIfLj2EEffffjfiS5_IjLj3EEiiiiiiiiiiiliiliiiiil,"axG",@progbits,_ZL15flash_attn_tileILi512ELi512ELi1ELi8ELb1EEvPKcS1_S1_S1_S1_PKiPfP15HIP_vector_typeIfLj2EEffffjfiS5_IjLj3EEiiiiiiiiiiiliiliiiiil,comdat
	.globl	_ZL15flash_attn_tileILi512ELi512ELi1ELi8ELb1EEvPKcS1_S1_S1_S1_PKiPfP15HIP_vector_typeIfLj2EEffffjfiS5_IjLj3EEiiiiiiiiiiiliiliiiiil ; -- Begin function _ZL15flash_attn_tileILi512ELi512ELi1ELi8ELb1EEvPKcS1_S1_S1_S1_PKiPfP15HIP_vector_typeIfLj2EEffffjfiS5_IjLj3EEiiiiiiiiiiiliiliiiiil
	.p2align	8
	.type	_ZL15flash_attn_tileILi512ELi512ELi1ELi8ELb1EEvPKcS1_S1_S1_S1_PKiPfP15HIP_vector_typeIfLj2EEffffjfiS5_IjLj3EEiiiiiiiiiiiliiliiiiil,@function
_ZL15flash_attn_tileILi512ELi512ELi1ELi8ELb1EEvPKcS1_S1_S1_S1_PKiPfP15HIP_vector_typeIfLj2EEffffjfiS5_IjLj3EEiiiiiiiiiiiliiliiiiil: ; @_ZL15flash_attn_tileILi512ELi512ELi1ELi8ELb1EEvPKcS1_S1_S1_S1_PKiPfP15HIP_vector_typeIfLj2EEffffjfiS5_IjLj3EEiiiiiiiiiiiliiliiiiil
; %bb.0:
	s_clause 0x1
	s_load_b128 s[4:7], s[0:1], 0x5c
	s_load_b64 s[2:3], s[0:1], 0x80
	s_mov_b64 s[34:35], 0
	s_waitcnt lgkmcnt(0)
	s_ashr_i32 s8, s7, 31
	s_delay_alu instid0(SALU_CYCLE_1) | instskip(NEXT) | instid1(SALU_CYCLE_1)
	s_lshr_b32 s8, s8, 29
	s_add_i32 s8, s7, s8
	s_delay_alu instid0(SALU_CYCLE_1) | instskip(NEXT) | instid1(SALU_CYCLE_1)
	s_ashr_i32 s8, s8, 3
	v_cvt_f32_u32_e32 v1, s8
	s_sub_i32 s10, 0, s8
	s_delay_alu instid0(VALU_DEP_1) | instskip(SKIP_2) | instid1(VALU_DEP_1)
	v_rcp_iflag_f32_e32 v1, v1
	s_waitcnt_depctr 0xfff
	v_mul_f32_e32 v1, 0x4f7ffffe, v1
	v_cvt_u32_f32_e32 v1, v1
	s_delay_alu instid0(VALU_DEP_1) | instskip(NEXT) | instid1(VALU_DEP_1)
	v_readfirstlane_b32 s9, v1
	s_mul_i32 s10, s10, s9
	s_delay_alu instid0(SALU_CYCLE_1) | instskip(NEXT) | instid1(SALU_CYCLE_1)
	s_mul_hi_u32 s10, s9, s10
	s_add_i32 s9, s9, s10
	s_delay_alu instid0(SALU_CYCLE_1) | instskip(NEXT) | instid1(SALU_CYCLE_1)
	s_mul_hi_u32 s9, s15, s9
	s_mul_i32 s10, s9, s8
	s_add_i32 s11, s9, 1
	s_sub_i32 s10, s15, s10
	s_delay_alu instid0(SALU_CYCLE_1)
	s_sub_i32 s12, s10, s8
	s_cmp_ge_u32 s10, s8
	s_cselect_b32 s9, s11, s9
	s_cselect_b32 s10, s12, s10
	s_add_i32 s11, s9, 1
	s_cmp_ge_u32 s10, s8
	s_cselect_b32 s12, s11, s9
	s_abs_i32 s8, s3
	s_abs_i32 s16, s7
	v_cvt_f32_u32_e32 v1, s8
	s_sub_i32 s10, 0, s8
	s_lshl_b32 s11, s15, 3
	s_mul_i32 s15, s12, s7
	s_xor_b32 s3, s7, s3
	v_rcp_iflag_f32_e32 v1, v1
	s_sub_i32 s15, s11, s15
	s_ashr_i32 s3, s3, 31
	s_waitcnt_depctr 0xfff
	v_mul_f32_e32 v1, 0x4f7ffffe, v1
	s_delay_alu instid0(VALU_DEP_1) | instskip(NEXT) | instid1(VALU_DEP_1)
	v_cvt_u32_f32_e32 v1, v1
	v_readfirstlane_b32 s9, v1
	s_delay_alu instid0(VALU_DEP_1) | instskip(NEXT) | instid1(SALU_CYCLE_1)
	s_mul_i32 s10, s10, s9
	s_mul_hi_u32 s10, s9, s10
	s_delay_alu instid0(SALU_CYCLE_1) | instskip(NEXT) | instid1(SALU_CYCLE_1)
	s_add_i32 s9, s9, s10
	s_mul_hi_u32 s9, s16, s9
	s_delay_alu instid0(SALU_CYCLE_1) | instskip(SKIP_2) | instid1(SALU_CYCLE_1)
	s_mul_i32 s10, s9, s8
	s_add_i32 s11, s9, 1
	s_sub_i32 s10, s16, s10
	s_sub_i32 s16, s10, s8
	s_cmp_ge_u32 s10, s8
	s_cselect_b32 s9, s11, s9
	s_cselect_b32 s10, s16, s10
	s_add_i32 s11, s9, 1
	s_cmp_ge_u32 s10, s8
	s_clause 0x1
	s_load_b512 s[16:31], s[0:1], 0x0
	s_load_b64 s[36:37], s[0:1], 0xb8
	s_cselect_b32 s8, s11, s9
	s_delay_alu instid0(SALU_CYCLE_1) | instskip(NEXT) | instid1(SALU_CYCLE_1)
	s_xor_b32 s8, s8, s3
	s_sub_i32 s38, s8, s3
	s_delay_alu instid0(SALU_CYCLE_1) | instskip(NEXT) | instid1(SALU_CYCLE_1)
	s_abs_i32 s33, s38
	v_cvt_f32_u32_e32 v1, s33
	s_delay_alu instid0(VALU_DEP_1) | instskip(SKIP_4) | instid1(VALU_DEP_1)
	v_rcp_iflag_f32_e32 v1, v1
	s_waitcnt lgkmcnt(0)
	s_cmp_eq_u64 s[22:23], 0
	s_waitcnt_depctr 0xfff
	v_mul_f32_e32 v1, 0x4f7ffffe, v1
	v_cvt_u32_f32_e32 v1, v1
	s_delay_alu instid0(VALU_DEP_1)
	v_readfirstlane_b32 s39, v1
	s_cbranch_scc1 .LBB28_2
; %bb.1:
	s_abs_i32 s3, s36
	s_abs_i32 s10, s12
	v_cvt_f32_u32_e32 v1, s3
	s_sub_i32 s9, 0, s3
	s_delay_alu instid0(VALU_DEP_1) | instskip(SKIP_2) | instid1(VALU_DEP_1)
	v_rcp_iflag_f32_e32 v1, v1
	s_waitcnt_depctr 0xfff
	v_mul_f32_e32 v1, 0x4f7ffffe, v1
	v_cvt_u32_f32_e32 v1, v1
	s_delay_alu instid0(VALU_DEP_1) | instskip(NEXT) | instid1(VALU_DEP_1)
	v_readfirstlane_b32 s8, v1
	s_mul_i32 s9, s9, s8
	s_delay_alu instid0(SALU_CYCLE_1) | instskip(NEXT) | instid1(SALU_CYCLE_1)
	s_mul_hi_u32 s9, s8, s9
	s_add_i32 s11, s8, s9
	s_load_b64 s[8:9], s[0:1], 0xc8
	s_mul_hi_u32 s11, s10, s11
	s_delay_alu instid0(SALU_CYCLE_1) | instskip(NEXT) | instid1(SALU_CYCLE_1)
	s_mul_i32 s11, s11, s3
	s_sub_i32 s10, s10, s11
	s_ashr_i32 s11, s12, 31
	s_sub_i32 s34, s10, s3
	s_cmp_ge_u32 s10, s3
	s_cselect_b32 s10, s34, s10
	s_delay_alu instid0(SALU_CYCLE_1) | instskip(SKIP_2) | instid1(SALU_CYCLE_1)
	s_sub_i32 s34, s10, s3
	s_cmp_ge_u32 s10, s3
	s_cselect_b32 s3, s34, s10
	s_xor_b32 s3, s3, s11
	s_delay_alu instid0(SALU_CYCLE_1)
	s_sub_i32 s3, s3, s11
	s_waitcnt lgkmcnt(0)
	s_mul_i32 s9, s3, s9
	s_mul_hi_u32 s10, s3, s8
	s_ashr_i32 s11, s3, 31
	s_add_i32 s9, s10, s9
	s_mul_i32 s11, s11, s8
	s_mul_i32 s3, s3, s8
	s_add_i32 s9, s9, s11
	s_add_u32 s34, s22, s3
	s_addc_u32 s35, s23, s9
.LBB28_2:
	v_bfe_u32 v1, v0, 10, 10
	s_load_b128 s[8:11], s[0:1], 0x70
	s_delay_alu instid0(VALU_DEP_1) | instskip(SKIP_1) | instid1(VALU_DEP_2)
	v_lshrrev_b32_e32 v2, 3, v1
	v_and_b32_e32 v16, 7, v1
	v_add_nc_u32_e32 v9, s13, v2
	s_delay_alu instid0(VALU_DEP_1) | instskip(SKIP_3) | instid1(VALU_DEP_1)
	v_mul_hi_u32 v2, s4, v9
	s_waitcnt lgkmcnt(0)
	s_mul_i32 s3, s12, s10
	s_mul_i32 s4, s15, s9
	v_add_nc_u32_e32 v2, v9, v2
	s_delay_alu instid0(VALU_DEP_1)
	v_lshrrev_b32_e32 v2, s5, v2
	s_ashr_i32 s5, s3, 31
	s_add_u32 s3, s16, s3
	s_addc_u32 s5, s17, s5
	s_ashr_i32 s10, s4, 31
	v_mul_lo_u32 v2, v2, s6
	s_add_u32 s3, s3, s4
	s_addc_u32 s4, s5, s10
	s_ashr_i32 s5, s9, 31
	s_ashr_i32 s10, s8, 31
	v_alignbit_b32 v5, s5, s9, 2
	v_alignbit_b32 v7, s10, s8, 2
	s_lshr_b32 s5, s5, 2
	v_sub_nc_u32_e32 v2, v9, v2
	s_delay_alu instid0(VALU_DEP_3) | instskip(NEXT) | instid1(VALU_DEP_2)
	v_mad_u64_u32 v[3:4], null, v5, v16, 0
	v_mad_u64_u32 v[5:6], null, v7, v2, 0
	s_delay_alu instid0(VALU_DEP_1) | instskip(SKIP_3) | instid1(VALU_DEP_2)
	v_mad_u64_u32 v[7:8], null, s5, v16, v[4:5]
	s_lshr_b32 s5, s10, 2
	v_and_b32_e32 v8, 0x3ff, v0
	s_cmp_eq_u64 s[26:27], 0
	v_mov_b32_e32 v4, v7
	s_delay_alu instid0(VALU_DEP_4) | instskip(NEXT) | instid1(VALU_DEP_3)
	v_mad_u64_u32 v[10:11], null, s5, v2, v[6:7]
	v_lshlrev_b32_e32 v7, 1, v8
	s_delay_alu instid0(VALU_DEP_3) | instskip(NEXT) | instid1(VALU_DEP_3)
	v_lshlrev_b64 v[3:4], 2, v[3:4]
	v_mov_b32_e32 v6, v10
	s_delay_alu instid0(VALU_DEP_2) | instskip(NEXT) | instid1(VALU_DEP_3)
	v_add_co_u32 v0, vcc_lo, s3, v3
	v_add_co_ci_u32_e32 v3, vcc_lo, s4, v4, vcc_lo
	s_delay_alu instid0(VALU_DEP_3) | instskip(SKIP_2) | instid1(VALU_DEP_2)
	v_lshlrev_b64 v[5:6], 2, v[5:6]
	v_lshlrev_b32_e32 v4, 4, v8
	s_load_b32 s3, s[0:1], 0x40
	v_add_co_u32 v0, vcc_lo, v0, v5
	s_delay_alu instid0(VALU_DEP_3) | instskip(NEXT) | instid1(VALU_DEP_2)
	v_add_co_ci_u32_e32 v3, vcc_lo, v3, v6, vcc_lo
	v_add_co_u32 v14, vcc_lo, v0, v4
	s_delay_alu instid0(VALU_DEP_2)
	v_add_co_ci_u32_e32 v15, vcc_lo, 0, v3, vcc_lo
	v_lshlrev_b32_e32 v0, 8, v1
	s_clause 0x3
	global_load_b128 v[3:6], v[14:15], off
	global_load_b128 v[10:13], v[14:15], off offset:512
	global_load_b128 v[17:20], v[14:15], off offset:1024
	;; [unrolled: 1-line block ×3, first 2 shown]
	v_add_lshl_u32 v0, v7, v0, 2
	s_delay_alu instid0(VALU_DEP_1)
	v_add_nc_u32_e32 v0, 0x2000, v0
	s_waitcnt vmcnt(3) lgkmcnt(0)
	v_fma_mixlo_f16 v14, v3, s3, 0
	v_fma_mixlo_f16 v15, v5, s3, 0
	s_waitcnt vmcnt(2)
	v_fma_mixlo_f16 v25, v10, s3, 0
	v_fma_mixlo_f16 v26, v12, s3, 0
	s_waitcnt vmcnt(1)
	;; [unrolled: 3-line block ×3, first 2 shown]
	v_fma_mixlo_f16 v29, v21, s3, 0
	v_fma_mixlo_f16 v30, v23, s3, 0
	v_fma_mixhi_f16 v15, v6, s3, 0
	v_fma_mixhi_f16 v14, v4, s3, 0
	;; [unrolled: 1-line block ×8, first 2 shown]
	s_mov_b32 s3, 0
	ds_store_2addr_b64 v0, v[14:15], v[25:26] offset0:128 offset1:160
	ds_store_2addr_b64 v0, v[27:28], v[29:30] offset0:192 offset1:224
	s_waitcnt lgkmcnt(0)
	s_barrier
	buffer_gl0_inv
	s_cbranch_scc1 .LBB28_4
; %bb.3:
	s_load_b32 s2, s[0:1], 0xd0
	s_waitcnt lgkmcnt(0)
	s_mul_i32 s2, s2, s12
	s_delay_alu instid0(SALU_CYCLE_1) | instskip(NEXT) | instid1(SALU_CYCLE_1)
	s_add_i32 s2, s2, s13
	s_lshl_b64 s[2:3], s[2:3], 2
	s_delay_alu instid0(SALU_CYCLE_1)
	s_add_u32 s2, s26, s2
	s_addc_u32 s3, s27, s3
	s_load_b32 s2, s[2:3], 0x0
.LBB28_4:
	v_lshlrev_b32_e32 v17, 2, v8
	v_mbcnt_lo_u32_b32 v18, -1, 0
	s_lshl_b32 s3, s14, 6
	s_waitcnt lgkmcnt(0)
	s_cmp_lt_i32 s3, s2
	s_cbranch_scc1 .LBB28_6
; %bb.5:
	v_mbcnt_lo_u32_b32 v10, -1, 0
	v_mov_b32_e32 v3, 32
	s_mov_b32 s4, 0
	s_mov_b32 s5, 0xfeffffff
	s_delay_alu instid0(VALU_DEP_2)
	v_xor_b32_e32 v37, 16, v10
	v_xor_b32_e32 v38, 8, v10
	;; [unrolled: 1-line block ×5, first 2 shown]
	s_branch .LBB28_7
.LBB28_6:
	s_mov_b32 s4, -1
                                        ; implicit-def: $sgpr5
                                        ; implicit-def: $vgpr10
                                        ; implicit-def: $vgpr3
                                        ; implicit-def: $vgpr37
                                        ; implicit-def: $vgpr38
                                        ; implicit-def: $vgpr39
                                        ; implicit-def: $vgpr40
                                        ; implicit-def: $vgpr41
.LBB28_7:
	s_delay_alu instid0(SALU_CYCLE_1) | instskip(SKIP_2) | instid1(VALU_DEP_3)
	v_cndmask_b32_e64 v4, 0, 1, s4
	v_dual_mov_b32 v33, s4 :: v_dual_mov_b32 v0, s4
	v_dual_mov_b32 v15, s5 :: v_dual_mov_b32 v32, s4
	v_cmp_ne_u32_e32 vcc_lo, 1, v4
	v_dual_mov_b32 v35, s4 :: v_dual_mov_b32 v34, s4
	v_dual_mov_b32 v6, s4 :: v_dual_mov_b32 v7, s4
	;; [unrolled: 1-line block ×3, first 2 shown]
	s_cbranch_vccnz .LBB28_20
; %bb.8:
	s_clause 0x1
	s_load_b128 s[8:11], s[0:1], 0x98
	s_load_b64 s[4:5], s[0:1], 0x8c
	s_sub_i32 s13, 0, s33
	s_abs_i32 s16, s15
	s_mul_i32 s13, s13, s39
	s_ashr_i32 s27, s37, 1
	s_mul_hi_u32 s13, s39, s13
	s_ashr_i32 s37, s12, 31
	s_add_i32 s39, s39, s13
	s_ashr_i32 s17, s15, 31
	s_mul_hi_u32 s36, s16, s39
	s_ashr_i32 s26, s38, 31
	s_load_b64 s[22:23], s[0:1], 0xa8
	s_mul_i32 s38, s36, s33
	v_lshrrev_b32_e32 v0, 3, v8
	v_and_b32_e32 v3, 28, v17
	v_dual_mov_b32 v36, 0xfeffffff :: v_dual_lshlrev_b32 v7, 10, v1
	v_lshl_add_u32 v23, v1, 7, 0x4400
	s_delay_alu instid0(VALU_DEP_4)
	v_lshl_add_u32 v0, v1, 2, v0
	s_waitcnt lgkmcnt(0)
	s_mul_i32 s39, s37, s8
	s_ashr_i32 s13, s4, 2
	s_mul_i32 s4, s12, s9
	s_mul_hi_u32 s9, s12, s8
	s_mul_i32 s8, s12, s8
	s_add_i32 s4, s9, s4
	s_ashr_i32 s10, s10, 2
	s_add_i32 s4, s4, s39
	s_add_u32 s9, s18, s8
	s_addc_u32 s4, s19, s4
	s_sub_i32 s8, s16, s38
	s_xor_b32 s17, s17, s26
	s_add_i32 s16, s36, 1
	s_sub_i32 s18, s8, s33
	s_cmp_ge_u32 s8, s33
	v_mul_lo_u32 v10, s10, v1
	s_cselect_b32 s16, s16, s36
	s_cselect_b32 s8, s18, s8
	s_add_i32 s18, s16, 1
	s_cmp_ge_u32 s8, s33
	v_mul_lo_u32 v5, s13, v0
	s_cselect_b32 s16, s18, s16
	v_lshlrev_b32_e32 v4, 2, v3
	s_xor_b32 s16, s16, s17
	v_ashrrev_i32_e32 v11, 31, v10
	s_sub_i32 s17, s16, s17
	s_load_b32 s8, s[0:1], 0x54
	s_mul_i32 s5, s17, s5
	s_mul_i32 s18, s12, s23
	s_mul_hi_u32 s19, s12, s22
	s_ashr_i32 s16, s5, 31
	s_add_u32 s9, s9, s5
	s_mul_i32 s37, s37, s22
	s_addc_u32 s16, s4, s16
	s_add_i32 s4, s19, s18
	s_mul_i32 s5, s12, s22
	v_mad_u32_u24 v19, 0x90, v0, v4
	v_lshlrev_b64 v[0:1], 2, v[10:11]
	s_add_i32 s4, s4, s37
	s_mul_i32 s17, s17, s11
	s_add_u32 s5, s20, s5
	v_lshl_add_u32 v13, s13, 5, v5
	s_addc_u32 s4, s21, s4
	s_ashr_i32 s11, s17, 31
	v_dual_mov_b32 v35, 0 :: v_dual_lshlrev_b32 v12, 2, v17
	s_add_u32 s5, s5, s17
	s_addc_u32 s4, s4, s11
	v_add_co_u32 v0, vcc_lo, s5, v0
	v_ashrrev_i32_e32 v6, 31, v5
	v_ashrrev_i32_e32 v14, 31, v13
	v_dual_mov_b32 v34, 0 :: v_dual_add_nc_u32 v25, v7, v12
	v_add_co_ci_u32_e32 v1, vcc_lo, s4, v1, vcc_lo
	v_mad_u64_u32 v[10:11], null, v2, s27, v[8:9]
	v_add_co_u32 v28, vcc_lo, v0, v12
	v_lshlrev_b64 v[11:12], 2, v[5:6]
	v_lshlrev_b64 v[13:14], 2, v[13:14]
	v_mov_b32_e32 v4, 0
	v_add_nc_u32_e32 v20, 0x1200, v19
	v_dual_mov_b32 v6, 0 :: v_dual_add_nc_u32 v21, 0x2400, v7
	v_mul_u32_u24_e32 v22, 0x90, v8
	v_lshl_add_u32 v24, v8, 1, v23
	v_dual_mov_b32 v33, 0 :: v_dual_add_nc_u32 v26, 0x200, v25
	v_dual_mov_b32 v32, 0 :: v_dual_lshlrev_b32 v27, 3, v8
	v_add_co_ci_u32_e32 v29, vcc_lo, 0, v1, vcc_lo
	v_dual_mov_b32 v31, 0 :: v_dual_lshlrev_b32 v30, 2, v3
	v_mov_b32_e32 v5, 0
	v_mov_b32_e32 v7, 0
	s_add_u32 s4, s0, 0xd0
	s_addc_u32 s5, s1, 0
	s_mov_b32 s11, 0xbbbac73d
.LBB28_9:                               ; =>This Inner Loop Header: Depth=1
	s_mul_hi_i32 s19, s3, s13
	s_mul_i32 s18, s3, s13
	v_mov_b32_e32 v15, 0
	s_lshl_b64 s[18:19], s[18:19], 2
	s_delay_alu instid0(SALU_CYCLE_1)
	s_add_u32 s17, s9, s18
	s_addc_u32 s18, s16, s19
	v_add_co_u32 v0, vcc_lo, s17, v11
	v_add_co_ci_u32_e32 v1, vcc_lo, s18, v12, vcc_lo
	v_add_co_u32 v2, vcc_lo, s17, v13
	v_add_co_ci_u32_e32 v3, vcc_lo, s18, v14, vcc_lo
	s_delay_alu instid0(VALU_DEP_4) | instskip(NEXT) | instid1(VALU_DEP_4)
	v_add_co_u32 v0, vcc_lo, v0, v30
	v_add_co_ci_u32_e32 v1, vcc_lo, 0, v1, vcc_lo
	s_delay_alu instid0(VALU_DEP_4) | instskip(NEXT) | instid1(VALU_DEP_4)
	v_add_co_u32 v2, vcc_lo, v2, v30
	v_add_co_ci_u32_e32 v3, vcc_lo, 0, v3, vcc_lo
	s_clause 0x1
	global_load_b128 v[37:40], v[0:1], off
	global_load_b128 v[41:44], v[2:3], off
	s_waitcnt vmcnt(1)
	ds_store_b128 v19, v[37:40]
	s_waitcnt vmcnt(0)
	ds_store_b128 v20, v[41:44]
	s_waitcnt lgkmcnt(0)
	s_barrier
	buffer_gl0_inv
	ds_load_b128 v[38:41], v22
	ds_load_b128 v[42:45], v21
	ds_load_b128 v[46:49], v22 offset:4608
	v_mov_b32_e32 v37, 0
	s_waitcnt lgkmcnt(1)
	;;#ASMSTART
	v_dot2_f32_f16 v15, v38, v42, v15
	;;#ASMEND
	;;#ASMSTART
	v_dot2_f32_f16 v15, v39, v43, v15
	;;#ASMEND
	;;#ASMSTART
	v_dot2_f32_f16 v15, v40, v44, v15
	;;#ASMEND
	;;#ASMSTART
	v_dot2_f32_f16 v15, v41, v45, v15
	;;#ASMEND
	s_waitcnt lgkmcnt(0)
	;;#ASMSTART
	v_dot2_f32_f16 v37, v46, v42, v37
	;;#ASMEND
	;;#ASMSTART
	v_dot2_f32_f16 v37, v47, v43, v37
	;;#ASMEND
	;;#ASMSTART
	v_dot2_f32_f16 v37, v48, v44, v37
	;;#ASMEND
	;;#ASMSTART
	v_dot2_f32_f16 v37, v49, v45, v37
	;;#ASMEND
	ds_load_b128 v[38:41], v22 offset:16
	ds_load_b128 v[42:45], v21 offset:16
	ds_load_b128 v[46:49], v22 offset:4624
	s_waitcnt lgkmcnt(1)
	;;#ASMSTART
	v_dot2_f32_f16 v15, v38, v42, v15
	;;#ASMEND
	;;#ASMSTART
	v_dot2_f32_f16 v15, v39, v43, v15
	;;#ASMEND
	;;#ASMSTART
	v_dot2_f32_f16 v15, v40, v44, v15
	;;#ASMEND
	;;#ASMSTART
	v_dot2_f32_f16 v15, v41, v45, v15
	;;#ASMEND
	s_waitcnt lgkmcnt(0)
	;;#ASMSTART
	v_dot2_f32_f16 v37, v46, v42, v37
	;;#ASMEND
	;;#ASMSTART
	v_dot2_f32_f16 v37, v47, v43, v37
	;;#ASMEND
	;;#ASMSTART
	v_dot2_f32_f16 v37, v48, v44, v37
	;;#ASMEND
	;;#ASMSTART
	v_dot2_f32_f16 v37, v49, v45, v37
	;;#ASMEND
	ds_load_b128 v[38:41], v22 offset:32
	ds_load_b128 v[42:45], v21 offset:32
	ds_load_b128 v[46:49], v22 offset:4640
	s_waitcnt lgkmcnt(1)
	;;#ASMSTART
	v_dot2_f32_f16 v15, v38, v42, v15
	;;#ASMEND
	;;#ASMSTART
	v_dot2_f32_f16 v15, v39, v43, v15
	;;#ASMEND
	;;#ASMSTART
	v_dot2_f32_f16 v15, v40, v44, v15
	;;#ASMEND
	;;#ASMSTART
	v_dot2_f32_f16 v15, v41, v45, v15
	;;#ASMEND
	s_waitcnt lgkmcnt(0)
	;;#ASMSTART
	v_dot2_f32_f16 v37, v46, v42, v37
	;;#ASMEND
	;;#ASMSTART
	v_dot2_f32_f16 v37, v47, v43, v37
	;;#ASMEND
	;;#ASMSTART
	v_dot2_f32_f16 v37, v48, v44, v37
	;;#ASMEND
	;;#ASMSTART
	v_dot2_f32_f16 v37, v49, v45, v37
	;;#ASMEND
	ds_load_b128 v[38:41], v22 offset:48
	ds_load_b128 v[42:45], v21 offset:48
	ds_load_b128 v[46:49], v22 offset:4656
	s_waitcnt lgkmcnt(1)
	;;#ASMSTART
	v_dot2_f32_f16 v15, v38, v42, v15
	;;#ASMEND
	;;#ASMSTART
	v_dot2_f32_f16 v15, v39, v43, v15
	;;#ASMEND
	;;#ASMSTART
	v_dot2_f32_f16 v15, v40, v44, v15
	;;#ASMEND
	;;#ASMSTART
	v_dot2_f32_f16 v15, v41, v45, v15
	;;#ASMEND
	s_waitcnt lgkmcnt(0)
	;;#ASMSTART
	v_dot2_f32_f16 v37, v46, v42, v37
	;;#ASMEND
	;;#ASMSTART
	v_dot2_f32_f16 v37, v47, v43, v37
	;;#ASMEND
	;;#ASMSTART
	v_dot2_f32_f16 v37, v48, v44, v37
	;;#ASMEND
	;;#ASMSTART
	v_dot2_f32_f16 v37, v49, v45, v37
	;;#ASMEND
	ds_load_b128 v[38:41], v22 offset:64
	ds_load_b128 v[42:45], v21 offset:64
	ds_load_b128 v[46:49], v22 offset:4672
	s_waitcnt lgkmcnt(1)
	;;#ASMSTART
	v_dot2_f32_f16 v15, v38, v42, v15
	;;#ASMEND
	;;#ASMSTART
	v_dot2_f32_f16 v15, v39, v43, v15
	;;#ASMEND
	;;#ASMSTART
	v_dot2_f32_f16 v15, v40, v44, v15
	;;#ASMEND
	;;#ASMSTART
	v_dot2_f32_f16 v15, v41, v45, v15
	;;#ASMEND
	s_waitcnt lgkmcnt(0)
	;;#ASMSTART
	v_dot2_f32_f16 v37, v46, v42, v37
	;;#ASMEND
	;;#ASMSTART
	v_dot2_f32_f16 v37, v47, v43, v37
	;;#ASMEND
	;;#ASMSTART
	v_dot2_f32_f16 v37, v48, v44, v37
	;;#ASMEND
	;;#ASMSTART
	v_dot2_f32_f16 v37, v49, v45, v37
	;;#ASMEND
	ds_load_b128 v[38:41], v22 offset:80
	ds_load_b128 v[42:45], v21 offset:80
	ds_load_b128 v[46:49], v22 offset:4688
	s_waitcnt lgkmcnt(1)
	;;#ASMSTART
	v_dot2_f32_f16 v15, v38, v42, v15
	;;#ASMEND
	;;#ASMSTART
	v_dot2_f32_f16 v15, v39, v43, v15
	;;#ASMEND
	;;#ASMSTART
	v_dot2_f32_f16 v15, v40, v44, v15
	;;#ASMEND
	;;#ASMSTART
	v_dot2_f32_f16 v15, v41, v45, v15
	;;#ASMEND
	s_waitcnt lgkmcnt(0)
	;;#ASMSTART
	v_dot2_f32_f16 v37, v46, v42, v37
	;;#ASMEND
	;;#ASMSTART
	v_dot2_f32_f16 v37, v47, v43, v37
	;;#ASMEND
	;;#ASMSTART
	v_dot2_f32_f16 v37, v48, v44, v37
	;;#ASMEND
	;;#ASMSTART
	v_dot2_f32_f16 v37, v49, v45, v37
	;;#ASMEND
	ds_load_b128 v[38:41], v22 offset:96
	ds_load_b128 v[42:45], v21 offset:96
	ds_load_b128 v[46:49], v22 offset:4704
	s_waitcnt lgkmcnt(1)
	;;#ASMSTART
	v_dot2_f32_f16 v15, v38, v42, v15
	;;#ASMEND
	;;#ASMSTART
	v_dot2_f32_f16 v15, v39, v43, v15
	;;#ASMEND
	;;#ASMSTART
	v_dot2_f32_f16 v15, v40, v44, v15
	;;#ASMEND
	;;#ASMSTART
	v_dot2_f32_f16 v15, v41, v45, v15
	;;#ASMEND
	s_waitcnt lgkmcnt(0)
	;;#ASMSTART
	v_dot2_f32_f16 v37, v46, v42, v37
	;;#ASMEND
	;;#ASMSTART
	v_dot2_f32_f16 v37, v47, v43, v37
	;;#ASMEND
	;;#ASMSTART
	v_dot2_f32_f16 v37, v48, v44, v37
	;;#ASMEND
	;;#ASMSTART
	v_dot2_f32_f16 v37, v49, v45, v37
	;;#ASMEND
	ds_load_b128 v[38:41], v22 offset:112
	ds_load_b128 v[42:45], v21 offset:112
	ds_load_b128 v[46:49], v22 offset:4720
	s_waitcnt lgkmcnt(1)
	;;#ASMSTART
	v_dot2_f32_f16 v15, v38, v42, v15
	;;#ASMEND
	;;#ASMSTART
	v_dot2_f32_f16 v15, v39, v43, v15
	;;#ASMEND
	;;#ASMSTART
	v_dot2_f32_f16 v15, v40, v44, v15
	;;#ASMEND
	;;#ASMSTART
	v_dot2_f32_f16 v15, v41, v45, v15
	;;#ASMEND
	s_waitcnt lgkmcnt(0)
	;;#ASMSTART
	v_dot2_f32_f16 v37, v46, v42, v37
	;;#ASMEND
	;;#ASMSTART
	v_dot2_f32_f16 v37, v47, v43, v37
	;;#ASMEND
	;;#ASMSTART
	v_dot2_f32_f16 v37, v48, v44, v37
	;;#ASMEND
	;;#ASMSTART
	v_dot2_f32_f16 v37, v49, v45, v37
	;;#ASMEND
	s_barrier
	buffer_gl0_inv
	s_clause 0x1
	global_load_b128 v[38:41], v[0:1], off offset:128
	global_load_b128 v[42:45], v[2:3], off offset:128
	s_waitcnt vmcnt(1)
	ds_store_b128 v19, v[38:41]
	s_waitcnt vmcnt(0)
	ds_store_b128 v20, v[42:45]
	s_waitcnt lgkmcnt(0)
	s_barrier
	buffer_gl0_inv
	ds_load_b128 v[38:41], v22
	ds_load_b128 v[42:45], v21 offset:128
	ds_load_b128 v[46:49], v22 offset:4608
	s_waitcnt lgkmcnt(1)
	;;#ASMSTART
	v_dot2_f32_f16 v15, v38, v42, v15
	;;#ASMEND
	;;#ASMSTART
	v_dot2_f32_f16 v15, v39, v43, v15
	;;#ASMEND
	;;#ASMSTART
	v_dot2_f32_f16 v15, v40, v44, v15
	;;#ASMEND
	;;#ASMSTART
	v_dot2_f32_f16 v15, v41, v45, v15
	;;#ASMEND
	s_waitcnt lgkmcnt(0)
	;;#ASMSTART
	v_dot2_f32_f16 v37, v46, v42, v37
	;;#ASMEND
	;;#ASMSTART
	v_dot2_f32_f16 v37, v47, v43, v37
	;;#ASMEND
	;;#ASMSTART
	v_dot2_f32_f16 v37, v48, v44, v37
	;;#ASMEND
	;;#ASMSTART
	v_dot2_f32_f16 v37, v49, v45, v37
	;;#ASMEND
	ds_load_b128 v[38:41], v22 offset:16
	ds_load_b128 v[42:45], v21 offset:144
	ds_load_b128 v[46:49], v22 offset:4624
	s_waitcnt lgkmcnt(1)
	;;#ASMSTART
	v_dot2_f32_f16 v15, v38, v42, v15
	;;#ASMEND
	;;#ASMSTART
	v_dot2_f32_f16 v15, v39, v43, v15
	;;#ASMEND
	;;#ASMSTART
	v_dot2_f32_f16 v15, v40, v44, v15
	;;#ASMEND
	;;#ASMSTART
	v_dot2_f32_f16 v15, v41, v45, v15
	;;#ASMEND
	s_waitcnt lgkmcnt(0)
	;;#ASMSTART
	v_dot2_f32_f16 v37, v46, v42, v37
	;;#ASMEND
	;;#ASMSTART
	v_dot2_f32_f16 v37, v47, v43, v37
	;;#ASMEND
	;;#ASMSTART
	v_dot2_f32_f16 v37, v48, v44, v37
	;;#ASMEND
	;;#ASMSTART
	v_dot2_f32_f16 v37, v49, v45, v37
	;;#ASMEND
	ds_load_b128 v[38:41], v22 offset:32
	;; [unrolled: 29-line block ×7, first 2 shown]
	ds_load_b128 v[42:45], v21 offset:240
	ds_load_b128 v[46:49], v22 offset:4720
	s_waitcnt lgkmcnt(1)
	;;#ASMSTART
	v_dot2_f32_f16 v15, v38, v42, v15
	;;#ASMEND
	;;#ASMSTART
	v_dot2_f32_f16 v15, v39, v43, v15
	;;#ASMEND
	;; [unrolled: 3-line block ×4, first 2 shown]
	s_waitcnt lgkmcnt(0)
	;;#ASMSTART
	v_dot2_f32_f16 v37, v46, v42, v37
	;;#ASMEND
	;;#ASMSTART
	v_dot2_f32_f16 v37, v47, v43, v37
	;;#ASMEND
	;; [unrolled: 3-line block ×4, first 2 shown]
	s_barrier
	buffer_gl0_inv
	s_clause 0x1
	global_load_b128 v[38:41], v[0:1], off offset:256
	global_load_b128 v[42:45], v[2:3], off offset:256
	s_waitcnt vmcnt(1)
	ds_store_b128 v19, v[38:41]
	s_waitcnt vmcnt(0)
	ds_store_b128 v20, v[42:45]
	s_waitcnt lgkmcnt(0)
	s_barrier
	buffer_gl0_inv
	ds_load_b128 v[38:41], v22
	ds_load_b128 v[42:45], v21 offset:256
	ds_load_b128 v[46:49], v22 offset:4608
	s_waitcnt lgkmcnt(1)
	;;#ASMSTART
	v_dot2_f32_f16 v15, v38, v42, v15
	;;#ASMEND
	;;#ASMSTART
	v_dot2_f32_f16 v15, v39, v43, v15
	;;#ASMEND
	;;#ASMSTART
	v_dot2_f32_f16 v15, v40, v44, v15
	;;#ASMEND
	;;#ASMSTART
	v_dot2_f32_f16 v15, v41, v45, v15
	;;#ASMEND
	s_waitcnt lgkmcnt(0)
	;;#ASMSTART
	v_dot2_f32_f16 v37, v46, v42, v37
	;;#ASMEND
	;;#ASMSTART
	v_dot2_f32_f16 v37, v47, v43, v37
	;;#ASMEND
	;;#ASMSTART
	v_dot2_f32_f16 v37, v48, v44, v37
	;;#ASMEND
	;;#ASMSTART
	v_dot2_f32_f16 v37, v49, v45, v37
	;;#ASMEND
	ds_load_b128 v[38:41], v22 offset:16
	ds_load_b128 v[42:45], v21 offset:272
	ds_load_b128 v[46:49], v22 offset:4624
	s_waitcnt lgkmcnt(1)
	;;#ASMSTART
	v_dot2_f32_f16 v15, v38, v42, v15
	;;#ASMEND
	;;#ASMSTART
	v_dot2_f32_f16 v15, v39, v43, v15
	;;#ASMEND
	;;#ASMSTART
	v_dot2_f32_f16 v15, v40, v44, v15
	;;#ASMEND
	;;#ASMSTART
	v_dot2_f32_f16 v15, v41, v45, v15
	;;#ASMEND
	s_waitcnt lgkmcnt(0)
	;;#ASMSTART
	v_dot2_f32_f16 v37, v46, v42, v37
	;;#ASMEND
	;;#ASMSTART
	v_dot2_f32_f16 v37, v47, v43, v37
	;;#ASMEND
	;;#ASMSTART
	v_dot2_f32_f16 v37, v48, v44, v37
	;;#ASMEND
	;;#ASMSTART
	v_dot2_f32_f16 v37, v49, v45, v37
	;;#ASMEND
	ds_load_b128 v[38:41], v22 offset:32
	;; [unrolled: 29-line block ×7, first 2 shown]
	ds_load_b128 v[42:45], v21 offset:368
	ds_load_b128 v[46:49], v22 offset:4720
	s_waitcnt lgkmcnt(1)
	;;#ASMSTART
	v_dot2_f32_f16 v15, v38, v42, v15
	;;#ASMEND
	;;#ASMSTART
	v_dot2_f32_f16 v15, v39, v43, v15
	;;#ASMEND
	;; [unrolled: 3-line block ×4, first 2 shown]
	s_waitcnt lgkmcnt(0)
	;;#ASMSTART
	v_dot2_f32_f16 v37, v46, v42, v37
	;;#ASMEND
	;;#ASMSTART
	v_dot2_f32_f16 v37, v47, v43, v37
	;;#ASMEND
	;; [unrolled: 3-line block ×4, first 2 shown]
	s_barrier
	buffer_gl0_inv
	s_clause 0x1
	global_load_b128 v[38:41], v[0:1], off offset:384
	global_load_b128 v[42:45], v[2:3], off offset:384
	s_waitcnt vmcnt(1)
	ds_store_b128 v19, v[38:41]
	s_waitcnt vmcnt(0)
	ds_store_b128 v20, v[42:45]
	s_waitcnt lgkmcnt(0)
	s_barrier
	buffer_gl0_inv
	ds_load_b128 v[38:41], v22
	ds_load_b128 v[42:45], v21 offset:384
	ds_load_b128 v[46:49], v22 offset:4608
	s_waitcnt lgkmcnt(1)
	;;#ASMSTART
	v_dot2_f32_f16 v15, v38, v42, v15
	;;#ASMEND
	;;#ASMSTART
	v_dot2_f32_f16 v15, v39, v43, v15
	;;#ASMEND
	;;#ASMSTART
	v_dot2_f32_f16 v15, v40, v44, v15
	;;#ASMEND
	;;#ASMSTART
	v_dot2_f32_f16 v15, v41, v45, v15
	;;#ASMEND
	s_waitcnt lgkmcnt(0)
	;;#ASMSTART
	v_dot2_f32_f16 v37, v46, v42, v37
	;;#ASMEND
	;;#ASMSTART
	v_dot2_f32_f16 v37, v47, v43, v37
	;;#ASMEND
	;;#ASMSTART
	v_dot2_f32_f16 v37, v48, v44, v37
	;;#ASMEND
	;;#ASMSTART
	v_dot2_f32_f16 v37, v49, v45, v37
	;;#ASMEND
	ds_load_b128 v[38:41], v22 offset:16
	ds_load_b128 v[42:45], v21 offset:400
	ds_load_b128 v[46:49], v22 offset:4624
	s_waitcnt lgkmcnt(1)
	;;#ASMSTART
	v_dot2_f32_f16 v15, v38, v42, v15
	;;#ASMEND
	;;#ASMSTART
	v_dot2_f32_f16 v15, v39, v43, v15
	;;#ASMEND
	;;#ASMSTART
	v_dot2_f32_f16 v15, v40, v44, v15
	;;#ASMEND
	;;#ASMSTART
	v_dot2_f32_f16 v15, v41, v45, v15
	;;#ASMEND
	s_waitcnt lgkmcnt(0)
	;;#ASMSTART
	v_dot2_f32_f16 v37, v46, v42, v37
	;;#ASMEND
	;;#ASMSTART
	v_dot2_f32_f16 v37, v47, v43, v37
	;;#ASMEND
	;;#ASMSTART
	v_dot2_f32_f16 v37, v48, v44, v37
	;;#ASMEND
	;;#ASMSTART
	v_dot2_f32_f16 v37, v49, v45, v37
	;;#ASMEND
	ds_load_b128 v[38:41], v22 offset:32
	;; [unrolled: 29-line block ×7, first 2 shown]
	ds_load_b128 v[42:45], v21 offset:496
	ds_load_b128 v[46:49], v22 offset:4720
	s_waitcnt lgkmcnt(1)
	;;#ASMSTART
	v_dot2_f32_f16 v15, v38, v42, v15
	;;#ASMEND
	;;#ASMSTART
	v_dot2_f32_f16 v15, v39, v43, v15
	;;#ASMEND
	;; [unrolled: 3-line block ×4, first 2 shown]
	s_waitcnt lgkmcnt(0)
	;;#ASMSTART
	v_dot2_f32_f16 v37, v46, v42, v37
	;;#ASMEND
	;;#ASMSTART
	v_dot2_f32_f16 v37, v47, v43, v37
	;;#ASMEND
	;;#ASMSTART
	v_dot2_f32_f16 v37, v48, v44, v37
	;;#ASMEND
	;;#ASMSTART
	v_dot2_f32_f16 v37, v49, v45, v37
	;;#ASMEND
	s_barrier
	buffer_gl0_inv
	s_clause 0x1
	global_load_b128 v[38:41], v[0:1], off offset:512
	global_load_b128 v[42:45], v[2:3], off offset:512
	s_waitcnt vmcnt(1)
	ds_store_b128 v19, v[38:41]
	s_waitcnt vmcnt(0)
	ds_store_b128 v20, v[42:45]
	s_waitcnt lgkmcnt(0)
	s_barrier
	buffer_gl0_inv
	ds_load_b128 v[38:41], v22
	ds_load_b128 v[42:45], v21 offset:512
	ds_load_b128 v[46:49], v22 offset:4608
	s_waitcnt lgkmcnt(1)
	;;#ASMSTART
	v_dot2_f32_f16 v15, v38, v42, v15
	;;#ASMEND
	;;#ASMSTART
	v_dot2_f32_f16 v15, v39, v43, v15
	;;#ASMEND
	;;#ASMSTART
	v_dot2_f32_f16 v15, v40, v44, v15
	;;#ASMEND
	;;#ASMSTART
	v_dot2_f32_f16 v15, v41, v45, v15
	;;#ASMEND
	s_waitcnt lgkmcnt(0)
	;;#ASMSTART
	v_dot2_f32_f16 v37, v46, v42, v37
	;;#ASMEND
	;;#ASMSTART
	v_dot2_f32_f16 v37, v47, v43, v37
	;;#ASMEND
	;;#ASMSTART
	v_dot2_f32_f16 v37, v48, v44, v37
	;;#ASMEND
	;;#ASMSTART
	v_dot2_f32_f16 v37, v49, v45, v37
	;;#ASMEND
	ds_load_b128 v[38:41], v22 offset:16
	ds_load_b128 v[42:45], v21 offset:528
	ds_load_b128 v[46:49], v22 offset:4624
	s_waitcnt lgkmcnt(1)
	;;#ASMSTART
	v_dot2_f32_f16 v15, v38, v42, v15
	;;#ASMEND
	;;#ASMSTART
	v_dot2_f32_f16 v15, v39, v43, v15
	;;#ASMEND
	;;#ASMSTART
	v_dot2_f32_f16 v15, v40, v44, v15
	;;#ASMEND
	;;#ASMSTART
	v_dot2_f32_f16 v15, v41, v45, v15
	;;#ASMEND
	s_waitcnt lgkmcnt(0)
	;;#ASMSTART
	v_dot2_f32_f16 v37, v46, v42, v37
	;;#ASMEND
	;;#ASMSTART
	v_dot2_f32_f16 v37, v47, v43, v37
	;;#ASMEND
	;;#ASMSTART
	v_dot2_f32_f16 v37, v48, v44, v37
	;;#ASMEND
	;;#ASMSTART
	v_dot2_f32_f16 v37, v49, v45, v37
	;;#ASMEND
	ds_load_b128 v[38:41], v22 offset:32
	;; [unrolled: 29-line block ×7, first 2 shown]
	ds_load_b128 v[42:45], v21 offset:624
	ds_load_b128 v[46:49], v22 offset:4720
	s_waitcnt lgkmcnt(1)
	;;#ASMSTART
	v_dot2_f32_f16 v15, v38, v42, v15
	;;#ASMEND
	;;#ASMSTART
	v_dot2_f32_f16 v15, v39, v43, v15
	;;#ASMEND
	;; [unrolled: 3-line block ×4, first 2 shown]
	s_waitcnt lgkmcnt(0)
	;;#ASMSTART
	v_dot2_f32_f16 v37, v46, v42, v37
	;;#ASMEND
	;;#ASMSTART
	v_dot2_f32_f16 v37, v47, v43, v37
	;;#ASMEND
	;;#ASMSTART
	v_dot2_f32_f16 v37, v48, v44, v37
	;;#ASMEND
	;;#ASMSTART
	v_dot2_f32_f16 v37, v49, v45, v37
	;;#ASMEND
	s_barrier
	buffer_gl0_inv
	s_clause 0x1
	global_load_b128 v[38:41], v[0:1], off offset:640
	global_load_b128 v[42:45], v[2:3], off offset:640
	s_waitcnt vmcnt(1)
	ds_store_b128 v19, v[38:41]
	s_waitcnt vmcnt(0)
	ds_store_b128 v20, v[42:45]
	s_waitcnt lgkmcnt(0)
	s_barrier
	buffer_gl0_inv
	ds_load_b128 v[38:41], v22
	ds_load_b128 v[42:45], v21 offset:640
	ds_load_b128 v[46:49], v22 offset:4608
	s_waitcnt lgkmcnt(1)
	;;#ASMSTART
	v_dot2_f32_f16 v15, v38, v42, v15
	;;#ASMEND
	;;#ASMSTART
	v_dot2_f32_f16 v15, v39, v43, v15
	;;#ASMEND
	;;#ASMSTART
	v_dot2_f32_f16 v15, v40, v44, v15
	;;#ASMEND
	;;#ASMSTART
	v_dot2_f32_f16 v15, v41, v45, v15
	;;#ASMEND
	s_waitcnt lgkmcnt(0)
	;;#ASMSTART
	v_dot2_f32_f16 v37, v46, v42, v37
	;;#ASMEND
	;;#ASMSTART
	v_dot2_f32_f16 v37, v47, v43, v37
	;;#ASMEND
	;;#ASMSTART
	v_dot2_f32_f16 v37, v48, v44, v37
	;;#ASMEND
	;;#ASMSTART
	v_dot2_f32_f16 v37, v49, v45, v37
	;;#ASMEND
	ds_load_b128 v[38:41], v22 offset:16
	ds_load_b128 v[42:45], v21 offset:656
	ds_load_b128 v[46:49], v22 offset:4624
	s_waitcnt lgkmcnt(1)
	;;#ASMSTART
	v_dot2_f32_f16 v15, v38, v42, v15
	;;#ASMEND
	;;#ASMSTART
	v_dot2_f32_f16 v15, v39, v43, v15
	;;#ASMEND
	;;#ASMSTART
	v_dot2_f32_f16 v15, v40, v44, v15
	;;#ASMEND
	;;#ASMSTART
	v_dot2_f32_f16 v15, v41, v45, v15
	;;#ASMEND
	s_waitcnt lgkmcnt(0)
	;;#ASMSTART
	v_dot2_f32_f16 v37, v46, v42, v37
	;;#ASMEND
	;;#ASMSTART
	v_dot2_f32_f16 v37, v47, v43, v37
	;;#ASMEND
	;;#ASMSTART
	v_dot2_f32_f16 v37, v48, v44, v37
	;;#ASMEND
	;;#ASMSTART
	v_dot2_f32_f16 v37, v49, v45, v37
	;;#ASMEND
	ds_load_b128 v[38:41], v22 offset:32
	;; [unrolled: 29-line block ×7, first 2 shown]
	ds_load_b128 v[42:45], v21 offset:752
	ds_load_b128 v[46:49], v22 offset:4720
	s_waitcnt lgkmcnt(1)
	;;#ASMSTART
	v_dot2_f32_f16 v15, v38, v42, v15
	;;#ASMEND
	;;#ASMSTART
	v_dot2_f32_f16 v15, v39, v43, v15
	;;#ASMEND
	;; [unrolled: 3-line block ×4, first 2 shown]
	s_waitcnt lgkmcnt(0)
	;;#ASMSTART
	v_dot2_f32_f16 v37, v46, v42, v37
	;;#ASMEND
	;;#ASMSTART
	v_dot2_f32_f16 v37, v47, v43, v37
	;;#ASMEND
	;; [unrolled: 3-line block ×4, first 2 shown]
	s_barrier
	buffer_gl0_inv
	s_clause 0x1
	global_load_b128 v[38:41], v[0:1], off offset:768
	global_load_b128 v[42:45], v[2:3], off offset:768
	s_waitcnt vmcnt(1)
	ds_store_b128 v19, v[38:41]
	s_waitcnt vmcnt(0)
	ds_store_b128 v20, v[42:45]
	s_waitcnt lgkmcnt(0)
	s_barrier
	buffer_gl0_inv
	ds_load_b128 v[38:41], v22
	ds_load_b128 v[42:45], v21 offset:768
	ds_load_b128 v[46:49], v22 offset:4608
	s_waitcnt lgkmcnt(1)
	;;#ASMSTART
	v_dot2_f32_f16 v15, v38, v42, v15
	;;#ASMEND
	;;#ASMSTART
	v_dot2_f32_f16 v15, v39, v43, v15
	;;#ASMEND
	;;#ASMSTART
	v_dot2_f32_f16 v15, v40, v44, v15
	;;#ASMEND
	;;#ASMSTART
	v_dot2_f32_f16 v15, v41, v45, v15
	;;#ASMEND
	s_waitcnt lgkmcnt(0)
	;;#ASMSTART
	v_dot2_f32_f16 v37, v46, v42, v37
	;;#ASMEND
	;;#ASMSTART
	v_dot2_f32_f16 v37, v47, v43, v37
	;;#ASMEND
	;;#ASMSTART
	v_dot2_f32_f16 v37, v48, v44, v37
	;;#ASMEND
	;;#ASMSTART
	v_dot2_f32_f16 v37, v49, v45, v37
	;;#ASMEND
	ds_load_b128 v[38:41], v22 offset:16
	ds_load_b128 v[42:45], v21 offset:784
	ds_load_b128 v[46:49], v22 offset:4624
	s_waitcnt lgkmcnt(1)
	;;#ASMSTART
	v_dot2_f32_f16 v15, v38, v42, v15
	;;#ASMEND
	;;#ASMSTART
	v_dot2_f32_f16 v15, v39, v43, v15
	;;#ASMEND
	;;#ASMSTART
	v_dot2_f32_f16 v15, v40, v44, v15
	;;#ASMEND
	;;#ASMSTART
	v_dot2_f32_f16 v15, v41, v45, v15
	;;#ASMEND
	s_waitcnt lgkmcnt(0)
	;;#ASMSTART
	v_dot2_f32_f16 v37, v46, v42, v37
	;;#ASMEND
	;;#ASMSTART
	v_dot2_f32_f16 v37, v47, v43, v37
	;;#ASMEND
	;;#ASMSTART
	v_dot2_f32_f16 v37, v48, v44, v37
	;;#ASMEND
	;;#ASMSTART
	v_dot2_f32_f16 v37, v49, v45, v37
	;;#ASMEND
	ds_load_b128 v[38:41], v22 offset:32
	;; [unrolled: 29-line block ×7, first 2 shown]
	ds_load_b128 v[42:45], v21 offset:880
	ds_load_b128 v[46:49], v22 offset:4720
	s_waitcnt lgkmcnt(1)
	;;#ASMSTART
	v_dot2_f32_f16 v15, v38, v42, v15
	;;#ASMEND
	;;#ASMSTART
	v_dot2_f32_f16 v15, v39, v43, v15
	;;#ASMEND
	;; [unrolled: 3-line block ×4, first 2 shown]
	s_waitcnt lgkmcnt(0)
	;;#ASMSTART
	v_dot2_f32_f16 v37, v46, v42, v37
	;;#ASMEND
	;;#ASMSTART
	v_dot2_f32_f16 v37, v47, v43, v37
	;;#ASMEND
	;; [unrolled: 3-line block ×4, first 2 shown]
	s_barrier
	buffer_gl0_inv
	s_clause 0x1
	global_load_b128 v[38:41], v[0:1], off offset:896
	global_load_b128 v[0:3], v[2:3], off offset:896
	s_waitcnt vmcnt(1)
	ds_store_b128 v19, v[38:41]
	s_waitcnt vmcnt(0)
	ds_store_b128 v20, v[0:3]
	s_waitcnt lgkmcnt(0)
	s_barrier
	buffer_gl0_inv
	ds_load_b128 v[0:3], v22
	ds_load_b128 v[38:41], v21 offset:896
	ds_load_b128 v[42:45], v22 offset:4608
	s_waitcnt lgkmcnt(1)
	;;#ASMSTART
	v_dot2_f32_f16 v15, v0, v38, v15
	;;#ASMEND
	;;#ASMSTART
	v_dot2_f32_f16 v15, v1, v39, v15
	;;#ASMEND
	;;#ASMSTART
	v_dot2_f32_f16 v15, v2, v40, v15
	;;#ASMEND
	;;#ASMSTART
	v_dot2_f32_f16 v15, v3, v41, v15
	;;#ASMEND
	s_waitcnt lgkmcnt(0)
	;;#ASMSTART
	v_dot2_f32_f16 v37, v42, v38, v37
	;;#ASMEND
	;;#ASMSTART
	v_dot2_f32_f16 v37, v43, v39, v37
	;;#ASMEND
	;;#ASMSTART
	v_dot2_f32_f16 v37, v44, v40, v37
	;;#ASMEND
	;;#ASMSTART
	v_dot2_f32_f16 v37, v45, v41, v37
	;;#ASMEND
	ds_load_b128 v[0:3], v22 offset:16
	ds_load_b128 v[38:41], v21 offset:912
	ds_load_b128 v[42:45], v22 offset:4624
	s_waitcnt lgkmcnt(1)
	;;#ASMSTART
	v_dot2_f32_f16 v15, v0, v38, v15
	;;#ASMEND
	;;#ASMSTART
	v_dot2_f32_f16 v15, v1, v39, v15
	;;#ASMEND
	;;#ASMSTART
	v_dot2_f32_f16 v15, v2, v40, v15
	;;#ASMEND
	;;#ASMSTART
	v_dot2_f32_f16 v15, v3, v41, v15
	;;#ASMEND
	s_waitcnt lgkmcnt(0)
	;;#ASMSTART
	v_dot2_f32_f16 v37, v42, v38, v37
	;;#ASMEND
	;;#ASMSTART
	v_dot2_f32_f16 v37, v43, v39, v37
	;;#ASMEND
	;;#ASMSTART
	v_dot2_f32_f16 v37, v44, v40, v37
	;;#ASMEND
	;;#ASMSTART
	v_dot2_f32_f16 v37, v45, v41, v37
	;;#ASMEND
	ds_load_b128 v[0:3], v22 offset:32
	;; [unrolled: 29-line block ×7, first 2 shown]
	ds_load_b128 v[38:41], v21 offset:1008
	ds_load_b128 v[42:45], v22 offset:4720
	s_waitcnt lgkmcnt(1)
	;;#ASMSTART
	v_dot2_f32_f16 v15, v0, v38, v15
	;;#ASMEND
	;;#ASMSTART
	v_dot2_f32_f16 v15, v1, v39, v15
	;;#ASMEND
	;; [unrolled: 3-line block ×4, first 2 shown]
	v_cmp_ngt_f32_e64 s17, 0x3f200000, |v15|
	s_waitcnt lgkmcnt(0)
	;;#ASMSTART
	v_dot2_f32_f16 v37, v42, v38, v37
	;;#ASMEND
	;;#ASMSTART
	v_dot2_f32_f16 v37, v43, v39, v37
	;;#ASMEND
	;;#ASMSTART
	v_dot2_f32_f16 v37, v44, v40, v37
	;;#ASMEND
	;;#ASMSTART
	v_dot2_f32_f16 v37, v45, v41, v37
	;;#ASMEND
                                        ; implicit-def: $vgpr2
	s_and_saveexec_b32 s18, s17
	s_delay_alu instid0(SALU_CYCLE_1)
	s_xor_b32 s17, exec_lo, s18
	s_cbranch_execz .LBB28_11
; %bb.10:                               ;   in Loop: Header=BB28_9 Depth=1
	v_add_f32_e64 v0, |v15|, |v15|
	s_delay_alu instid0(VALU_DEP_1) | instskip(SKIP_1) | instid1(VALU_DEP_2)
	v_mul_f32_e32 v1, 0x3fb8aa3b, v0
	v_cmp_ngt_f32_e32 vcc_lo, 0xc2ce8ed0, v0
	v_rndne_f32_e32 v2, v1
	v_fma_f32 v3, 0x3fb8aa3b, v0, -v1
	s_delay_alu instid0(VALU_DEP_2) | instskip(NEXT) | instid1(VALU_DEP_2)
	v_sub_f32_e32 v1, v1, v2
	v_fmac_f32_e32 v3, 0x32a5705f, v0
	v_cvt_i32_f32_e32 v2, v2
	s_delay_alu instid0(VALU_DEP_2) | instskip(NEXT) | instid1(VALU_DEP_1)
	v_add_f32_e32 v1, v1, v3
	v_exp_f32_e32 v1, v1
	s_waitcnt_depctr 0xfff
	v_ldexp_f32 v1, v1, v2
	s_delay_alu instid0(VALU_DEP_1) | instskip(SKIP_1) | instid1(VALU_DEP_2)
	v_cndmask_b32_e32 v1, 0, v1, vcc_lo
	v_cmp_nlt_f32_e32 vcc_lo, 0x42b17218, v0
	v_cndmask_b32_e32 v0, 0x7f800000, v1, vcc_lo
	s_delay_alu instid0(VALU_DEP_1) | instskip(NEXT) | instid1(VALU_DEP_1)
	v_add_f32_e32 v0, 1.0, v0
	v_rcp_f32_e32 v0, v0
	s_waitcnt_depctr 0xfff
	v_fma_f32 v2, v0, -2.0, 1.0
.LBB28_11:                              ;   in Loop: Header=BB28_9 Depth=1
	s_and_not1_saveexec_b32 s17, s17
; %bb.12:                               ;   in Loop: Header=BB28_9 Depth=1
	v_mul_f32_e32 v0, v15, v15
	s_delay_alu instid0(VALU_DEP_1) | instskip(NEXT) | instid1(VALU_DEP_1)
	v_fmaak_f32 v1, s11, v0, 0x3ca908c9
	v_fmaak_f32 v1, v0, v1, 0xbd5c1c4e
	s_delay_alu instid0(VALU_DEP_1) | instskip(NEXT) | instid1(VALU_DEP_1)
	v_fmaak_f32 v1, v0, v1, 0x3e088382
	v_fmaak_f32 v1, v0, v1, 0xbeaaaa99
	s_delay_alu instid0(VALU_DEP_1) | instskip(NEXT) | instid1(VALU_DEP_1)
	v_mul_f32_e64 v1, |v15|, v1
	v_fma_f32 v2, v0, v1, |v15|
; %bb.13:                               ;   in Loop: Header=BB28_9 Depth=1
	s_or_b32 exec_lo, exec_lo, s17
	v_add_nc_u32_e32 v0, s3, v10
	v_cmp_ngt_f32_e64 s17, 0x3f200000, |v37|
                                        ; implicit-def: $vgpr38
	s_delay_alu instid0(VALU_DEP_2) | instskip(NEXT) | instid1(VALU_DEP_1)
	v_ashrrev_i32_e32 v1, 31, v0
	v_lshlrev_b64 v[0:1], 1, v[0:1]
	s_delay_alu instid0(VALU_DEP_1) | instskip(NEXT) | instid1(VALU_DEP_2)
	v_add_co_u32 v0, vcc_lo, s34, v0
	v_add_co_ci_u32_e32 v1, vcc_lo, s35, v1, vcc_lo
	flat_load_u16 v3, v[0:1]
	s_and_saveexec_b32 s18, s17
	s_delay_alu instid0(SALU_CYCLE_1)
	s_xor_b32 s17, exec_lo, s18
	s_cbranch_execz .LBB28_15
; %bb.14:                               ;   in Loop: Header=BB28_9 Depth=1
	v_add_f32_e64 v38, |v37|, |v37|
	s_delay_alu instid0(VALU_DEP_1) | instskip(SKIP_1) | instid1(VALU_DEP_2)
	v_mul_f32_e32 v39, 0x3fb8aa3b, v38
	v_cmp_ngt_f32_e32 vcc_lo, 0xc2ce8ed0, v38
	v_rndne_f32_e32 v40, v39
	v_fma_f32 v41, 0x3fb8aa3b, v38, -v39
	s_delay_alu instid0(VALU_DEP_2) | instskip(NEXT) | instid1(VALU_DEP_2)
	v_sub_f32_e32 v39, v39, v40
	v_fmac_f32_e32 v41, 0x32a5705f, v38
	v_cvt_i32_f32_e32 v40, v40
	s_delay_alu instid0(VALU_DEP_2) | instskip(NEXT) | instid1(VALU_DEP_1)
	v_add_f32_e32 v39, v39, v41
	v_exp_f32_e32 v39, v39
	s_waitcnt_depctr 0xfff
	v_ldexp_f32 v39, v39, v40
	s_delay_alu instid0(VALU_DEP_1) | instskip(SKIP_1) | instid1(VALU_DEP_2)
	v_cndmask_b32_e32 v39, 0, v39, vcc_lo
	v_cmp_nlt_f32_e32 vcc_lo, 0x42b17218, v38
	v_cndmask_b32_e32 v38, 0x7f800000, v39, vcc_lo
	s_delay_alu instid0(VALU_DEP_1) | instskip(NEXT) | instid1(VALU_DEP_1)
	v_add_f32_e32 v38, 1.0, v38
	v_rcp_f32_e32 v38, v38
	s_waitcnt_depctr 0xfff
	v_fma_f32 v38, v38, -2.0, 1.0
.LBB28_15:                              ;   in Loop: Header=BB28_9 Depth=1
	s_and_not1_saveexec_b32 s17, s17
; %bb.16:                               ;   in Loop: Header=BB28_9 Depth=1
	v_mul_f32_e32 v38, v37, v37
	s_delay_alu instid0(VALU_DEP_1) | instskip(NEXT) | instid1(VALU_DEP_1)
	v_fmaak_f32 v39, s11, v38, 0x3ca908c9
	v_fmaak_f32 v39, v38, v39, 0xbd5c1c4e
	s_delay_alu instid0(VALU_DEP_1) | instskip(NEXT) | instid1(VALU_DEP_1)
	v_fmaak_f32 v39, v38, v39, 0x3e088382
	v_fmaak_f32 v39, v38, v39, 0xbeaaaa99
	s_delay_alu instid0(VALU_DEP_1) | instskip(NEXT) | instid1(VALU_DEP_1)
	v_mul_f32_e64 v39, |v37|, v39
	v_fma_f32 v38, v38, v39, |v37|
; %bb.17:                               ;   in Loop: Header=BB28_9 Depth=1
	s_or_b32 exec_lo, exec_lo, s17
	flat_load_u16 v39, v[0:1] offset:64
	s_mul_hi_i32 s19, s3, s10
	s_mul_i32 s18, s3, s10
	s_waitcnt vmcnt(0) lgkmcnt(0)
	s_lshl_b64 s[18:19], s[18:19], 2
	s_barrier
	v_add_co_u32 v0, vcc_lo, v28, s18
	v_add_co_ci_u32_e32 v1, vcc_lo, s19, v29, vcc_lo
	buffer_gl0_inv
	s_clause 0x1
	global_load_b128 v[47:50], v[0:1], off
	global_load_b128 v[51:54], v[0:1], off offset:512
	v_bfi_b32 v0, 0x7fffffff, v2, v15
	v_bfi_b32 v1, 0x7fffffff, v38, v37
	v_xor_b32_e32 v37, 16, v18
	v_xor_b32_e32 v38, 8, v18
	;; [unrolled: 1-line block ×3, first 2 shown]
	v_fma_mix_f32 v0, v0, s8, v3 op_sel_hi:[0,0,1]
	v_xor_b32_e32 v41, 1, v18
	v_cmp_gt_i32_e32 vcc_lo, 32, v37
	s_or_b32 s17, s3, 8
	s_delay_alu instid0(VALU_DEP_3)
	v_add_f32_e32 v3, 0x40051340, v0
	s_mul_hi_i32 s19, s17, s10
	v_cndmask_b32_e32 v2, v18, v37, vcc_lo
	v_cmp_gt_i32_e32 vcc_lo, 32, v38
	s_mul_i32 s18, s17, s10
	s_or_b32 s17, s3, 16
	s_lshl_b64 s[18:19], s[18:19], 2
	v_lshlrev_b32_e32 v2, 2, v2
	v_fma_mix_f32 v1, v1, s8, v39 op_sel_hi:[0,0,1]
	v_xor_b32_e32 v39, 4, v18
	s_delay_alu instid0(VALU_DEP_2) | instskip(NEXT) | instid1(VALU_DEP_1)
	v_add_f32_e32 v15, 0x40051340, v1
	v_max3_f32 v3, v36, v3, v15
	v_cndmask_b32_e32 v15, v18, v38, vcc_lo
	s_delay_alu instid0(VALU_DEP_4) | instskip(SKIP_3) | instid1(VALU_DEP_1)
	v_cmp_gt_i32_e32 vcc_lo, 32, v39
	ds_bpermute_b32 v2, v2, v3
	s_waitcnt lgkmcnt(0)
	v_dual_max_f32 v2, v2, v2 :: v_dual_lshlrev_b32 v15, 2, v15
	v_max_f32_e32 v2, v3, v2
	ds_bpermute_b32 v3, v15, v2
	v_cndmask_b32_e32 v15, v18, v39, vcc_lo
	v_cmp_gt_i32_e32 vcc_lo, 32, v40
	s_delay_alu instid0(VALU_DEP_2) | instskip(SKIP_2) | instid1(VALU_DEP_1)
	v_lshlrev_b32_e32 v15, 2, v15
	s_waitcnt lgkmcnt(0)
	v_max_f32_e32 v3, v3, v3
	v_max_f32_e32 v2, v2, v3
	ds_bpermute_b32 v3, v15, v2
	v_cndmask_b32_e32 v15, v18, v40, vcc_lo
	v_cmp_gt_i32_e32 vcc_lo, 32, v41
	s_delay_alu instid0(VALU_DEP_2) | instskip(SKIP_2) | instid1(VALU_DEP_1)
	v_lshlrev_b32_e32 v15, 2, v15
	s_waitcnt lgkmcnt(0)
	v_max_f32_e32 v3, v3, v3
	v_max_f32_e32 v2, v2, v3
	ds_bpermute_b32 v3, v15, v2
	v_cndmask_b32_e32 v15, v18, v41, vcc_lo
	s_delay_alu instid0(VALU_DEP_1) | instskip(SKIP_2) | instid1(VALU_DEP_1)
	v_lshlrev_b32_e32 v15, 2, v15
	s_waitcnt lgkmcnt(0)
	v_max_f32_e32 v3, v3, v3
	v_max_f32_e32 v2, v2, v3
	ds_bpermute_b32 v3, v15, v2
	s_waitcnt lgkmcnt(0)
	v_max_f32_e32 v3, v3, v3
	s_delay_alu instid0(VALU_DEP_1) | instskip(NEXT) | instid1(VALU_DEP_1)
	v_max_f32_e32 v15, v2, v3
	v_sub_f32_e32 v0, v0, v15
	v_sub_f32_e32 v1, v1, v15
	;; [unrolled: 1-line block ×3, first 2 shown]
	s_delay_alu instid0(VALU_DEP_2) | instskip(SKIP_1) | instid1(VALU_DEP_3)
	v_dual_mul_f32 v2, 0x3fb8aa3b, v0 :: v_dual_mul_f32 v3, 0x3fb8aa3b, v1
	v_cmp_ngt_f32_e32 vcc_lo, 0xc2ce8ed0, v0
	v_mul_f32_e32 v119, 0x3fb8aa3b, v36
	s_delay_alu instid0(VALU_DEP_3)
	v_fma_f32 v42, 0x3fb8aa3b, v0, -v2
	v_rndne_f32_e32 v43, v2
	v_fma_f32 v44, 0x3fb8aa3b, v1, -v3
	v_rndne_f32_e32 v45, v3
	v_rndne_f32_e32 v121, v119
	v_fmac_f32_e32 v42, 0x32a5705f, v0
	v_sub_f32_e32 v2, v2, v43
	v_fmac_f32_e32 v44, 0x32a5705f, v1
	v_sub_f32_e32 v3, v3, v45
	v_cvt_i32_f32_e32 v45, v45
	v_fma_f32 v120, 0x3fb8aa3b, v36, -v119
	v_add_f32_e32 v2, v2, v42
	v_cvt_i32_f32_e32 v42, v43
	v_dual_add_f32 v3, v3, v44 :: v_dual_add_nc_u32 v44, 0x800, v27
	v_add_nc_u32_e32 v43, 0x1000, v27
	s_delay_alu instid0(VALU_DEP_4) | instskip(SKIP_1) | instid1(VALU_DEP_3)
	v_exp_f32_e32 v2, v2
	v_fmac_f32_e32 v120, 0x32a5705f, v36
	v_exp_f32_e32 v3, v3
	v_sub_f32_e32 v119, v119, v121
	s_delay_alu instid0(VALU_DEP_1)
	v_add_f32_e32 v119, v119, v120
	v_cvt_i32_f32_e32 v120, v121
	s_waitcnt_depctr 0xfff
	v_ldexp_f32 v2, v2, v42
	v_add_nc_u32_e32 v42, 0x1800, v27
	v_ldexp_f32 v3, v3, v45
	v_exp_f32_e32 v119, v119
	s_delay_alu instid0(VALU_DEP_3) | instskip(SKIP_1) | instid1(VALU_DEP_3)
	v_cndmask_b32_e32 v2, 0, v2, vcc_lo
	v_cmp_ngt_f32_e32 vcc_lo, 0xc2ce8ed0, v1
	v_cndmask_b32_e32 v3, 0, v3, vcc_lo
	v_cmp_nlt_f32_e32 vcc_lo, 0x42b17218, v0
	s_waitcnt_depctr 0xfff
	v_ldexp_f32 v119, v119, v120
	v_cndmask_b32_e32 v45, 0x7f800000, v2, vcc_lo
	v_cmp_nlt_f32_e32 vcc_lo, 0x42b17218, v1
	s_delay_alu instid0(VALU_DEP_2) | instskip(SKIP_3) | instid1(VALU_DEP_3)
	v_cvt_f16_f32_e32 v0, v45
	v_cndmask_b32_e32 v46, 0x7f800000, v3, vcc_lo
	v_add_co_u32 v115, vcc_lo, v28, s18
	v_add_co_ci_u32_e32 v116, vcc_lo, s19, v29, vcc_lo
	v_cvt_f16_f32_e32 v1, v46
	ds_store_b16 v24, v0
	ds_store_b16 v24, v1 offset:64
	s_waitcnt vmcnt(1)
	ds_store_b128 v25, v[47:50]
	s_waitcnt vmcnt(0)
	ds_store_b128 v26, v[51:54]
	s_waitcnt lgkmcnt(0)
	s_barrier
	buffer_gl0_inv
	ds_load_2addr_b64 v[0:3], v27 offset1:32
	ds_load_b128 v[47:50], v23
	ds_load_2addr_b64 v[51:54], v27 offset0:64 offset1:96
	ds_load_2addr_b64 v[55:58], v27 offset0:128 offset1:160
	ds_load_2addr_b64 v[59:62], v27 offset0:192 offset1:224
	ds_load_2addr_b64 v[63:66], v44 offset1:32
	ds_load_2addr_b64 v[67:70], v44 offset0:64 offset1:96
	ds_load_2addr_b64 v[71:74], v44 offset0:128 offset1:160
	ds_load_2addr_b64 v[75:78], v44 offset0:192 offset1:224
	ds_load_2addr_b64 v[79:82], v43 offset1:32
	;; [unrolled: 4-line block ×3, first 2 shown]
	ds_load_2addr_b64 v[99:102], v42 offset0:64 offset1:96
	ds_load_2addr_b64 v[103:106], v42 offset0:128 offset1:160
	;; [unrolled: 1-line block ×3, first 2 shown]
	s_waitcnt lgkmcnt(0)
	s_barrier
	buffer_gl0_inv
	s_clause 0x1
	global_load_b128 v[111:114], v[115:116], off
	global_load_b128 v[115:118], v[115:116], off offset:512
	v_cmp_ngt_f32_e32 vcc_lo, 0xc2ce8ed0, v36
	v_pk_mul_f16 v0, v0, v47 op_sel_hi:[1,0]
	v_pk_mul_f16 v1, v1, v47 op_sel_hi:[1,0]
	s_mul_hi_i32 s19, s17, s10
	s_mul_i32 s18, s17, s10
	v_cndmask_b32_e32 v119, 0, v119, vcc_lo
	v_cmp_nlt_f32_e32 vcc_lo, 0x42b17218, v36
	s_lshl_b64 s[18:19], s[18:19], 2
	s_or_b32 s17, s3, 24
	s_waitcnt vmcnt(1)
	ds_store_b128 v25, v[111:114]
	s_waitcnt vmcnt(0)
	ds_store_b128 v26, v[115:118]
	v_cndmask_b32_e32 v36, 0x7f800000, v119, vcc_lo
	v_add_co_u32 v119, vcc_lo, v28, s18
	v_add_co_ci_u32_e32 v120, vcc_lo, s19, v29, vcc_lo
	s_delay_alu instid0(VALU_DEP_3)
	v_cvt_f16_f32_e32 v121, v36
	s_waitcnt lgkmcnt(0)
	s_barrier
	buffer_gl0_inv
	s_mul_hi_i32 s19, s17, s10
	v_pk_mul_f16 v32, v121, v32 op_sel_hi:[0,1]
	v_pk_mul_f16 v34, v121, v34 op_sel_hi:[0,1]
	;; [unrolled: 1-line block ×6, first 2 shown]
	v_pk_fma_f16 v2, v2, v47, v32 op_sel_hi:[1,0,1]
	v_pk_fma_f16 v3, v3, v47, v34 op_sel_hi:[1,0,1]
	v_pk_fma_f16 v0, v33, v121, v0 op_sel_hi:[1,0,1]
	v_pk_fma_f16 v1, v35, v121, v1 op_sel_hi:[1,0,1]
	v_pk_fma_f16 v6, v51, v47, v6 op_sel_hi:[1,0,1]
	v_pk_fma_f16 v7, v52, v47, v7 op_sel_hi:[1,0,1]
	v_pk_fma_f16 v5, v53, v47, v5 op_sel_hi:[1,0,1]
	v_pk_fma_f16 v4, v54, v47, v4 op_sel_hi:[1,0,1]
	v_pk_fma_f16 v2, v57, v47, v2 op_sel:[0,1,0]
	v_pk_fma_f16 v3, v58, v47, v3 op_sel:[0,1,0]
	v_pk_fma_f16 v0, v55, v47, v0 op_sel:[0,1,0]
	v_pk_fma_f16 v1, v56, v47, v1 op_sel:[0,1,0]
	v_pk_fma_f16 v6, v59, v47, v6 op_sel:[0,1,0]
	v_pk_fma_f16 v7, v60, v47, v7 op_sel:[0,1,0]
	v_pk_fma_f16 v5, v61, v47, v5 op_sel:[0,1,0]
	v_pk_fma_f16 v4, v62, v47, v4 op_sel:[0,1,0]
	v_pk_fma_f16 v2, v65, v48, v2 op_sel_hi:[1,0,1]
	v_pk_fma_f16 v3, v66, v48, v3 op_sel_hi:[1,0,1]
	v_pk_fma_f16 v0, v63, v48, v0 op_sel_hi:[1,0,1]
	v_pk_fma_f16 v1, v64, v48, v1 op_sel_hi:[1,0,1]
	v_pk_fma_f16 v6, v67, v48, v6 op_sel_hi:[1,0,1]
	v_pk_fma_f16 v7, v68, v48, v7 op_sel_hi:[1,0,1]
	v_pk_fma_f16 v5, v69, v48, v5 op_sel_hi:[1,0,1]
	v_pk_fma_f16 v4, v70, v48, v4 op_sel_hi:[1,0,1]
	v_pk_fma_f16 v2, v73, v48, v2 op_sel:[0,1,0]
	v_pk_fma_f16 v3, v74, v48, v3 op_sel:[0,1,0]
	v_pk_fma_f16 v0, v71, v48, v0 op_sel:[0,1,0]
	v_pk_fma_f16 v1, v72, v48, v1 op_sel:[0,1,0]
	v_pk_fma_f16 v6, v75, v48, v6 op_sel:[0,1,0]
	v_pk_fma_f16 v7, v76, v48, v7 op_sel:[0,1,0]
	v_pk_fma_f16 v5, v77, v48, v5 op_sel:[0,1,0]
	v_pk_fma_f16 v4, v78, v48, v4 op_sel:[0,1,0]
	;; [unrolled: 16-line block ×3, first 2 shown]
	v_pk_fma_f16 v2, v97, v50, v2 op_sel_hi:[1,0,1]
	v_pk_fma_f16 v3, v98, v50, v3 op_sel_hi:[1,0,1]
	;; [unrolled: 1-line block ×8, first 2 shown]
	v_pk_fma_f16 v122, v105, v50, v2 op_sel:[0,1,0]
	v_pk_fma_f16 v123, v106, v50, v3 op_sel:[0,1,0]
	;; [unrolled: 1-line block ×4, first 2 shown]
	ds_load_2addr_b64 v[0:3], v27 offset1:32
	ds_load_b128 v[4:7], v23 offset:16
	ds_load_2addr_b64 v[32:35], v27 offset0:64 offset1:96
	ds_load_2addr_b64 v[51:54], v27 offset0:128 offset1:160
	ds_load_2addr_b64 v[55:58], v27 offset0:192 offset1:224
	ds_load_2addr_b64 v[59:62], v44 offset1:32
	ds_load_2addr_b64 v[63:66], v44 offset0:64 offset1:96
	ds_load_2addr_b64 v[67:70], v44 offset0:128 offset1:160
	ds_load_2addr_b64 v[71:74], v44 offset0:192 offset1:224
	ds_load_2addr_b64 v[75:78], v43 offset1:32
	;; [unrolled: 4-line block ×3, first 2 shown]
	ds_load_2addr_b64 v[95:98], v42 offset0:64 offset1:96
	ds_load_2addr_b64 v[99:102], v42 offset0:128 offset1:160
	;; [unrolled: 1-line block ×3, first 2 shown]
	s_waitcnt lgkmcnt(0)
	s_barrier
	buffer_gl0_inv
	s_clause 0x1
	global_load_b128 v[111:114], v[119:120], off
	global_load_b128 v[115:118], v[119:120], off offset:512
	v_pk_fma_f16 v47, v107, v50, v47 op_sel:[0,1,0]
	v_pk_fma_f16 v48, v108, v50, v48 op_sel:[0,1,0]
	;; [unrolled: 1-line block ×4, first 2 shown]
	v_pk_fma_f16 v0, v0, v4, v124 op_sel_hi:[1,0,1]
	v_pk_fma_f16 v1, v1, v4, v125 op_sel_hi:[1,0,1]
	;; [unrolled: 1-line block ×8, first 2 shown]
	v_pk_fma_f16 v0, v51, v4, v0 op_sel:[0,1,0]
	v_pk_fma_f16 v1, v52, v4, v1 op_sel:[0,1,0]
	;; [unrolled: 1-line block ×8, first 2 shown]
	v_pk_fma_f16 v0, v59, v5, v0 op_sel_hi:[1,0,1]
	v_pk_fma_f16 v1, v60, v5, v1 op_sel_hi:[1,0,1]
	;; [unrolled: 1-line block ×8, first 2 shown]
	v_pk_fma_f16 v0, v67, v5, v0 op_sel:[0,1,0]
	v_pk_fma_f16 v1, v68, v5, v1 op_sel:[0,1,0]
	;; [unrolled: 1-line block ×8, first 2 shown]
	v_pk_fma_f16 v0, v75, v6, v0 op_sel_hi:[1,0,1]
	v_pk_fma_f16 v1, v76, v6, v1 op_sel_hi:[1,0,1]
	;; [unrolled: 1-line block ×4, first 2 shown]
	s_mul_i32 s18, s17, s10
	v_pk_fma_f16 v5, v79, v6, v32 op_sel_hi:[1,0,1]
	v_pk_fma_f16 v32, v80, v6, v33 op_sel_hi:[1,0,1]
	;; [unrolled: 1-line block ×4, first 2 shown]
	v_pk_fma_f16 v0, v83, v6, v0 op_sel:[0,1,0]
	v_pk_fma_f16 v1, v84, v6, v1 op_sel:[0,1,0]
	;; [unrolled: 1-line block ×4, first 2 shown]
	s_lshl_b64 s[18:19], s[18:19], 2
	v_pk_fma_f16 v5, v87, v6, v5 op_sel:[0,1,0]
	v_add_co_u32 v119, vcc_lo, v28, s18
	v_add_co_ci_u32_e32 v120, vcc_lo, s19, v29, vcc_lo
	v_pk_fma_f16 v32, v88, v6, v32 op_sel:[0,1,0]
	v_pk_fma_f16 v33, v89, v6, v33 op_sel:[0,1,0]
	;; [unrolled: 1-line block ×3, first 2 shown]
	v_pk_fma_f16 v0, v91, v7, v0 op_sel_hi:[1,0,1]
	v_pk_fma_f16 v1, v92, v7, v1 op_sel_hi:[1,0,1]
	;; [unrolled: 1-line block ×8, first 2 shown]
	v_pk_fma_f16 v122, v99, v7, v0 op_sel:[0,1,0]
	v_pk_fma_f16 v123, v100, v7, v1 op_sel:[0,1,0]
	;; [unrolled: 1-line block ×8, first 2 shown]
	s_or_b32 s17, s3, 32
	s_waitcnt vmcnt(1)
	ds_store_b128 v25, v[111:114]
	s_waitcnt vmcnt(0)
	ds_store_b128 v26, v[115:118]
	s_waitcnt lgkmcnt(0)
	s_barrier
	buffer_gl0_inv
	ds_load_2addr_b64 v[0:3], v27 offset1:32
	ds_load_b128 v[32:35], v23 offset:32
	ds_load_2addr_b64 v[47:50], v27 offset0:64 offset1:96
	ds_load_2addr_b64 v[51:54], v27 offset0:128 offset1:160
	ds_load_2addr_b64 v[55:58], v27 offset0:192 offset1:224
	ds_load_2addr_b64 v[59:62], v44 offset1:32
	ds_load_2addr_b64 v[63:66], v44 offset0:64 offset1:96
	ds_load_2addr_b64 v[67:70], v44 offset0:128 offset1:160
	ds_load_2addr_b64 v[71:74], v44 offset0:192 offset1:224
	ds_load_2addr_b64 v[75:78], v43 offset1:32
	;; [unrolled: 4-line block ×3, first 2 shown]
	ds_load_2addr_b64 v[95:98], v42 offset0:64 offset1:96
	ds_load_2addr_b64 v[99:102], v42 offset0:128 offset1:160
	ds_load_2addr_b64 v[107:110], v42 offset0:192 offset1:224
	s_waitcnt lgkmcnt(0)
	s_barrier
	buffer_gl0_inv
	s_clause 0x1
	global_load_b128 v[111:114], v[119:120], off
	global_load_b128 v[115:118], v[119:120], off offset:512
	v_pk_fma_f16 v0, v0, v32, v122 op_sel_hi:[1,0,1]
	v_pk_fma_f16 v1, v1, v32, v123 op_sel_hi:[1,0,1]
	;; [unrolled: 1-line block ×8, first 2 shown]
	v_pk_fma_f16 v0, v51, v32, v0 op_sel:[0,1,0]
	v_pk_fma_f16 v1, v52, v32, v1 op_sel:[0,1,0]
	;; [unrolled: 1-line block ×8, first 2 shown]
	v_pk_fma_f16 v0, v59, v33, v0 op_sel_hi:[1,0,1]
	v_pk_fma_f16 v1, v60, v33, v1 op_sel_hi:[1,0,1]
	;; [unrolled: 1-line block ×8, first 2 shown]
	v_pk_fma_f16 v0, v67, v33, v0 op_sel:[0,1,0]
	v_pk_fma_f16 v1, v68, v33, v1 op_sel:[0,1,0]
	;; [unrolled: 1-line block ×8, first 2 shown]
	v_pk_fma_f16 v0, v75, v34, v0 op_sel_hi:[1,0,1]
	v_pk_fma_f16 v1, v76, v34, v1 op_sel_hi:[1,0,1]
	;; [unrolled: 1-line block ×4, first 2 shown]
	s_mul_hi_i32 s19, s17, s10
	s_mul_i32 s18, s17, s10
	v_pk_fma_f16 v5, v79, v34, v5 op_sel_hi:[1,0,1]
	v_pk_fma_f16 v6, v80, v34, v6 op_sel_hi:[1,0,1]
	;; [unrolled: 1-line block ×4, first 2 shown]
	v_pk_fma_f16 v0, v83, v34, v0 op_sel:[0,1,0]
	v_pk_fma_f16 v1, v84, v34, v1 op_sel:[0,1,0]
	;; [unrolled: 1-line block ×4, first 2 shown]
	s_lshl_b64 s[18:19], s[18:19], 2
	v_pk_fma_f16 v5, v87, v34, v5 op_sel:[0,1,0]
	v_add_co_u32 v119, vcc_lo, v28, s18
	v_add_co_ci_u32_e32 v120, vcc_lo, s19, v29, vcc_lo
	v_pk_fma_f16 v6, v88, v34, v6 op_sel:[0,1,0]
	v_pk_fma_f16 v7, v89, v34, v7 op_sel:[0,1,0]
	;; [unrolled: 1-line block ×3, first 2 shown]
	v_pk_fma_f16 v0, v91, v35, v0 op_sel_hi:[1,0,1]
	v_pk_fma_f16 v1, v92, v35, v1 op_sel_hi:[1,0,1]
	v_pk_fma_f16 v2, v93, v35, v2 op_sel_hi:[1,0,1]
	v_pk_fma_f16 v3, v94, v35, v3 op_sel_hi:[1,0,1]
	v_pk_fma_f16 v32, v95, v35, v5 op_sel_hi:[1,0,1]
	v_pk_fma_f16 v33, v96, v35, v6 op_sel_hi:[1,0,1]
	v_pk_fma_f16 v34, v97, v35, v7 op_sel_hi:[1,0,1]
	v_pk_fma_f16 v121, v98, v35, v4 op_sel_hi:[1,0,1]
	v_pk_fma_f16 v122, v99, v35, v0 op_sel:[0,1,0]
	v_pk_fma_f16 v123, v100, v35, v1 op_sel:[0,1,0]
	;; [unrolled: 1-line block ×8, first 2 shown]
	s_or_b32 s17, s3, 40
	s_waitcnt vmcnt(1)
	ds_store_b128 v25, v[111:114]
	s_waitcnt vmcnt(0)
	ds_store_b128 v26, v[115:118]
	s_waitcnt lgkmcnt(0)
	s_barrier
	buffer_gl0_inv
	ds_load_2addr_b64 v[0:3], v27 offset1:32
	ds_load_b128 v[47:50], v23 offset:48
	ds_load_2addr_b64 v[4:7], v27 offset0:64 offset1:96
	ds_load_2addr_b64 v[51:54], v27 offset0:128 offset1:160
	ds_load_2addr_b64 v[55:58], v27 offset0:192 offset1:224
	ds_load_2addr_b64 v[59:62], v44 offset1:32
	ds_load_2addr_b64 v[63:66], v44 offset0:64 offset1:96
	ds_load_2addr_b64 v[67:70], v44 offset0:128 offset1:160
	ds_load_2addr_b64 v[71:74], v44 offset0:192 offset1:224
	ds_load_2addr_b64 v[75:78], v43 offset1:32
	;; [unrolled: 4-line block ×3, first 2 shown]
	ds_load_2addr_b64 v[95:98], v42 offset0:64 offset1:96
	ds_load_2addr_b64 v[99:102], v42 offset0:128 offset1:160
	;; [unrolled: 1-line block ×3, first 2 shown]
	s_waitcnt lgkmcnt(0)
	s_barrier
	buffer_gl0_inv
	s_clause 0x1
	global_load_b128 v[111:114], v[119:120], off
	global_load_b128 v[115:118], v[119:120], off offset:512
	v_pk_fma_f16 v0, v0, v47, v122 op_sel_hi:[1,0,1]
	v_pk_fma_f16 v1, v1, v47, v123 op_sel_hi:[1,0,1]
	;; [unrolled: 1-line block ×8, first 2 shown]
	v_pk_fma_f16 v0, v51, v47, v0 op_sel:[0,1,0]
	v_pk_fma_f16 v1, v52, v47, v1 op_sel:[0,1,0]
	;; [unrolled: 1-line block ×8, first 2 shown]
	v_pk_fma_f16 v0, v59, v48, v0 op_sel_hi:[1,0,1]
	v_pk_fma_f16 v1, v60, v48, v1 op_sel_hi:[1,0,1]
	;; [unrolled: 1-line block ×8, first 2 shown]
	v_pk_fma_f16 v0, v67, v48, v0 op_sel:[0,1,0]
	v_pk_fma_f16 v1, v68, v48, v1 op_sel:[0,1,0]
	;; [unrolled: 1-line block ×8, first 2 shown]
	v_pk_fma_f16 v0, v75, v49, v0 op_sel_hi:[1,0,1]
	v_pk_fma_f16 v1, v76, v49, v1 op_sel_hi:[1,0,1]
	;; [unrolled: 1-line block ×4, first 2 shown]
	s_mul_hi_i32 s19, s17, s10
	s_mul_i32 s18, s17, s10
	v_pk_fma_f16 v4, v79, v49, v4 op_sel_hi:[1,0,1]
	v_pk_fma_f16 v5, v80, v49, v5 op_sel_hi:[1,0,1]
	;; [unrolled: 1-line block ×4, first 2 shown]
	v_pk_fma_f16 v0, v83, v49, v0 op_sel:[0,1,0]
	v_pk_fma_f16 v1, v84, v49, v1 op_sel:[0,1,0]
	;; [unrolled: 1-line block ×4, first 2 shown]
	s_lshl_b64 s[18:19], s[18:19], 2
	v_pk_fma_f16 v4, v87, v49, v4 op_sel:[0,1,0]
	v_add_co_u32 v119, vcc_lo, v28, s18
	v_add_co_ci_u32_e32 v120, vcc_lo, s19, v29, vcc_lo
	v_pk_fma_f16 v5, v88, v49, v5 op_sel:[0,1,0]
	v_pk_fma_f16 v6, v89, v49, v6 op_sel:[0,1,0]
	v_pk_fma_f16 v7, v90, v49, v7 op_sel:[0,1,0]
	v_pk_fma_f16 v0, v91, v50, v0 op_sel_hi:[1,0,1]
	v_pk_fma_f16 v1, v92, v50, v1 op_sel_hi:[1,0,1]
	;; [unrolled: 1-line block ×8, first 2 shown]
	v_pk_fma_f16 v122, v99, v50, v0 op_sel:[0,1,0]
	v_pk_fma_f16 v123, v100, v50, v1 op_sel:[0,1,0]
	;; [unrolled: 1-line block ×8, first 2 shown]
	s_or_b32 s17, s3, 48
	s_waitcnt vmcnt(1)
	ds_store_b128 v25, v[111:114]
	s_waitcnt vmcnt(0)
	ds_store_b128 v26, v[115:118]
	s_waitcnt lgkmcnt(0)
	s_barrier
	buffer_gl0_inv
	ds_load_2addr_b64 v[32:35], v27 offset1:32
	ds_load_b128 v[0:3], v23 offset:64
	ds_load_2addr_b64 v[51:54], v27 offset0:64 offset1:96
	ds_load_2addr_b64 v[55:58], v27 offset0:128 offset1:160
	ds_load_2addr_b64 v[59:62], v27 offset0:192 offset1:224
	ds_load_2addr_b64 v[63:66], v44 offset1:32
	ds_load_2addr_b64 v[67:70], v44 offset0:64 offset1:96
	ds_load_2addr_b64 v[71:74], v44 offset0:128 offset1:160
	ds_load_2addr_b64 v[75:78], v44 offset0:192 offset1:224
	ds_load_2addr_b64 v[79:82], v43 offset1:32
	;; [unrolled: 4-line block ×3, first 2 shown]
	ds_load_2addr_b64 v[99:102], v42 offset0:64 offset1:96
	ds_load_2addr_b64 v[107:110], v42 offset0:128 offset1:160
	;; [unrolled: 1-line block ×3, first 2 shown]
	s_waitcnt lgkmcnt(0)
	s_barrier
	buffer_gl0_inv
	s_clause 0x1
	global_load_b128 v[111:114], v[119:120], off
	global_load_b128 v[115:118], v[119:120], off offset:512
	v_pk_fma_f16 v32, v32, v0, v122 op_sel_hi:[1,0,1]
	v_pk_fma_f16 v33, v33, v0, v123 op_sel_hi:[1,0,1]
	v_pk_fma_f16 v34, v34, v0, v124 op_sel_hi:[1,0,1]
	v_pk_fma_f16 v35, v35, v0, v125 op_sel_hi:[1,0,1]
	v_pk_fma_f16 v47, v51, v0, v47 op_sel_hi:[1,0,1]
	v_pk_fma_f16 v48, v52, v0, v48 op_sel_hi:[1,0,1]
	v_pk_fma_f16 v49, v53, v0, v49 op_sel_hi:[1,0,1]
	v_pk_fma_f16 v50, v54, v0, v50 op_sel_hi:[1,0,1]
	v_pk_fma_f16 v32, v55, v0, v32 op_sel:[0,1,0]
	v_pk_fma_f16 v33, v56, v0, v33 op_sel:[0,1,0]
	;; [unrolled: 1-line block ×8, first 2 shown]
	v_pk_fma_f16 v32, v63, v1, v32 op_sel_hi:[1,0,1]
	v_pk_fma_f16 v33, v64, v1, v33 op_sel_hi:[1,0,1]
	;; [unrolled: 1-line block ×8, first 2 shown]
	v_pk_fma_f16 v32, v71, v1, v32 op_sel:[0,1,0]
	v_pk_fma_f16 v33, v72, v1, v33 op_sel:[0,1,0]
	;; [unrolled: 1-line block ×8, first 2 shown]
	v_pk_fma_f16 v1, v79, v2, v32 op_sel_hi:[1,0,1]
	v_pk_fma_f16 v32, v80, v2, v33 op_sel_hi:[1,0,1]
	;; [unrolled: 1-line block ×4, first 2 shown]
	s_mul_hi_i32 s19, s17, s10
	s_mul_i32 s18, s17, s10
	v_pk_fma_f16 v35, v83, v2, v47 op_sel_hi:[1,0,1]
	v_pk_fma_f16 v47, v84, v2, v48 op_sel_hi:[1,0,1]
	;; [unrolled: 1-line block ×4, first 2 shown]
	v_pk_fma_f16 v1, v87, v2, v1 op_sel:[0,1,0]
	v_pk_fma_f16 v32, v88, v2, v32 op_sel:[0,1,0]
	;; [unrolled: 1-line block ×4, first 2 shown]
	s_lshl_b64 s[18:19], s[18:19], 2
	v_pk_fma_f16 v35, v91, v2, v35 op_sel:[0,1,0]
	v_add_co_u32 v119, vcc_lo, v28, s18
	v_add_co_ci_u32_e32 v120, vcc_lo, s19, v29, vcc_lo
	v_pk_fma_f16 v47, v92, v2, v47 op_sel:[0,1,0]
	v_pk_fma_f16 v48, v93, v2, v48 op_sel:[0,1,0]
	;; [unrolled: 1-line block ×3, first 2 shown]
	v_pk_fma_f16 v1, v95, v3, v1 op_sel_hi:[1,0,1]
	v_pk_fma_f16 v2, v96, v3, v32 op_sel_hi:[1,0,1]
	;; [unrolled: 1-line block ×8, first 2 shown]
	v_pk_fma_f16 v1, v107, v3, v1 op_sel:[0,1,0]
	v_pk_fma_f16 v2, v108, v3, v2 op_sel:[0,1,0]
	;; [unrolled: 1-line block ×4, first 2 shown]
	v_add_f32_e32 v0, v45, v46
	v_pk_fma_f16 v4, v4, v3, v121 op_sel:[0,1,0]
	v_pk_fma_f16 v5, v5, v3, v122 op_sel:[0,1,0]
	;; [unrolled: 1-line block ×4, first 2 shown]
	v_fmac_f32_e32 v0, v31, v36
	s_or_b32 s17, s3, 56
	s_waitcnt vmcnt(1)
	ds_store_b128 v25, v[111:114]
	s_waitcnt vmcnt(0)
	ds_store_b128 v26, v[115:118]
	s_waitcnt lgkmcnt(0)
	s_barrier
	buffer_gl0_inv
	ds_load_2addr_b64 v[32:35], v27 offset1:32
	ds_load_b128 v[47:50], v23 offset:80
	ds_load_2addr_b64 v[51:54], v27 offset0:64 offset1:96
	ds_load_2addr_b64 v[55:58], v27 offset0:128 offset1:160
	ds_load_2addr_b64 v[59:62], v27 offset0:192 offset1:224
	ds_load_2addr_b64 v[63:66], v44 offset1:32
	ds_load_2addr_b64 v[67:70], v44 offset0:64 offset1:96
	ds_load_2addr_b64 v[71:74], v44 offset0:128 offset1:160
	ds_load_2addr_b64 v[75:78], v44 offset0:192 offset1:224
	ds_load_2addr_b64 v[79:82], v43 offset1:32
	;; [unrolled: 4-line block ×3, first 2 shown]
	ds_load_2addr_b64 v[99:102], v42 offset0:64 offset1:96
	ds_load_2addr_b64 v[103:106], v42 offset0:128 offset1:160
	;; [unrolled: 1-line block ×3, first 2 shown]
	s_waitcnt lgkmcnt(0)
	s_barrier
	buffer_gl0_inv
	s_clause 0x1
	global_load_b128 v[111:114], v[119:120], off
	global_load_b128 v[115:118], v[119:120], off offset:512
	v_pk_fma_f16 v1, v32, v47, v1 op_sel_hi:[1,0,1]
	v_pk_fma_f16 v2, v33, v47, v2 op_sel_hi:[1,0,1]
	v_pk_fma_f16 v7, v34, v47, v125 op_sel_hi:[1,0,1]
	v_pk_fma_f16 v31, v35, v47, v126 op_sel_hi:[1,0,1]
	v_pk_fma_f16 v4, v51, v47, v4 op_sel_hi:[1,0,1]
	v_pk_fma_f16 v5, v52, v47, v5 op_sel_hi:[1,0,1]
	v_pk_fma_f16 v6, v53, v47, v6 op_sel_hi:[1,0,1]
	v_pk_fma_f16 v3, v54, v47, v3 op_sel_hi:[1,0,1]
	v_pk_fma_f16 v1, v55, v47, v1 op_sel:[0,1,0]
	v_pk_fma_f16 v2, v56, v47, v2 op_sel:[0,1,0]
	;; [unrolled: 1-line block ×8, first 2 shown]
	v_pk_fma_f16 v1, v63, v48, v1 op_sel_hi:[1,0,1]
	v_pk_fma_f16 v2, v64, v48, v2 op_sel_hi:[1,0,1]
	v_pk_fma_f16 v7, v65, v48, v7 op_sel_hi:[1,0,1]
	v_pk_fma_f16 v31, v66, v48, v31 op_sel_hi:[1,0,1]
	v_pk_fma_f16 v4, v67, v48, v4 op_sel_hi:[1,0,1]
	v_pk_fma_f16 v5, v68, v48, v5 op_sel_hi:[1,0,1]
	v_pk_fma_f16 v6, v69, v48, v6 op_sel_hi:[1,0,1]
	v_pk_fma_f16 v3, v70, v48, v3 op_sel_hi:[1,0,1]
	v_pk_fma_f16 v1, v71, v48, v1 op_sel:[0,1,0]
	v_pk_fma_f16 v2, v72, v48, v2 op_sel:[0,1,0]
	;; [unrolled: 1-line block ×8, first 2 shown]
	s_mul_hi_i32 s19, s17, s10
	s_mul_i32 s18, s17, s10
	v_pk_fma_f16 v1, v79, v49, v1 op_sel_hi:[1,0,1]
	v_pk_fma_f16 v2, v80, v49, v2 op_sel_hi:[1,0,1]
	v_pk_fma_f16 v7, v81, v49, v7 op_sel_hi:[1,0,1]
	v_pk_fma_f16 v31, v82, v49, v31 op_sel_hi:[1,0,1]
	v_pk_fma_f16 v4, v83, v49, v4 op_sel_hi:[1,0,1]
	v_pk_fma_f16 v5, v84, v49, v5 op_sel_hi:[1,0,1]
	v_pk_fma_f16 v6, v85, v49, v6 op_sel_hi:[1,0,1]
	v_pk_fma_f16 v3, v86, v49, v3 op_sel_hi:[1,0,1]
	s_lshl_b64 s[18:19], s[18:19], 2
	v_pk_fma_f16 v1, v87, v49, v1 op_sel:[0,1,0]
	v_add_co_u32 v119, vcc_lo, v28, s18
	v_add_co_ci_u32_e32 v120, vcc_lo, s19, v29, vcc_lo
	v_pk_fma_f16 v2, v88, v49, v2 op_sel:[0,1,0]
	v_pk_fma_f16 v7, v89, v49, v7 op_sel:[0,1,0]
	;; [unrolled: 1-line block ×7, first 2 shown]
	v_pk_fma_f16 v35, v95, v50, v1 op_sel_hi:[1,0,1]
	v_pk_fma_f16 v36, v96, v50, v2 op_sel_hi:[1,0,1]
	;; [unrolled: 1-line block ×8, first 2 shown]
	v_pk_fma_f16 v35, v103, v50, v35 op_sel:[0,1,0]
	v_pk_fma_f16 v36, v104, v50, v36 op_sel:[0,1,0]
	;; [unrolled: 1-line block ×8, first 2 shown]
	s_waitcnt vmcnt(1)
	ds_store_b128 v25, v[111:114]
	s_waitcnt vmcnt(0)
	ds_store_b128 v26, v[115:118]
	s_waitcnt lgkmcnt(0)
	s_barrier
	buffer_gl0_inv
	ds_load_2addr_b64 v[1:4], v27 offset1:32
	ds_load_b128 v[31:34], v23 offset:96
	ds_load_2addr_b64 v[45:48], v27 offset0:64 offset1:96
	ds_load_2addr_b64 v[51:54], v27 offset0:128 offset1:160
	ds_load_2addr_b64 v[55:58], v27 offset0:192 offset1:224
	ds_load_2addr_b64 v[59:62], v44 offset1:32
	ds_load_2addr_b64 v[63:66], v44 offset0:64 offset1:96
	ds_load_2addr_b64 v[67:70], v44 offset0:128 offset1:160
	ds_load_2addr_b64 v[71:74], v44 offset0:192 offset1:224
	ds_load_2addr_b64 v[75:78], v43 offset1:32
	;; [unrolled: 4-line block ×3, first 2 shown]
	ds_load_2addr_b64 v[95:98], v42 offset0:64 offset1:96
	ds_load_2addr_b64 v[99:102], v42 offset0:128 offset1:160
	;; [unrolled: 1-line block ×3, first 2 shown]
	s_waitcnt lgkmcnt(0)
	s_barrier
	buffer_gl0_inv
	s_clause 0x1
	global_load_b128 v[115:118], v[119:120], off
	global_load_b128 v[119:122], v[119:120], off offset:512
	v_pk_fma_f16 v1, v1, v31, v35 op_sel_hi:[1,0,1]
	v_pk_fma_f16 v2, v2, v31, v36 op_sel_hi:[1,0,1]
	v_pk_fma_f16 v3, v3, v31, v7 op_sel_hi:[1,0,1]
	v_pk_fma_f16 v4, v4, v31, v49 op_sel_hi:[1,0,1]
	v_pk_fma_f16 v7, v45, v31, v103 op_sel_hi:[1,0,1]
	v_pk_fma_f16 v5, v46, v31, v5 op_sel_hi:[1,0,1]
	v_pk_fma_f16 v6, v47, v31, v6 op_sel_hi:[1,0,1]
	v_pk_fma_f16 v35, v48, v31, v50 op_sel_hi:[1,0,1]
	v_pk_fma_f16 v1, v51, v31, v1 op_sel:[0,1,0]
	v_pk_fma_f16 v2, v52, v31, v2 op_sel:[0,1,0]
	v_pk_fma_f16 v3, v53, v31, v3 op_sel:[0,1,0]
	v_pk_fma_f16 v4, v54, v31, v4 op_sel:[0,1,0]
	v_pk_fma_f16 v7, v55, v31, v7 op_sel:[0,1,0]
	v_pk_fma_f16 v5, v56, v31, v5 op_sel:[0,1,0]
	v_pk_fma_f16 v6, v57, v31, v6 op_sel:[0,1,0]
	v_pk_fma_f16 v31, v58, v31, v35 op_sel:[0,1,0]
	v_pk_fma_f16 v1, v59, v32, v1 op_sel_hi:[1,0,1]
	v_pk_fma_f16 v2, v60, v32, v2 op_sel_hi:[1,0,1]
	v_pk_fma_f16 v3, v61, v32, v3 op_sel_hi:[1,0,1]
	v_pk_fma_f16 v4, v62, v32, v4 op_sel_hi:[1,0,1]
	v_pk_fma_f16 v7, v63, v32, v7 op_sel_hi:[1,0,1]
	v_pk_fma_f16 v5, v64, v32, v5 op_sel_hi:[1,0,1]
	v_pk_fma_f16 v6, v65, v32, v6 op_sel_hi:[1,0,1]
	v_pk_fma_f16 v31, v66, v32, v31 op_sel_hi:[1,0,1]
	v_pk_fma_f16 v1, v67, v32, v1 op_sel:[0,1,0]
	v_pk_fma_f16 v2, v68, v32, v2 op_sel:[0,1,0]
	v_pk_fma_f16 v3, v69, v32, v3 op_sel:[0,1,0]
	v_pk_fma_f16 v4, v70, v32, v4 op_sel:[0,1,0]
	v_pk_fma_f16 v7, v71, v32, v7 op_sel:[0,1,0]
	v_pk_fma_f16 v5, v72, v32, v5 op_sel:[0,1,0]
	v_pk_fma_f16 v6, v73, v32, v6 op_sel:[0,1,0]
	v_pk_fma_f16 v31, v74, v32, v31 op_sel:[0,1,0]
	;; [unrolled: 16-line block ×4, first 2 shown]
	s_waitcnt vmcnt(1)
	ds_store_b128 v25, v[115:118]
	s_waitcnt vmcnt(0)
	ds_store_b128 v26, v[119:122]
	s_waitcnt lgkmcnt(0)
	s_barrier
	buffer_gl0_inv
	ds_load_2addr_b64 v[1:4], v27 offset1:32
	ds_load_b128 v[45:48], v23 offset:112
	ds_load_2addr_b64 v[49:52], v27 offset0:64 offset1:96
	ds_load_2addr_b64 v[53:56], v27 offset0:128 offset1:160
	ds_load_2addr_b64 v[57:60], v27 offset0:192 offset1:224
	ds_load_2addr_b64 v[61:64], v44 offset1:32
	ds_load_2addr_b64 v[65:68], v44 offset0:64 offset1:96
	ds_load_2addr_b64 v[69:72], v44 offset0:128 offset1:160
	ds_load_2addr_b64 v[73:76], v44 offset0:192 offset1:224
	ds_load_2addr_b64 v[77:80], v43 offset1:32
	;; [unrolled: 4-line block ×3, first 2 shown]
	ds_load_2addr_b64 v[107:110], v42 offset0:64 offset1:96
	ds_load_2addr_b64 v[115:118], v42 offset0:128 offset1:160
	;; [unrolled: 1-line block ×3, first 2 shown]
	s_waitcnt lgkmcnt(0)
	s_barrier
	buffer_gl0_inv
	s_load_b32 s17, s[4:5], 0x4
	v_pk_fma_f16 v1, v1, v45, v32 op_sel_hi:[1,0,1]
	v_pk_fma_f16 v2, v2, v45, v33 op_sel_hi:[1,0,1]
	v_pk_fma_f16 v3, v3, v45, v35 op_sel_hi:[1,0,1]
	v_pk_fma_f16 v4, v4, v45, v36 op_sel_hi:[1,0,1]
	v_pk_fma_f16 v7, v49, v45, v7 op_sel_hi:[1,0,1]
	v_pk_fma_f16 v5, v50, v45, v5 op_sel_hi:[1,0,1]
	v_pk_fma_f16 v6, v51, v45, v6 op_sel_hi:[1,0,1]
	v_pk_fma_f16 v31, v52, v45, v31 op_sel_hi:[1,0,1]
	v_pk_fma_f16 v1, v53, v45, v1 op_sel:[0,1,0]
	v_pk_fma_f16 v2, v54, v45, v2 op_sel:[0,1,0]
	v_pk_fma_f16 v3, v55, v45, v3 op_sel:[0,1,0]
	v_pk_fma_f16 v4, v56, v45, v4 op_sel:[0,1,0]
	v_pk_fma_f16 v7, v57, v45, v7 op_sel:[0,1,0]
	v_pk_fma_f16 v5, v58, v45, v5 op_sel:[0,1,0]
	v_pk_fma_f16 v6, v59, v45, v6 op_sel:[0,1,0]
	v_pk_fma_f16 v31, v60, v45, v31 op_sel:[0,1,0]
	v_pk_fma_f16 v1, v61, v46, v1 op_sel_hi:[1,0,1]
	v_pk_fma_f16 v2, v62, v46, v2 op_sel_hi:[1,0,1]
	v_pk_fma_f16 v3, v63, v46, v3 op_sel_hi:[1,0,1]
	v_pk_fma_f16 v4, v64, v46, v4 op_sel_hi:[1,0,1]
	v_pk_fma_f16 v7, v65, v46, v7 op_sel_hi:[1,0,1]
	v_pk_fma_f16 v5, v66, v46, v5 op_sel_hi:[1,0,1]
	v_pk_fma_f16 v6, v67, v46, v6 op_sel_hi:[1,0,1]
	v_pk_fma_f16 v31, v68, v46, v31 op_sel_hi:[1,0,1]
	v_pk_fma_f16 v1, v69, v46, v1 op_sel:[0,1,0]
	v_pk_fma_f16 v2, v70, v46, v2 op_sel:[0,1,0]
	v_pk_fma_f16 v3, v71, v46, v3 op_sel:[0,1,0]
	v_pk_fma_f16 v4, v72, v46, v4 op_sel:[0,1,0]
	v_pk_fma_f16 v7, v73, v46, v7 op_sel:[0,1,0]
	v_pk_fma_f16 v5, v74, v46, v5 op_sel:[0,1,0]
	v_pk_fma_f16 v6, v75, v46, v6 op_sel:[0,1,0]
	v_pk_fma_f16 v31, v76, v46, v31 op_sel:[0,1,0]
	v_pk_fma_f16 v1, v77, v47, v1 op_sel_hi:[1,0,1]
	v_pk_fma_f16 v2, v78, v47, v2 op_sel_hi:[1,0,1]
	v_pk_fma_f16 v3, v79, v47, v3 op_sel_hi:[1,0,1]
	v_pk_fma_f16 v4, v80, v47, v4 op_sel_hi:[1,0,1]
	v_pk_fma_f16 v7, v81, v47, v7 op_sel_hi:[1,0,1]
	v_pk_fma_f16 v5, v82, v47, v5 op_sel_hi:[1,0,1]
	v_pk_fma_f16 v6, v83, v47, v6 op_sel_hi:[1,0,1]
	v_pk_fma_f16 v31, v84, v47, v31 op_sel_hi:[1,0,1]
	v_pk_fma_f16 v1, v85, v47, v1 op_sel:[0,1,0]
	v_pk_fma_f16 v2, v86, v47, v2 op_sel:[0,1,0]
	v_pk_fma_f16 v3, v87, v47, v3 op_sel:[0,1,0]
	v_pk_fma_f16 v4, v88, v47, v4 op_sel:[0,1,0]
	v_pk_fma_f16 v7, v89, v47, v7 op_sel:[0,1,0]
	v_pk_fma_f16 v5, v90, v47, v5 op_sel:[0,1,0]
	v_pk_fma_f16 v6, v91, v47, v6 op_sel:[0,1,0]
	v_pk_fma_f16 v31, v92, v47, v31 op_sel:[0,1,0]
	v_pk_fma_f16 v1, v103, v48, v1 op_sel_hi:[1,0,1]
	v_pk_fma_f16 v2, v104, v48, v2 op_sel_hi:[1,0,1]
	;; [unrolled: 1-line block ×8, first 2 shown]
	s_waitcnt lgkmcnt(0)
	s_lshl_b32 s17, s17, 6
	v_pk_fma_f16 v33, v115, v48, v1 op_sel:[0,1,0]
	v_pk_fma_f16 v35, v116, v48, v2 op_sel:[0,1,0]
	;; [unrolled: 1-line block ×8, first 2 shown]
	s_add_i32 s3, s17, s3
	s_delay_alu instid0(SALU_CYCLE_1)
	s_cmp_lt_i32 s3, s2
	s_cbranch_scc0 .LBB28_19
; %bb.18:                               ;   in Loop: Header=BB28_9 Depth=1
	v_dual_mov_b32 v36, v15 :: v_dual_mov_b32 v31, v0
	s_branch .LBB28_9
.LBB28_19:
	v_dual_mov_b32 v3, 32 :: v_dual_mov_b32 v10, v18
.LBB28_20:
	s_delay_alu instid0(VALU_DEP_1)
	v_cmp_lt_i32_e32 vcc_lo, v37, v3
	s_cmp_eq_u64 s[24:25], 0
	s_cselect_b32 s2, -1, 0
	s_cmp_lg_u32 s14, 0
	v_cndmask_b32_e32 v1, v10, v37, vcc_lo
	v_cmp_lt_i32_e32 vcc_lo, v38, v3
	s_cselect_b32 s3, -1, 0
	s_delay_alu instid0(SALU_CYCLE_1) | instskip(SKIP_2) | instid1(VALU_DEP_2)
	s_or_b32 s2, s3, s2
	v_cndmask_b32_e32 v2, v10, v38, vcc_lo
	v_cmp_lt_i32_e32 vcc_lo, v39, v3
	v_lshlrev_b32_e32 v2, 2, v2
	v_lshlrev_b32_e32 v1, 2, v1
	ds_bpermute_b32 v1, v1, v0
	s_waitcnt lgkmcnt(0)
	v_add_f32_e32 v0, v0, v1
	ds_bpermute_b32 v1, v2, v0
	v_cndmask_b32_e32 v2, v10, v39, vcc_lo
	v_cmp_lt_i32_e32 vcc_lo, v40, v3
	s_delay_alu instid0(VALU_DEP_2)
	v_lshlrev_b32_e32 v2, 2, v2
	s_waitcnt lgkmcnt(0)
	v_add_f32_e32 v0, v0, v1
	ds_bpermute_b32 v1, v2, v0
	v_cndmask_b32_e32 v2, v10, v40, vcc_lo
	v_cmp_lt_i32_e32 vcc_lo, v41, v3
	s_delay_alu instid0(VALU_DEP_2)
	v_lshlrev_b32_e32 v2, 2, v2
	s_waitcnt lgkmcnt(0)
	v_add_f32_e32 v0, v0, v1
	ds_bpermute_b32 v1, v2, v0
	v_cndmask_b32_e32 v2, v10, v41, vcc_lo
	s_and_b32 vcc_lo, exec_lo, s2
	s_waitcnt lgkmcnt(0)
	s_delay_alu instid0(VALU_DEP_1)
	v_dual_add_f32 v1, v0, v1 :: v_dual_lshlrev_b32 v2, 2, v2
	v_add_nc_u32_e32 v0, s15, v16
	ds_bpermute_b32 v2, v2, v1
	s_waitcnt lgkmcnt(0)
	v_add_f32_e32 v16, v1, v2
	s_cbranch_vccnz .LBB28_22
; %bb.21:
	v_ashrrev_i32_e32 v1, 31, v0
	s_delay_alu instid0(VALU_DEP_1) | instskip(NEXT) | instid1(VALU_DEP_1)
	v_lshlrev_b64 v[1:2], 2, v[0:1]
	v_add_co_u32 v1, vcc_lo, s24, v1
	s_delay_alu instid0(VALU_DEP_2) | instskip(SKIP_3) | instid1(VALU_DEP_1)
	v_add_co_ci_u32_e32 v2, vcc_lo, s25, v2, vcc_lo
	global_load_b32 v1, v[1:2], off
	s_waitcnt vmcnt(0)
	v_dual_max_f32 v2, v15, v15 :: v_dual_max_f32 v3, v1, v1
	v_max_f32_e32 v2, v2, v3
	s_delay_alu instid0(VALU_DEP_1) | instskip(NEXT) | instid1(VALU_DEP_1)
	v_sub_f32_e32 v1, v1, v2
	v_mul_f32_e32 v11, 0x3fb8aa3b, v1
	v_sub_f32_e32 v3, v15, v2
	s_delay_alu instid0(VALU_DEP_2) | instskip(NEXT) | instid1(VALU_DEP_2)
	v_rndne_f32_e32 v15, v11
	v_mul_f32_e32 v10, 0x3fb8aa3b, v3
	v_fma_f32 v14, 0x3fb8aa3b, v1, -v11
	s_delay_alu instid0(VALU_DEP_3) | instskip(NEXT) | instid1(VALU_DEP_3)
	v_sub_f32_e32 v11, v11, v15
	v_fma_f32 v12, 0x3fb8aa3b, v3, -v10
	v_rndne_f32_e32 v13, v10
	s_delay_alu instid0(VALU_DEP_4) | instskip(NEXT) | instid1(VALU_DEP_2)
	v_fmac_f32_e32 v14, 0x32a5705f, v1
	v_sub_f32_e32 v10, v10, v13
	s_delay_alu instid0(VALU_DEP_2) | instskip(SKIP_1) | instid1(VALU_DEP_2)
	v_dual_fmac_f32 v12, 0x32a5705f, v3 :: v_dual_add_f32 v11, v11, v14
	v_cmp_ngt_f32_e32 vcc_lo, 0xc2ce8ed0, v3
	v_add_f32_e32 v10, v10, v12
	s_delay_alu instid0(VALU_DEP_3)
	v_exp_f32_e32 v11, v11
	v_cvt_i32_f32_e32 v12, v13
	v_cvt_i32_f32_e32 v13, v15
	v_mov_b32_e32 v15, v2
	v_exp_f32_e32 v10, v10
	s_waitcnt_depctr 0xfff
	v_ldexp_f32 v11, v11, v13
	v_ldexp_f32 v10, v10, v12
	s_delay_alu instid0(VALU_DEP_1) | instskip(SKIP_1) | instid1(VALU_DEP_4)
	v_cndmask_b32_e32 v10, 0, v10, vcc_lo
	v_cmp_ngt_f32_e32 vcc_lo, 0xc2ce8ed0, v1
	v_cndmask_b32_e32 v11, 0, v11, vcc_lo
	v_cmp_nlt_f32_e32 vcc_lo, 0x42b17218, v3
	s_delay_alu instid0(VALU_DEP_4) | instskip(SKIP_1) | instid1(VALU_DEP_4)
	v_cndmask_b32_e32 v3, 0x7f800000, v10, vcc_lo
	v_cmp_nlt_f32_e32 vcc_lo, 0x42b17218, v1
	v_cndmask_b32_e32 v1, 0x7f800000, v11, vcc_lo
	s_delay_alu instid0(VALU_DEP_1) | instskip(NEXT) | instid1(VALU_DEP_1)
	v_fmac_f32_e32 v1, v16, v3
	v_mov_b32_e32 v16, v1
	v_cvt_f16_f32_e32 v10, v3
	s_delay_alu instid0(VALU_DEP_1)
	v_pk_mul_f16 v33, v10, v33 op_sel_hi:[0,1]
	v_pk_mul_f16 v35, v10, v35 op_sel_hi:[0,1]
	;; [unrolled: 1-line block ×8, first 2 shown]
.LBB28_22:
	s_delay_alu instid0(VALU_DEP_1) | instskip(SKIP_3) | instid1(VALU_DEP_3)
	v_div_scale_f32 v10, null, v16, v16, 1.0
	s_load_b32 s0, s[0:1], 0xd4
	v_lshrrev_b32_e32 v12, 16, v35
	v_lshrrev_b32_e32 v13, 16, v33
	v_rcp_f32_e32 v11, v10
	v_mad_u64_u32 v[1:2], null, s12, s6, v[9:10]
	v_div_scale_f32 v9, vcc_lo, 1.0, v16, 1.0
	v_cvt_f32_f16_e32 v28, v12
	v_lshrrev_b32_e32 v22, 16, v32
	v_lshrrev_b32_e32 v14, 16, v34
	v_cvt_f32_f16_e32 v18, v35
	v_cvt_f32_f16_e32 v19, v33
	s_delay_alu instid0(TRANS32_DEP_1)
	v_fma_f32 v2, -v10, v11, 1.0
	v_cvt_f32_f16_e32 v21, v34
	v_lshrrev_b32_e32 v27, 16, v6
	v_cvt_f32_f16_e32 v22, v22
	v_cvt_f32_f16_e32 v23, v32
	v_fmac_f32_e32 v11, v2, v11
	v_mad_u64_u32 v[2:3], null, v1, s7, v[0:1]
	v_mov_b32_e32 v3, 0
	s_waitcnt lgkmcnt(0)
	s_cmp_lg_u32 s0, 1
	v_mul_f32_e32 v20, v9, v11
	s_cselect_b32 s1, -1, 0
	v_cvt_f32_f16_e32 v27, v27
	v_lshrrev_b32_e32 v24, 16, v7
	v_mad_u64_u32 v[0:1], null, s0, v2, s[14:15]
	v_fma_f32 v1, -v10, v20, v9
	v_cvt_f32_f16_e32 v30, v4
	s_delay_alu instid0(VALU_DEP_4) | instskip(NEXT) | instid1(VALU_DEP_4)
	v_cvt_f32_f16_e32 v24, v24
	v_lshl_add_u32 v2, v0, 9, v17
	s_delay_alu instid0(VALU_DEP_4) | instskip(SKIP_2) | instid1(VALU_DEP_3)
	v_fmac_f32_e32 v20, v1, v11
	v_cvt_f32_f16_e32 v1, v13
	v_cvt_f32_f16_e32 v17, v14
	v_fma_f32 v12, -v10, v20, v9
	v_dual_mov_b32 v10, v3 :: v_dual_add_nc_u32 v9, 0x80, v2
	s_delay_alu instid0(VALU_DEP_2) | instskip(SKIP_1) | instid1(VALU_DEP_3)
	v_div_fmas_f32 v13, v12, v11, v20
	v_lshlrev_b64 v[11:12], 2, v[2:3]
	v_lshlrev_b64 v[9:10], 2, v[9:10]
	s_delay_alu instid0(VALU_DEP_3) | instskip(NEXT) | instid1(VALU_DEP_3)
	v_div_fixup_f32 v20, v13, v16, 1.0
	v_add_co_u32 v13, vcc_lo, s28, v11
	s_delay_alu instid0(VALU_DEP_4) | instskip(NEXT) | instid1(VALU_DEP_3)
	v_add_co_ci_u32_e32 v14, vcc_lo, s29, v12, vcc_lo
	v_cndmask_b32_e64 v29, v20, 1.0, s1
	v_add_co_u32 v25, vcc_lo, s28, v9
	v_add_co_ci_u32_e32 v26, vcc_lo, s29, v10, vcc_lo
	s_delay_alu instid0(VALU_DEP_3)
	v_mul_f32_e32 v12, v29, v28
	v_mul_f32_e32 v11, v29, v18
	;; [unrolled: 1-line block ×5, first 2 shown]
	v_add_nc_u32_e32 v21, 0x100, v2
	v_add_nc_u32_e32 v2, 0x180, v2
	v_mov_b32_e32 v22, v3
	v_mul_f32_e32 v10, v29, v1
	v_cvt_f32_f16_e32 v1, v7
	v_cvt_f32_f16_e32 v28, v6
	v_mul_f32_e32 v20, v29, v17
	v_lshlrev_b64 v[6:7], 2, v[21:22]
	v_mul_f32_e32 v22, v29, v27
	v_lshrrev_b32_e32 v27, 16, v5
	v_mul_f32_e32 v17, v29, v23
	v_mul_f32_e32 v23, v29, v1
	v_lshrrev_b32_e32 v1, 16, v4
	v_mul_f32_e32 v21, v29, v28
	v_cvt_f32_f16_e32 v31, v27
	v_lshlrev_b64 v[27:28], 2, v[2:3]
	v_add_co_u32 v6, vcc_lo, s28, v6
	v_cvt_f32_f16_e32 v1, v1
	v_cvt_f32_f16_e32 v5, v5
	v_add_co_ci_u32_e32 v7, vcc_lo, s29, v7, vcc_lo
	v_cmp_eq_u32_e32 vcc_lo, 0, v8
	v_add_co_u32 v27, s0, s28, v27
	v_mul_f32_e32 v24, v29, v24
	v_mul_f32_e32 v4, v29, v1
	;; [unrolled: 1-line block ×5, first 2 shown]
	v_add_co_ci_u32_e64 v28, s0, s29, v28, s0
	s_and_b32 s0, vcc_lo, s1
	s_clause 0x3
	global_store_b128 v[13:14], v[9:12], off
	global_store_b128 v[25:26], v[17:20], off
	;; [unrolled: 1-line block ×4, first 2 shown]
	s_and_saveexec_b32 s1, s0
	s_cbranch_execz .LBB28_24
; %bb.23:
	v_ashrrev_i32_e32 v1, 31, v0
	s_delay_alu instid0(VALU_DEP_1) | instskip(NEXT) | instid1(VALU_DEP_1)
	v_lshlrev_b64 v[0:1], 3, v[0:1]
	v_add_co_u32 v0, vcc_lo, s30, v0
	s_delay_alu instid0(VALU_DEP_2)
	v_add_co_ci_u32_e32 v1, vcc_lo, s31, v1, vcc_lo
	global_store_b64 v[0:1], v[15:16], off
.LBB28_24:
	s_nop 0
	s_sendmsg sendmsg(MSG_DEALLOC_VGPRS)
	s_endpgm
	.section	.rodata,"a",@progbits
	.p2align	6, 0x0
	.amdhsa_kernel _ZL15flash_attn_tileILi512ELi512ELi1ELi8ELb1EEvPKcS1_S1_S1_S1_PKiPfP15HIP_vector_typeIfLj2EEffffjfiS5_IjLj3EEiiiiiiiiiiiliiliiiiil
		.amdhsa_group_segment_fixed_size 18432
		.amdhsa_private_segment_fixed_size 0
		.amdhsa_kernarg_size 464
		.amdhsa_user_sgpr_count 13
		.amdhsa_user_sgpr_dispatch_ptr 0
		.amdhsa_user_sgpr_queue_ptr 0
		.amdhsa_user_sgpr_kernarg_segment_ptr 1
		.amdhsa_user_sgpr_dispatch_id 0
		.amdhsa_user_sgpr_private_segment_size 0
		.amdhsa_wavefront_size32 1
		.amdhsa_uses_dynamic_stack 0
		.amdhsa_enable_private_segment 0
		.amdhsa_system_sgpr_workgroup_id_x 1
		.amdhsa_system_sgpr_workgroup_id_y 1
		.amdhsa_system_sgpr_workgroup_id_z 1
		.amdhsa_system_sgpr_workgroup_info 0
		.amdhsa_system_vgpr_workitem_id 1
		.amdhsa_next_free_vgpr 127
		.amdhsa_next_free_sgpr 40
		.amdhsa_reserve_vcc 1
		.amdhsa_float_round_mode_32 0
		.amdhsa_float_round_mode_16_64 0
		.amdhsa_float_denorm_mode_32 3
		.amdhsa_float_denorm_mode_16_64 3
		.amdhsa_dx10_clamp 1
		.amdhsa_ieee_mode 1
		.amdhsa_fp16_overflow 0
		.amdhsa_workgroup_processor_mode 1
		.amdhsa_memory_ordered 1
		.amdhsa_forward_progress 0
		.amdhsa_shared_vgpr_count 0
		.amdhsa_exception_fp_ieee_invalid_op 0
		.amdhsa_exception_fp_denorm_src 0
		.amdhsa_exception_fp_ieee_div_zero 0
		.amdhsa_exception_fp_ieee_overflow 0
		.amdhsa_exception_fp_ieee_underflow 0
		.amdhsa_exception_fp_ieee_inexact 0
		.amdhsa_exception_int_div_zero 0
	.end_amdhsa_kernel
	.section	.text._ZL15flash_attn_tileILi512ELi512ELi1ELi8ELb1EEvPKcS1_S1_S1_S1_PKiPfP15HIP_vector_typeIfLj2EEffffjfiS5_IjLj3EEiiiiiiiiiiiliiliiiiil,"axG",@progbits,_ZL15flash_attn_tileILi512ELi512ELi1ELi8ELb1EEvPKcS1_S1_S1_S1_PKiPfP15HIP_vector_typeIfLj2EEffffjfiS5_IjLj3EEiiiiiiiiiiiliiliiiiil,comdat
.Lfunc_end28:
	.size	_ZL15flash_attn_tileILi512ELi512ELi1ELi8ELb1EEvPKcS1_S1_S1_S1_PKiPfP15HIP_vector_typeIfLj2EEffffjfiS5_IjLj3EEiiiiiiiiiiiliiliiiiil, .Lfunc_end28-_ZL15flash_attn_tileILi512ELi512ELi1ELi8ELb1EEvPKcS1_S1_S1_S1_PKiPfP15HIP_vector_typeIfLj2EEffffjfiS5_IjLj3EEiiiiiiiiiiiliiliiiiil
                                        ; -- End function
	.section	.AMDGPU.csdata,"",@progbits
; Kernel info:
; codeLenInByte = 23108
; NumSgprs: 42
; NumVgprs: 127
; ScratchSize: 0
; MemoryBound: 0
; FloatMode: 240
; IeeeMode: 1
; LDSByteSize: 18432 bytes/workgroup (compile time only)
; SGPRBlocks: 5
; VGPRBlocks: 15
; NumSGPRsForWavesPerEU: 42
; NumVGPRsForWavesPerEU: 127
; Occupancy: 10
; WaveLimiterHint : 1
; COMPUTE_PGM_RSRC2:SCRATCH_EN: 0
; COMPUTE_PGM_RSRC2:USER_SGPR: 13
; COMPUTE_PGM_RSRC2:TRAP_HANDLER: 0
; COMPUTE_PGM_RSRC2:TGID_X_EN: 1
; COMPUTE_PGM_RSRC2:TGID_Y_EN: 1
; COMPUTE_PGM_RSRC2:TGID_Z_EN: 1
; COMPUTE_PGM_RSRC2:TIDIG_COMP_CNT: 1
	.section	.text._ZL15flash_attn_tileILi512ELi512ELi8ELi4ELb1EEvPKcS1_S1_S1_S1_PKiPfP15HIP_vector_typeIfLj2EEffffjfiS5_IjLj3EEiiiiiiiiiiiliiliiiiil,"axG",@progbits,_ZL15flash_attn_tileILi512ELi512ELi8ELi4ELb1EEvPKcS1_S1_S1_S1_PKiPfP15HIP_vector_typeIfLj2EEffffjfiS5_IjLj3EEiiiiiiiiiiiliiliiiiil,comdat
	.globl	_ZL15flash_attn_tileILi512ELi512ELi8ELi4ELb1EEvPKcS1_S1_S1_S1_PKiPfP15HIP_vector_typeIfLj2EEffffjfiS5_IjLj3EEiiiiiiiiiiiliiliiiiil ; -- Begin function _ZL15flash_attn_tileILi512ELi512ELi8ELi4ELb1EEvPKcS1_S1_S1_S1_PKiPfP15HIP_vector_typeIfLj2EEffffjfiS5_IjLj3EEiiiiiiiiiiiliiliiiiil
	.p2align	8
	.type	_ZL15flash_attn_tileILi512ELi512ELi8ELi4ELb1EEvPKcS1_S1_S1_S1_PKiPfP15HIP_vector_typeIfLj2EEffffjfiS5_IjLj3EEiiiiiiiiiiiliiliiiiil,@function
_ZL15flash_attn_tileILi512ELi512ELi8ELi4ELb1EEvPKcS1_S1_S1_S1_PKiPfP15HIP_vector_typeIfLj2EEffffjfiS5_IjLj3EEiiiiiiiiiiiliiliiiiil: ; @_ZL15flash_attn_tileILi512ELi512ELi8ELi4ELb1EEvPKcS1_S1_S1_S1_PKiPfP15HIP_vector_typeIfLj2EEffffjfiS5_IjLj3EEiiiiiiiiiiiliiliiiiil
; %bb.0:
	s_clause 0x3
	s_load_b128 s[4:7], s[0:1], 0x5c
	s_load_b64 s[34:35], s[0:1], 0x80
	s_load_b512 s[16:31], s[0:1], 0x0
	s_load_b64 s[38:39], s[0:1], 0xb8
	s_mov_b64 s[36:37], 0
	s_waitcnt lgkmcnt(0)
	s_ashr_i32 s2, s7, 31
	s_delay_alu instid0(SALU_CYCLE_1) | instskip(NEXT) | instid1(SALU_CYCLE_1)
	s_lshr_b32 s2, s2, 30
	s_add_i32 s2, s7, s2
	s_delay_alu instid0(SALU_CYCLE_1) | instskip(NEXT) | instid1(SALU_CYCLE_1)
	s_ashr_i32 s2, s2, 2
	v_cvt_f32_u32_e32 v1, s2
	s_sub_i32 s8, 0, s2
	s_delay_alu instid0(VALU_DEP_1) | instskip(SKIP_2) | instid1(VALU_DEP_1)
	v_rcp_iflag_f32_e32 v1, v1
	s_waitcnt_depctr 0xfff
	v_mul_f32_e32 v1, 0x4f7ffffe, v1
	v_cvt_u32_f32_e32 v1, v1
	s_delay_alu instid0(VALU_DEP_1) | instskip(NEXT) | instid1(VALU_DEP_1)
	v_readfirstlane_b32 s3, v1
	s_mul_i32 s8, s8, s3
	s_delay_alu instid0(SALU_CYCLE_1) | instskip(NEXT) | instid1(SALU_CYCLE_1)
	s_mul_hi_u32 s8, s3, s8
	s_add_i32 s3, s3, s8
	s_delay_alu instid0(SALU_CYCLE_1) | instskip(NEXT) | instid1(SALU_CYCLE_1)
	s_mul_hi_u32 s3, s15, s3
	s_mul_i32 s8, s3, s2
	s_add_i32 s9, s3, 1
	s_sub_i32 s8, s15, s8
	s_delay_alu instid0(SALU_CYCLE_1)
	s_sub_i32 s10, s8, s2
	s_cmp_ge_u32 s8, s2
	s_cselect_b32 s3, s9, s3
	s_cselect_b32 s8, s10, s8
	s_add_i32 s9, s3, 1
	s_cmp_ge_u32 s8, s2
	s_cselect_b32 s12, s9, s3
	s_abs_i32 s3, s35
	s_abs_i32 s11, s7
	v_cvt_f32_u32_e32 v1, s3
	s_sub_i32 s8, 0, s3
	s_lshl_b32 s9, s15, 2
	s_mul_i32 s10, s12, s7
	s_delay_alu instid0(VALU_DEP_1) | instskip(SKIP_2) | instid1(VALU_DEP_1)
	v_rcp_iflag_f32_e32 v1, v1
	s_waitcnt_depctr 0xfff
	v_mul_f32_e32 v1, 0x4f7ffffe, v1
	v_cvt_u32_f32_e32 v1, v1
	s_delay_alu instid0(VALU_DEP_1) | instskip(NEXT) | instid1(VALU_DEP_1)
	v_readfirstlane_b32 s2, v1
	s_mul_i32 s8, s8, s2
	s_delay_alu instid0(SALU_CYCLE_1) | instskip(NEXT) | instid1(SALU_CYCLE_1)
	s_mul_hi_u32 s8, s2, s8
	s_add_i32 s8, s2, s8
	s_sub_i32 s2, s9, s10
	s_mul_hi_u32 s8, s11, s8
	s_xor_b32 s9, s7, s35
	s_mul_i32 s10, s8, s3
	s_ashr_i32 s9, s9, 31
	s_sub_i32 s10, s11, s10
	s_add_i32 s11, s8, 1
	s_sub_i32 s15, s10, s3
	s_cmp_ge_u32 s10, s3
	s_cselect_b32 s8, s11, s8
	s_cselect_b32 s10, s15, s10
	s_add_i32 s11, s8, 1
	s_cmp_ge_u32 s10, s3
	s_cselect_b32 s3, s11, s8
	s_delay_alu instid0(SALU_CYCLE_1) | instskip(NEXT) | instid1(SALU_CYCLE_1)
	s_xor_b32 s3, s3, s9
	s_sub_i32 s33, s3, s9
	s_delay_alu instid0(SALU_CYCLE_1) | instskip(SKIP_2) | instid1(VALU_DEP_1)
	s_abs_i32 s15, s33
	s_cmp_eq_u64 s[22:23], 0
	v_cvt_f32_u32_e32 v1, s15
	v_rcp_iflag_f32_e32 v1, v1
	s_waitcnt_depctr 0xfff
	v_mul_f32_e32 v1, 0x4f7ffffe, v1
	s_delay_alu instid0(VALU_DEP_1) | instskip(NEXT) | instid1(VALU_DEP_1)
	v_cvt_u32_f32_e32 v1, v1
	v_readfirstlane_b32 s35, v1
	s_cbranch_scc1 .LBB29_2
; %bb.1:
	s_abs_i32 s3, s38
	s_abs_i32 s10, s12
	v_cvt_f32_u32_e32 v1, s3
	s_sub_i32 s9, 0, s3
	s_delay_alu instid0(VALU_DEP_1) | instskip(SKIP_2) | instid1(VALU_DEP_1)
	v_rcp_iflag_f32_e32 v1, v1
	s_waitcnt_depctr 0xfff
	v_mul_f32_e32 v1, 0x4f7ffffe, v1
	v_cvt_u32_f32_e32 v1, v1
	s_delay_alu instid0(VALU_DEP_1) | instskip(NEXT) | instid1(VALU_DEP_1)
	v_readfirstlane_b32 s8, v1
	s_mul_i32 s9, s9, s8
	s_delay_alu instid0(SALU_CYCLE_1) | instskip(NEXT) | instid1(SALU_CYCLE_1)
	s_mul_hi_u32 s9, s8, s9
	s_add_i32 s11, s8, s9
	s_load_b64 s[8:9], s[0:1], 0xc8
	s_mul_hi_u32 s11, s10, s11
	s_delay_alu instid0(SALU_CYCLE_1) | instskip(NEXT) | instid1(SALU_CYCLE_1)
	s_mul_i32 s11, s11, s3
	s_sub_i32 s10, s10, s11
	s_ashr_i32 s11, s12, 31
	s_sub_i32 s36, s10, s3
	s_cmp_ge_u32 s10, s3
	s_cselect_b32 s10, s36, s10
	s_delay_alu instid0(SALU_CYCLE_1) | instskip(SKIP_2) | instid1(SALU_CYCLE_1)
	s_sub_i32 s36, s10, s3
	s_cmp_ge_u32 s10, s3
	s_cselect_b32 s3, s36, s10
	s_xor_b32 s3, s3, s11
	s_delay_alu instid0(SALU_CYCLE_1)
	s_sub_i32 s3, s3, s11
	s_waitcnt lgkmcnt(0)
	s_mul_i32 s9, s3, s9
	s_mul_hi_u32 s10, s3, s8
	s_ashr_i32 s11, s3, 31
	s_add_i32 s9, s10, s9
	s_mul_i32 s11, s11, s8
	s_mul_i32 s3, s3, s8
	s_add_i32 s9, s9, s11
	s_add_u32 s36, s22, s3
	s_addc_u32 s37, s23, s9
.LBB29_2:
	v_bfe_u32 v4, v0, 10, 10
	s_load_b128 s[8:11], s[0:1], 0x70
	v_and_b32_e32 v17, 0x3ff, v0
	s_delay_alu instid0(VALU_DEP_2) | instskip(NEXT) | instid1(VALU_DEP_1)
	v_lshl_add_u32 v16, s13, 3, v4
	v_mul_hi_u32 v1, s4, v16
	s_delay_alu instid0(VALU_DEP_1) | instskip(SKIP_3) | instid1(VALU_DEP_1)
	v_add_nc_u32_e32 v1, v16, v1
	s_waitcnt lgkmcnt(0)
	s_mul_i32 s3, s12, s10
	s_mul_i32 s4, s2, s9
	v_lshrrev_b32_e32 v1, s5, v1
	s_ashr_i32 s5, s3, 31
	s_add_u32 s3, s16, s3
	s_addc_u32 s5, s17, s5
	s_ashr_i32 s10, s4, 31
	v_mul_lo_u32 v1, v1, s6
	s_add_u32 s3, s3, s4
	s_addc_u32 s4, s5, s10
	s_ashr_i32 s5, s8, 31
	s_delay_alu instid0(SALU_CYCLE_1) | instskip(SKIP_1) | instid1(VALU_DEP_2)
	v_alignbit_b32 v3, s5, s8, 2
	s_lshr_b32 s5, s5, 2
	v_sub_nc_u32_e32 v5, v16, v1
	s_delay_alu instid0(VALU_DEP_1) | instskip(NEXT) | instid1(VALU_DEP_1)
	v_mad_u64_u32 v[1:2], null, v3, v5, 0
	v_mad_u64_u32 v[6:7], null, s5, v5, v[2:3]
	s_ashr_i32 s5, s9, 31
	s_delay_alu instid0(SALU_CYCLE_1) | instskip(NEXT) | instid1(VALU_DEP_2)
	v_alignbit_b32 v32, s5, s9, 2
	v_mov_b32_e32 v2, v6
	s_delay_alu instid0(VALU_DEP_1) | instskip(SKIP_1) | instid1(VALU_DEP_2)
	v_lshlrev_b64 v[0:1], 2, v[1:2]
	v_lshlrev_b32_e32 v2, 4, v17
	v_add_co_u32 v0, vcc_lo, s3, v0
	s_delay_alu instid0(VALU_DEP_3) | instskip(SKIP_1) | instid1(VALU_DEP_2)
	v_add_co_ci_u32_e32 v1, vcc_lo, s4, v1, vcc_lo
	s_mov_b32 s4, s9
	v_add_co_u32 v14, vcc_lo, v0, v2
	s_delay_alu instid0(VALU_DEP_2) | instskip(SKIP_2) | instid1(VALU_DEP_2)
	v_add_co_ci_u32_e32 v15, vcc_lo, 0, v1, vcc_lo
	s_and_b32 s3, s9, -4
	s_lshr_b64 s[10:11], s[4:5], 2
	v_add_co_u32 v30, vcc_lo, v14, s3
	s_lshl_b64 s[10:11], s[10:11], 3
	v_add_co_ci_u32_e32 v31, vcc_lo, s5, v15, vcc_lo
	v_add_co_u32 v53, vcc_lo, v14, s10
	v_add_co_ci_u32_e32 v54, vcc_lo, s11, v15, vcc_lo
	s_clause 0x8
	global_load_b128 v[0:3], v[14:15], off
	global_load_b128 v[6:9], v[14:15], off offset:512
	global_load_b128 v[10:13], v[14:15], off offset:1024
	;; [unrolled: 1-line block ×3, first 2 shown]
	global_load_b128 v[22:25], v[30:31], off
	global_load_b128 v[26:29], v[30:31], off offset:512
	global_load_b128 v[33:36], v[30:31], off offset:1024
	;; [unrolled: 1-line block ×3, first 2 shown]
	global_load_b128 v[41:44], v[53:54], off
	v_mad_u64_u32 v[30:31], null, v32, 12, v[14:15]
	s_lshr_b32 s3, s5, 2
	s_clause 0x2
	global_load_b128 v[45:48], v[53:54], off offset:512
	global_load_b128 v[49:52], v[53:54], off offset:1024
	;; [unrolled: 1-line block ×3, first 2 shown]
	s_mov_b32 s5, 0
	s_cmp_eq_u64 s[26:27], 0
	v_mov_b32_e32 v14, v31
	s_delay_alu instid0(VALU_DEP_1)
	v_mad_u64_u32 v[31:32], null, s3, 12, v[14:15]
	s_clause 0x3
	global_load_b128 v[57:60], v[30:31], off
	global_load_b128 v[61:64], v[30:31], off offset:512
	global_load_b128 v[65:68], v[30:31], off offset:1024
	;; [unrolled: 1-line block ×3, first 2 shown]
	s_load_b32 s3, s[0:1], 0x40
	v_lshlrev_b32_e32 v32, 12, v4
	s_delay_alu instid0(VALU_DEP_1) | instskip(NEXT) | instid1(VALU_DEP_1)
	v_lshl_or_b32 v77, v17, 3, v32
	v_add_nc_u32_e32 v78, 0x800, v77
	s_waitcnt vmcnt(14) lgkmcnt(0)
	v_fma_mixlo_f16 v30, v6, s3, 0
	v_fma_mixlo_f16 v14, v0, s3, 0
	v_fma_mixlo_f16 v15, v2, s3, 0
	v_fma_mixlo_f16 v31, v8, s3, 0
	s_waitcnt vmcnt(11)
	v_fma_mixlo_f16 v0, v22, s3, 0
	s_waitcnt vmcnt(10)
	v_fma_mixlo_f16 v2, v26, s3, 0
	v_fma_mixhi_f16 v14, v1, s3, 0
	v_fma_mixhi_f16 v15, v3, s3, 0
	v_fma_mixlo_f16 v1, v24, s3, 0
	v_fma_mixlo_f16 v3, v28, s3, 0
	;; [unrolled: 1-line block ×6, first 2 shown]
	v_fma_mixhi_f16 v31, v9, s3, 0
	v_fma_mixhi_f16 v30, v7, s3, 0
	;; [unrolled: 1-line block ×10, first 2 shown]
	s_waitcnt vmcnt(9)
	v_fma_mixlo_f16 v6, v33, s3, 0
	v_fma_mixlo_f16 v7, v35, s3, 0
	s_waitcnt vmcnt(8)
	v_fma_mixlo_f16 v8, v37, s3, 0
	v_fma_mixlo_f16 v9, v39, s3, 0
	;; [unrolled: 3-line block ×6, first 2 shown]
	ds_store_2addr_b64 v77, v[14:15], v[30:31] offset1:32
	ds_store_2addr_b64 v77, v[73:74], v[75:76] offset0:64 offset1:96
	ds_store_2addr_b64 v77, v[0:1], v[2:3] offset0:128 offset1:160
	s_waitcnt vmcnt(3)
	v_fma_mixlo_f16 v0, v57, s3, 0
	v_fma_mixlo_f16 v1, v59, s3, 0
	s_waitcnt vmcnt(2)
	v_fma_mixlo_f16 v2, v61, s3, 0
	v_fma_mixlo_f16 v3, v63, s3, 0
	;; [unrolled: 3-line block ×4, first 2 shown]
	v_fma_mixhi_f16 v7, v36, s3, 0
	v_fma_mixhi_f16 v6, v34, s3, 0
	;; [unrolled: 1-line block ×20, first 2 shown]
	ds_store_2addr_b64 v77, v[6:7], v[8:9] offset0:192 offset1:224
	ds_store_2addr_b64 v78, v[10:11], v[12:13] offset1:32
	ds_store_2addr_b64 v78, v[18:19], v[20:21] offset0:64 offset1:96
	ds_store_2addr_b64 v78, v[0:1], v[2:3] offset0:128 offset1:160
	;; [unrolled: 1-line block ×3, first 2 shown]
	s_waitcnt lgkmcnt(0)
	s_barrier
	buffer_gl0_inv
	s_cbranch_scc1 .LBB29_4
; %bb.3:
	s_load_b32 s3, s[0:1], 0xd0
	s_waitcnt lgkmcnt(0)
	s_mul_i32 s3, s3, s12
	s_delay_alu instid0(SALU_CYCLE_1) | instskip(NEXT) | instid1(SALU_CYCLE_1)
	s_add_i32 s4, s3, s13
	s_lshl_b64 s[4:5], s[4:5], 2
	s_delay_alu instid0(SALU_CYCLE_1)
	s_add_u32 s4, s26, s4
	s_addc_u32 s5, s27, s5
	s_load_b32 s34, s[4:5], 0x0
.LBB29_4:
	v_lshlrev_b32_e32 v31, 2, v17
	v_mbcnt_lo_u32_b32 v33, -1, 0
	s_lshl_b32 s3, s14, 7
	s_waitcnt lgkmcnt(0)
	s_cmp_lt_i32 s3, s34
	s_cbranch_scc1 .LBB29_6
; %bb.5:
	v_mbcnt_lo_u32_b32 v6, -1, 0
	v_mov_b32_e32 v34, 32
	s_mov_b32 s4, 0
	s_mov_b32 s5, 0xfeffffff
	s_delay_alu instid0(VALU_DEP_2)
	v_xor_b32_e32 v50, 16, v6
	v_xor_b32_e32 v15, 8, v6
	;; [unrolled: 1-line block ×5, first 2 shown]
	s_branch .LBB29_7
.LBB29_6:
	s_mov_b32 s4, -1
                                        ; implicit-def: $sgpr5
                                        ; implicit-def: $vgpr6
                                        ; implicit-def: $vgpr34
                                        ; implicit-def: $vgpr50
                                        ; implicit-def: $vgpr15
                                        ; implicit-def: $vgpr14
                                        ; implicit-def: $vgpr13
                                        ; implicit-def: $vgpr12
.LBB29_7:
	s_delay_alu instid0(SALU_CYCLE_1) | instskip(SKIP_2) | instid1(VALU_DEP_3)
	v_cndmask_b32_e64 v0, 0, 1, s4
	v_dual_mov_b32 v3, s5 :: v_dual_mov_b32 v68, s4
	v_dual_mov_b32 v85, s4 :: v_dual_mov_b32 v2, s5
	v_cmp_ne_u32_e32 vcc_lo, 1, v0
	v_dual_mov_b32 v1, s5 :: v_dual_mov_b32 v0, s5
	v_dual_mov_b32 v83, s4 :: v_dual_mov_b32 v82, s4
	;; [unrolled: 1-line block ×17, first 2 shown]
	v_mov_b32_e32 v53, s4
	v_mov_b32_e32 v49, s4
	s_cbranch_vccnz .LBB29_80
; %bb.8:
	s_clause 0x1
	s_load_b128 s[8:11], s[0:1], 0x98
	s_load_b64 s[4:5], s[0:1], 0x8c
	s_sub_i32 s13, 0, s15
	s_abs_i32 s22, s2
	s_mul_i32 s13, s13, s35
	s_ashr_i32 s26, s33, 31
	s_mul_hi_u32 s13, s35, s13
	s_ashr_i32 s27, s39, 1
	s_add_i32 s35, s35, s13
	s_ashr_i32 s23, s2, 31
	s_mul_hi_u32 s33, s22, s35
	s_ashr_i32 s35, s12, 31
	s_load_b64 s[16:17], s[0:1], 0xa8
	s_mul_i32 s38, s33, s15
	v_lshrrev_b32_e32 v0, 3, v17
	v_dual_mov_b32 v49, 0 :: v_dual_and_b32 v12, 28, v31
	v_dual_mov_b32 v92, 0xfeffffff :: v_dual_lshlrev_b32 v11, 10, v4
	s_delay_alu instid0(VALU_DEP_3)
	v_lshl_add_u32 v1, v4, 2, v0
	s_waitcnt lgkmcnt(0)
	s_mul_i32 s39, s35, s8
	s_ashr_i32 s13, s4, 2
	s_mul_i32 s4, s12, s9
	s_mul_hi_u32 s9, s12, s8
	s_mul_i32 s8, s12, s8
	s_add_i32 s4, s9, s4
	s_ashr_i32 s10, s10, 2
	s_add_i32 s4, s4, s39
	s_add_u32 s8, s18, s8
	s_addc_u32 s4, s19, s4
	s_sub_i32 s18, s22, s38
	s_xor_b32 s9, s23, s26
	s_add_i32 s19, s33, 1
	s_sub_i32 s22, s18, s15
	s_cmp_ge_u32 s18, s15
	s_mul_i32 s17, s12, s17
	s_cselect_b32 s19, s19, s33
	s_cselect_b32 s18, s22, s18
	s_add_i32 s22, s19, 1
	s_cmp_ge_u32 s18, s15
	s_mul_hi_u32 s18, s12, s16
	s_cselect_b32 s15, s22, s19
	s_mul_i32 s35, s35, s16
	s_xor_b32 s15, s15, s9
	s_mul_i32 s19, s12, s16
	s_sub_i32 s9, s15, s9
	v_mul_lo_u32 v0, s13, v1
	s_mul_i32 s5, s9, s5
	s_mul_i32 s9, s9, s11
	s_ashr_i32 s16, s5, 31
	s_add_u32 s15, s8, s5
	s_addc_u32 s16, s4, s16
	s_add_i32 s4, s18, s17
	v_mul_lo_u32 v10, s10, v4
	s_add_i32 s4, s4, s35
	s_add_u32 s5, s20, s19
	s_addc_u32 s4, s21, s4
	s_ashr_i32 s8, s9, 31
	s_add_u32 s11, s5, s9
	s_addc_u32 s17, s4, s8
	s_lshl_b32 s4, s13, 5
	v_dual_mov_b32 v48, 0 :: v_dual_lshlrev_b32 v3, 2, v12
	v_dual_mov_b32 v53, 0 :: v_dual_add_nc_u32 v2, s4, v0
	v_dual_mov_b32 v52, 0 :: v_dual_lshlrev_b32 v39, 2, v31
	s_load_b32 s18, s[0:1], 0x54
	s_delay_alu instid0(VALU_DEP_2) | instskip(SKIP_2) | instid1(VALU_DEP_3)
	v_dual_mov_b32 v51, 0 :: v_dual_add_nc_u32 v6, s4, v2
	v_mad_u32_u24 v9, 0x90, v1, v3
	v_mad_u64_u32 v[18:19], null, v5, s27, v[17:18]
	v_dual_mov_b32 v57, 0 :: v_dual_add_nc_u32 v8, s4, v6
	v_dual_mov_b32 v56, 0 :: v_dual_add_nc_u32 v5, v11, v39
	v_lshl_add_u32 v13, v4, 10, v39
	v_lshl_add_u32 v4, s10, 3, v10
	v_dual_mov_b32 v34, 32 :: v_dual_add_nc_u32 v35, 0x8000, v9
	v_ashrrev_i32_e32 v1, 31, v0
	v_dual_mov_b32 v55, 0 :: v_dual_add_nc_u32 v36, 0x9200, v9
	v_ashrrev_i32_e32 v3, 31, v2
	;; [unrolled: 2-line block ×4, first 2 shown]
	v_dual_mov_b32 v58, 0 :: v_dual_add_nc_u32 v41, 0xc800, v11
	v_dual_mov_b32 v62, 0 :: v_dual_add_nc_u32 v43, 0x8000, v5
	v_ashrrev_i32_e32 v11, 31, v10
	v_dual_mov_b32 v61, 0 :: v_dual_add_nc_u32 v44, 0x8200, v5
	v_ashrrev_i32_e32 v5, 31, v4
	v_lshlrev_b64 v[19:20], 2, v[0:1]
	v_lshlrev_b64 v[21:22], 2, v[2:3]
	;; [unrolled: 1-line block ×6, first 2 shown]
	v_mul_u32_u24_e32 v40, 0x90, v17
	v_dual_mov_b32 v63, 0 :: v_dual_lshlrev_b32 v42, 3, v17
	v_dual_mov_b32 v64, 0 :: v_dual_add_nc_u32 v45, 0xa000, v13
	v_dual_mov_b32 v67, 0 :: v_dual_add_nc_u32 v46, 0xa200, v13
	v_dual_mov_b32 v60, 0 :: v_dual_lshlrev_b32 v47, 2, v12
	v_dual_mov_b32 v66, 0 :: v_dual_mov_b32 v71, 0
	v_dual_mov_b32 v69, 0 :: v_dual_mov_b32 v72, 0
	;; [unrolled: 1-line block ×10, first 2 shown]
	v_mov_b32_e32 v86, 0xfeffffff
	v_mov_b32_e32 v84, 0
	s_add_u32 s4, s0, 0xd0
	s_addc_u32 s5, s1, 0
	s_mov_b32 s9, 0
	s_mov_b32 s19, 0xbbbac73d
.LBB29_9:                               ; =>This Loop Header: Depth=1
                                        ;     Child Loop BB29_11 Depth 2
	s_mul_hi_i32 s21, s3, s13
	s_mul_i32 s20, s3, s13
	v_dual_mov_b32 v50, 0 :: v_dual_mov_b32 v99, 0
	s_lshl_b64 s[20:21], s[20:21], 2
	v_dual_mov_b32 v93, 0 :: v_dual_mov_b32 v100, 0
	v_dual_mov_b32 v83, 0 :: v_dual_mov_b32 v102, 0
	;; [unrolled: 1-line block ×6, first 2 shown]
	v_mov_b32_e32 v103, 0
	v_mov_b32_e32 v81, 0
	s_add_u32 s20, s15, s20
	s_addc_u32 s21, s16, s21
	s_mov_b32 s22, s9
	s_branch .LBB29_11
.LBB29_10:                              ;   in Loop: Header=BB29_11 Depth=2
	s_and_b32 vcc_lo, exec_lo, s8
	s_addk_i32 s22, 0x100
	s_cbranch_vccnz .LBB29_13
.LBB29_11:                              ;   Parent Loop BB29_9 Depth=1
                                        ; =>  This Inner Loop Header: Depth=2
	s_lshr_b32 s8, s22, 1
	s_delay_alu instid0(SALU_CYCLE_1) | instskip(NEXT) | instid1(SALU_CYCLE_1)
	s_lshl_b64 s[26:27], s[8:9], 2
	s_add_u32 s8, s20, s26
	s_addc_u32 s23, s21, s27
	v_add_co_u32 v0, vcc_lo, s8, v19
	v_add_co_ci_u32_e32 v1, vcc_lo, s23, v20, vcc_lo
	v_add_co_u32 v2, vcc_lo, s8, v21
	v_add_co_ci_u32_e32 v3, vcc_lo, s23, v22, vcc_lo
	s_delay_alu instid0(VALU_DEP_4) | instskip(NEXT) | instid1(VALU_DEP_4)
	v_add_co_u32 v0, vcc_lo, v0, v47
	v_add_co_ci_u32_e32 v1, vcc_lo, 0, v1, vcc_lo
	s_delay_alu instid0(VALU_DEP_4) | instskip(NEXT) | instid1(VALU_DEP_4)
	v_add_co_u32 v2, vcc_lo, v2, v47
	v_add_co_ci_u32_e32 v3, vcc_lo, 0, v3, vcc_lo
	v_add_co_u32 v4, vcc_lo, s8, v23
	v_add_co_ci_u32_e32 v5, vcc_lo, s23, v24, vcc_lo
	;; [unrolled: 2-line block ×3, first 2 shown]
	s_delay_alu instid0(VALU_DEP_4) | instskip(NEXT) | instid1(VALU_DEP_4)
	v_add_co_u32 v4, vcc_lo, v4, v47
	v_add_co_ci_u32_e32 v5, vcc_lo, 0, v5, vcc_lo
	s_delay_alu instid0(VALU_DEP_4) | instskip(NEXT) | instid1(VALU_DEP_4)
	v_add_co_u32 v6, vcc_lo, v6, v47
	v_add_co_ci_u32_e32 v7, vcc_lo, 0, v7, vcc_lo
	s_clause 0x3
	global_load_b128 v[9:12], v[0:1], off
	global_load_b128 v[104:107], v[2:3], off
	;; [unrolled: 1-line block ×4, first 2 shown]
	s_lshl_b32 s8, s22, 1
	s_or_b32 s23, s22, 0xc0
	v_add_nc_u32_e32 v8, s8, v32
	s_waitcnt vmcnt(3)
	ds_store_b128 v35, v[9:12]
	s_waitcnt vmcnt(2)
	ds_store_b128 v36, v[104:107]
	s_waitcnt vmcnt(1)
	ds_store_b128 v37, v[108:111]
	s_waitcnt vmcnt(0)
	ds_store_b128 v38, v[112:115]
	s_waitcnt lgkmcnt(0)
	s_barrier
	buffer_gl0_inv
	ds_load_b128 v[9:12], v40 offset:32768
	ds_load_b128 v[104:107], v8
	ds_load_b128 v[108:111], v8 offset:1024
	ds_load_b128 v[112:115], v8 offset:2048
	;; [unrolled: 1-line block ×6, first 2 shown]
	s_waitcnt lgkmcnt(6)
	;;#ASMSTART
	v_dot2_f32_f16 v50, v9, v104, v50
	;;#ASMEND
	;;#ASMSTART
	v_dot2_f32_f16 v50, v10, v105, v50
	;;#ASMEND
	;;#ASMSTART
	v_dot2_f32_f16 v50, v11, v106, v50
	;;#ASMEND
	;;#ASMSTART
	v_dot2_f32_f16 v50, v12, v107, v50
	;;#ASMEND
	s_waitcnt lgkmcnt(5)
	;;#ASMSTART
	v_dot2_f32_f16 v99, v9, v108, v99
	;;#ASMEND
	;;#ASMSTART
	v_dot2_f32_f16 v99, v10, v109, v99
	;;#ASMEND
	;;#ASMSTART
	v_dot2_f32_f16 v99, v11, v110, v99
	;;#ASMEND
	;;#ASMSTART
	v_dot2_f32_f16 v99, v12, v111, v99
	;;#ASMEND
	;; [unrolled: 13-line block ×5, first 2 shown]
	;;#ASMSTART
	v_dot2_f32_f16 v100, v120, v108, v100
	;;#ASMEND
	;;#ASMSTART
	v_dot2_f32_f16 v100, v121, v109, v100
	;;#ASMEND
	;; [unrolled: 3-line block ×12, first 2 shown]
	s_waitcnt lgkmcnt(1)
	;;#ASMSTART
	v_dot2_f32_f16 v102, v124, v104, v102
	;;#ASMEND
	;;#ASMSTART
	v_dot2_f32_f16 v102, v125, v105, v102
	;;#ASMEND
	;; [unrolled: 3-line block ×16, first 2 shown]
	s_waitcnt lgkmcnt(0)
	;;#ASMSTART
	v_dot2_f32_f16 v103, v128, v104, v103
	;;#ASMEND
	;;#ASMSTART
	v_dot2_f32_f16 v103, v129, v105, v103
	;;#ASMEND
	;; [unrolled: 3-line block ×16, first 2 shown]
	ds_load_b128 v[9:12], v40 offset:32784
	ds_load_b128 v[104:107], v8 offset:16
	;; [unrolled: 1-line block ×8, first 2 shown]
	s_waitcnt lgkmcnt(6)
	;;#ASMSTART
	v_dot2_f32_f16 v50, v9, v104, v50
	;;#ASMEND
	;;#ASMSTART
	v_dot2_f32_f16 v50, v10, v105, v50
	;;#ASMEND
	;;#ASMSTART
	v_dot2_f32_f16 v50, v11, v106, v50
	;;#ASMEND
	;;#ASMSTART
	v_dot2_f32_f16 v50, v12, v107, v50
	;;#ASMEND
	s_waitcnt lgkmcnt(5)
	;;#ASMSTART
	v_dot2_f32_f16 v99, v9, v108, v99
	;;#ASMEND
	;;#ASMSTART
	v_dot2_f32_f16 v99, v10, v109, v99
	;;#ASMEND
	;;#ASMSTART
	v_dot2_f32_f16 v99, v11, v110, v99
	;;#ASMEND
	;;#ASMSTART
	v_dot2_f32_f16 v99, v12, v111, v99
	;;#ASMEND
	;; [unrolled: 13-line block ×5, first 2 shown]
	;;#ASMSTART
	v_dot2_f32_f16 v100, v120, v108, v100
	;;#ASMEND
	;;#ASMSTART
	v_dot2_f32_f16 v100, v121, v109, v100
	;;#ASMEND
	;; [unrolled: 3-line block ×12, first 2 shown]
	s_waitcnt lgkmcnt(1)
	;;#ASMSTART
	v_dot2_f32_f16 v102, v124, v104, v102
	;;#ASMEND
	;;#ASMSTART
	v_dot2_f32_f16 v102, v125, v105, v102
	;;#ASMEND
	;; [unrolled: 3-line block ×16, first 2 shown]
	s_waitcnt lgkmcnt(0)
	;;#ASMSTART
	v_dot2_f32_f16 v103, v128, v104, v103
	;;#ASMEND
	;;#ASMSTART
	v_dot2_f32_f16 v103, v129, v105, v103
	;;#ASMEND
	;; [unrolled: 3-line block ×16, first 2 shown]
	ds_load_b128 v[9:12], v40 offset:32800
	ds_load_b128 v[104:107], v8 offset:32
	;; [unrolled: 1-line block ×8, first 2 shown]
	s_waitcnt lgkmcnt(6)
	;;#ASMSTART
	v_dot2_f32_f16 v50, v9, v104, v50
	;;#ASMEND
	;;#ASMSTART
	v_dot2_f32_f16 v50, v10, v105, v50
	;;#ASMEND
	;;#ASMSTART
	v_dot2_f32_f16 v50, v11, v106, v50
	;;#ASMEND
	;;#ASMSTART
	v_dot2_f32_f16 v50, v12, v107, v50
	;;#ASMEND
	s_waitcnt lgkmcnt(5)
	;;#ASMSTART
	v_dot2_f32_f16 v99, v9, v108, v99
	;;#ASMEND
	;;#ASMSTART
	v_dot2_f32_f16 v99, v10, v109, v99
	;;#ASMEND
	;;#ASMSTART
	v_dot2_f32_f16 v99, v11, v110, v99
	;;#ASMEND
	;;#ASMSTART
	v_dot2_f32_f16 v99, v12, v111, v99
	;;#ASMEND
	;; [unrolled: 13-line block ×5, first 2 shown]
	;;#ASMSTART
	v_dot2_f32_f16 v100, v120, v108, v100
	;;#ASMEND
	;;#ASMSTART
	v_dot2_f32_f16 v100, v121, v109, v100
	;;#ASMEND
	;; [unrolled: 3-line block ×12, first 2 shown]
	s_waitcnt lgkmcnt(1)
	;;#ASMSTART
	v_dot2_f32_f16 v102, v124, v104, v102
	;;#ASMEND
	;;#ASMSTART
	v_dot2_f32_f16 v102, v125, v105, v102
	;;#ASMEND
	;; [unrolled: 3-line block ×16, first 2 shown]
	s_waitcnt lgkmcnt(0)
	;;#ASMSTART
	v_dot2_f32_f16 v103, v128, v104, v103
	;;#ASMEND
	;;#ASMSTART
	v_dot2_f32_f16 v103, v129, v105, v103
	;;#ASMEND
	;; [unrolled: 3-line block ×16, first 2 shown]
	ds_load_b128 v[9:12], v40 offset:32816
	ds_load_b128 v[104:107], v8 offset:48
	;; [unrolled: 1-line block ×8, first 2 shown]
	s_waitcnt lgkmcnt(6)
	;;#ASMSTART
	v_dot2_f32_f16 v50, v9, v104, v50
	;;#ASMEND
	;;#ASMSTART
	v_dot2_f32_f16 v50, v10, v105, v50
	;;#ASMEND
	;;#ASMSTART
	v_dot2_f32_f16 v50, v11, v106, v50
	;;#ASMEND
	;;#ASMSTART
	v_dot2_f32_f16 v50, v12, v107, v50
	;;#ASMEND
	s_waitcnt lgkmcnt(5)
	;;#ASMSTART
	v_dot2_f32_f16 v99, v9, v108, v99
	;;#ASMEND
	;;#ASMSTART
	v_dot2_f32_f16 v99, v10, v109, v99
	;;#ASMEND
	;;#ASMSTART
	v_dot2_f32_f16 v99, v11, v110, v99
	;;#ASMEND
	;;#ASMSTART
	v_dot2_f32_f16 v99, v12, v111, v99
	;;#ASMEND
	;; [unrolled: 13-line block ×5, first 2 shown]
	;;#ASMSTART
	v_dot2_f32_f16 v100, v120, v108, v100
	;;#ASMEND
	;;#ASMSTART
	v_dot2_f32_f16 v100, v121, v109, v100
	;;#ASMEND
	;; [unrolled: 3-line block ×12, first 2 shown]
	s_waitcnt lgkmcnt(1)
	;;#ASMSTART
	v_dot2_f32_f16 v102, v124, v104, v102
	;;#ASMEND
	;;#ASMSTART
	v_dot2_f32_f16 v102, v125, v105, v102
	;;#ASMEND
	;; [unrolled: 3-line block ×16, first 2 shown]
	s_waitcnt lgkmcnt(0)
	;;#ASMSTART
	v_dot2_f32_f16 v103, v128, v104, v103
	;;#ASMEND
	;;#ASMSTART
	v_dot2_f32_f16 v103, v129, v105, v103
	;;#ASMEND
	;; [unrolled: 3-line block ×16, first 2 shown]
	ds_load_b128 v[9:12], v40 offset:32832
	ds_load_b128 v[104:107], v8 offset:64
	;; [unrolled: 1-line block ×8, first 2 shown]
	s_waitcnt lgkmcnt(6)
	;;#ASMSTART
	v_dot2_f32_f16 v50, v9, v104, v50
	;;#ASMEND
	;;#ASMSTART
	v_dot2_f32_f16 v50, v10, v105, v50
	;;#ASMEND
	;;#ASMSTART
	v_dot2_f32_f16 v50, v11, v106, v50
	;;#ASMEND
	;;#ASMSTART
	v_dot2_f32_f16 v50, v12, v107, v50
	;;#ASMEND
	s_waitcnt lgkmcnt(5)
	;;#ASMSTART
	v_dot2_f32_f16 v99, v9, v108, v99
	;;#ASMEND
	;;#ASMSTART
	v_dot2_f32_f16 v99, v10, v109, v99
	;;#ASMEND
	;;#ASMSTART
	v_dot2_f32_f16 v99, v11, v110, v99
	;;#ASMEND
	;;#ASMSTART
	v_dot2_f32_f16 v99, v12, v111, v99
	;;#ASMEND
	;; [unrolled: 13-line block ×5, first 2 shown]
	;;#ASMSTART
	v_dot2_f32_f16 v100, v120, v108, v100
	;;#ASMEND
	;;#ASMSTART
	v_dot2_f32_f16 v100, v121, v109, v100
	;;#ASMEND
	;;#ASMSTART
	v_dot2_f32_f16 v100, v122, v110, v100
	;;#ASMEND
	;;#ASMSTART
	v_dot2_f32_f16 v100, v123, v111, v100
	;;#ASMEND
	;;#ASMSTART
	v_dot2_f32_f16 v95, v120, v112, v95
	;;#ASMEND
	;;#ASMSTART
	v_dot2_f32_f16 v95, v121, v113, v95
	;;#ASMEND
	;;#ASMSTART
	v_dot2_f32_f16 v95, v122, v114, v95
	;;#ASMEND
	;;#ASMSTART
	v_dot2_f32_f16 v95, v123, v115, v95
	;;#ASMEND
	;;#ASMSTART
	v_dot2_f32_f16 v85, v120, v116, v85
	;;#ASMEND
	;;#ASMSTART
	v_dot2_f32_f16 v85, v121, v117, v85
	;;#ASMEND
	;;#ASMSTART
	v_dot2_f32_f16 v85, v122, v118, v85
	;;#ASMEND
	;;#ASMSTART
	v_dot2_f32_f16 v85, v123, v119, v85
	;;#ASMEND
	s_waitcnt lgkmcnt(1)
	;;#ASMSTART
	v_dot2_f32_f16 v102, v124, v104, v102
	;;#ASMEND
	;;#ASMSTART
	v_dot2_f32_f16 v102, v125, v105, v102
	;;#ASMEND
	;; [unrolled: 3-line block ×16, first 2 shown]
	s_waitcnt lgkmcnt(0)
	;;#ASMSTART
	v_dot2_f32_f16 v103, v128, v104, v103
	;;#ASMEND
	;;#ASMSTART
	v_dot2_f32_f16 v103, v129, v105, v103
	;;#ASMEND
	;; [unrolled: 3-line block ×16, first 2 shown]
	ds_load_b128 v[9:12], v40 offset:32848
	ds_load_b128 v[104:107], v8 offset:80
	;; [unrolled: 1-line block ×8, first 2 shown]
	s_waitcnt lgkmcnt(6)
	;;#ASMSTART
	v_dot2_f32_f16 v50, v9, v104, v50
	;;#ASMEND
	;;#ASMSTART
	v_dot2_f32_f16 v50, v10, v105, v50
	;;#ASMEND
	;;#ASMSTART
	v_dot2_f32_f16 v50, v11, v106, v50
	;;#ASMEND
	;;#ASMSTART
	v_dot2_f32_f16 v50, v12, v107, v50
	;;#ASMEND
	s_waitcnt lgkmcnt(5)
	;;#ASMSTART
	v_dot2_f32_f16 v99, v9, v108, v99
	;;#ASMEND
	;;#ASMSTART
	v_dot2_f32_f16 v99, v10, v109, v99
	;;#ASMEND
	;;#ASMSTART
	v_dot2_f32_f16 v99, v11, v110, v99
	;;#ASMEND
	;;#ASMSTART
	v_dot2_f32_f16 v99, v12, v111, v99
	;;#ASMEND
	;; [unrolled: 13-line block ×5, first 2 shown]
	;;#ASMSTART
	v_dot2_f32_f16 v100, v120, v108, v100
	;;#ASMEND
	;;#ASMSTART
	v_dot2_f32_f16 v100, v121, v109, v100
	;;#ASMEND
	;; [unrolled: 3-line block ×12, first 2 shown]
	s_waitcnt lgkmcnt(1)
	;;#ASMSTART
	v_dot2_f32_f16 v102, v124, v104, v102
	;;#ASMEND
	;;#ASMSTART
	v_dot2_f32_f16 v102, v125, v105, v102
	;;#ASMEND
	;; [unrolled: 3-line block ×16, first 2 shown]
	s_waitcnt lgkmcnt(0)
	;;#ASMSTART
	v_dot2_f32_f16 v103, v128, v104, v103
	;;#ASMEND
	;;#ASMSTART
	v_dot2_f32_f16 v103, v129, v105, v103
	;;#ASMEND
	;; [unrolled: 3-line block ×16, first 2 shown]
	ds_load_b128 v[9:12], v40 offset:32864
	ds_load_b128 v[104:107], v8 offset:96
	ds_load_b128 v[108:111], v8 offset:1120
	ds_load_b128 v[112:115], v8 offset:2144
	ds_load_b128 v[116:119], v8 offset:3168
	ds_load_b128 v[120:123], v40 offset:37472
	ds_load_b128 v[124:127], v40 offset:42080
	ds_load_b128 v[128:131], v40 offset:46688
	s_waitcnt lgkmcnt(6)
	;;#ASMSTART
	v_dot2_f32_f16 v50, v9, v104, v50
	;;#ASMEND
	;;#ASMSTART
	v_dot2_f32_f16 v50, v10, v105, v50
	;;#ASMEND
	;;#ASMSTART
	v_dot2_f32_f16 v50, v11, v106, v50
	;;#ASMEND
	;;#ASMSTART
	v_dot2_f32_f16 v50, v12, v107, v50
	;;#ASMEND
	s_waitcnt lgkmcnt(5)
	;;#ASMSTART
	v_dot2_f32_f16 v99, v9, v108, v99
	;;#ASMEND
	;;#ASMSTART
	v_dot2_f32_f16 v99, v10, v109, v99
	;;#ASMEND
	;;#ASMSTART
	v_dot2_f32_f16 v99, v11, v110, v99
	;;#ASMEND
	;;#ASMSTART
	v_dot2_f32_f16 v99, v12, v111, v99
	;;#ASMEND
	;; [unrolled: 13-line block ×5, first 2 shown]
	;;#ASMSTART
	v_dot2_f32_f16 v100, v120, v108, v100
	;;#ASMEND
	;;#ASMSTART
	v_dot2_f32_f16 v100, v121, v109, v100
	;;#ASMEND
	;; [unrolled: 3-line block ×12, first 2 shown]
	s_waitcnt lgkmcnt(1)
	;;#ASMSTART
	v_dot2_f32_f16 v102, v124, v104, v102
	;;#ASMEND
	;;#ASMSTART
	v_dot2_f32_f16 v102, v125, v105, v102
	;;#ASMEND
	;;#ASMSTART
	v_dot2_f32_f16 v102, v126, v106, v102
	;;#ASMEND
	;;#ASMSTART
	v_dot2_f32_f16 v102, v127, v107, v102
	;;#ASMEND
	;;#ASMSTART
	v_dot2_f32_f16 v97, v124, v108, v97
	;;#ASMEND
	;;#ASMSTART
	v_dot2_f32_f16 v97, v125, v109, v97
	;;#ASMEND
	;;#ASMSTART
	v_dot2_f32_f16 v97, v126, v110, v97
	;;#ASMEND
	;;#ASMSTART
	v_dot2_f32_f16 v97, v127, v111, v97
	;;#ASMEND
	;;#ASMSTART
	v_dot2_f32_f16 v96, v124, v112, v96
	;;#ASMEND
	;;#ASMSTART
	v_dot2_f32_f16 v96, v125, v113, v96
	;;#ASMEND
	;;#ASMSTART
	v_dot2_f32_f16 v96, v126, v114, v96
	;;#ASMEND
	;;#ASMSTART
	v_dot2_f32_f16 v96, v127, v115, v96
	;;#ASMEND
	;;#ASMSTART
	v_dot2_f32_f16 v82, v124, v116, v82
	;;#ASMEND
	;;#ASMSTART
	v_dot2_f32_f16 v82, v125, v117, v82
	;;#ASMEND
	;;#ASMSTART
	v_dot2_f32_f16 v82, v126, v118, v82
	;;#ASMEND
	;;#ASMSTART
	v_dot2_f32_f16 v82, v127, v119, v82
	;;#ASMEND
	s_waitcnt lgkmcnt(0)
	;;#ASMSTART
	v_dot2_f32_f16 v103, v128, v104, v103
	;;#ASMEND
	;;#ASMSTART
	v_dot2_f32_f16 v103, v129, v105, v103
	;;#ASMEND
	;; [unrolled: 3-line block ×16, first 2 shown]
	ds_load_b128 v[9:12], v40 offset:32880
	ds_load_b128 v[104:107], v8 offset:112
	ds_load_b128 v[108:111], v8 offset:1136
	ds_load_b128 v[112:115], v8 offset:2160
	ds_load_b128 v[116:119], v8 offset:3184
	ds_load_b128 v[120:123], v40 offset:37488
	ds_load_b128 v[124:127], v40 offset:42096
	ds_load_b128 v[128:131], v40 offset:46704
	s_waitcnt lgkmcnt(6)
	;;#ASMSTART
	v_dot2_f32_f16 v50, v9, v104, v50
	;;#ASMEND
	;;#ASMSTART
	v_dot2_f32_f16 v50, v10, v105, v50
	;;#ASMEND
	;;#ASMSTART
	v_dot2_f32_f16 v50, v11, v106, v50
	;;#ASMEND
	;;#ASMSTART
	v_dot2_f32_f16 v50, v12, v107, v50
	;;#ASMEND
	s_waitcnt lgkmcnt(5)
	;;#ASMSTART
	v_dot2_f32_f16 v99, v9, v108, v99
	;;#ASMEND
	;;#ASMSTART
	v_dot2_f32_f16 v99, v10, v109, v99
	;;#ASMEND
	;;#ASMSTART
	v_dot2_f32_f16 v99, v11, v110, v99
	;;#ASMEND
	;;#ASMSTART
	v_dot2_f32_f16 v99, v12, v111, v99
	;;#ASMEND
	s_waitcnt lgkmcnt(4)
	;;#ASMSTART
	v_dot2_f32_f16 v93, v9, v112, v93
	;;#ASMEND
	;;#ASMSTART
	v_dot2_f32_f16 v93, v10, v113, v93
	;;#ASMEND
	;;#ASMSTART
	v_dot2_f32_f16 v93, v11, v114, v93
	;;#ASMEND
	;;#ASMSTART
	v_dot2_f32_f16 v93, v12, v115, v93
	;;#ASMEND
	s_waitcnt lgkmcnt(3)
	;;#ASMSTART
	v_dot2_f32_f16 v83, v9, v116, v83
	;;#ASMEND
	;;#ASMSTART
	v_dot2_f32_f16 v83, v10, v117, v83
	;;#ASMEND
	;;#ASMSTART
	v_dot2_f32_f16 v83, v11, v118, v83
	;;#ASMEND
	;;#ASMSTART
	v_dot2_f32_f16 v83, v12, v119, v83
	;;#ASMEND
	s_waitcnt lgkmcnt(2)
	;;#ASMSTART
	v_dot2_f32_f16 v101, v120, v104, v101
	;;#ASMEND
	;;#ASMSTART
	v_dot2_f32_f16 v101, v121, v105, v101
	;;#ASMEND
	;;#ASMSTART
	v_dot2_f32_f16 v101, v122, v106, v101
	;;#ASMEND
	;;#ASMSTART
	v_dot2_f32_f16 v101, v123, v107, v101
	;;#ASMEND
	;;#ASMSTART
	v_dot2_f32_f16 v100, v120, v108, v100
	;;#ASMEND
	;;#ASMSTART
	v_dot2_f32_f16 v100, v121, v109, v100
	;;#ASMEND
	;; [unrolled: 3-line block ×12, first 2 shown]
	s_waitcnt lgkmcnt(1)
	;;#ASMSTART
	v_dot2_f32_f16 v102, v124, v104, v102
	;;#ASMEND
	;;#ASMSTART
	v_dot2_f32_f16 v102, v125, v105, v102
	;;#ASMEND
	;; [unrolled: 3-line block ×16, first 2 shown]
	s_waitcnt lgkmcnt(0)
	;;#ASMSTART
	v_dot2_f32_f16 v103, v128, v104, v103
	;;#ASMEND
	;;#ASMSTART
	v_dot2_f32_f16 v103, v129, v105, v103
	;;#ASMEND
	;; [unrolled: 3-line block ×16, first 2 shown]
	s_barrier
	buffer_gl0_inv
	s_clause 0x3
	global_load_b128 v[10:13], v[0:1], off offset:128
	global_load_b128 v[104:107], v[2:3], off offset:128
	;; [unrolled: 1-line block ×4, first 2 shown]
	v_add3_u32 v9, 0x80, s8, v32
	s_waitcnt vmcnt(3)
	ds_store_b128 v35, v[10:13]
	s_waitcnt vmcnt(2)
	ds_store_b128 v36, v[104:107]
	;; [unrolled: 2-line block ×4, first 2 shown]
	s_waitcnt lgkmcnt(0)
	s_barrier
	buffer_gl0_inv
	ds_load_b128 v[10:13], v40 offset:32768
	ds_load_b128 v[104:107], v8 offset:128
	;; [unrolled: 1-line block ×8, first 2 shown]
	s_waitcnt lgkmcnt(6)
	;;#ASMSTART
	v_dot2_f32_f16 v50, v10, v104, v50
	;;#ASMEND
	;;#ASMSTART
	v_dot2_f32_f16 v50, v11, v105, v50
	;;#ASMEND
	;;#ASMSTART
	v_dot2_f32_f16 v50, v12, v106, v50
	;;#ASMEND
	;;#ASMSTART
	v_dot2_f32_f16 v50, v13, v107, v50
	;;#ASMEND
	s_waitcnt lgkmcnt(5)
	;;#ASMSTART
	v_dot2_f32_f16 v99, v10, v108, v99
	;;#ASMEND
	;;#ASMSTART
	v_dot2_f32_f16 v99, v11, v109, v99
	;;#ASMEND
	;;#ASMSTART
	v_dot2_f32_f16 v99, v12, v110, v99
	;;#ASMEND
	;;#ASMSTART
	v_dot2_f32_f16 v99, v13, v111, v99
	;;#ASMEND
	;; [unrolled: 13-line block ×5, first 2 shown]
	;;#ASMSTART
	v_dot2_f32_f16 v100, v120, v108, v100
	;;#ASMEND
	;;#ASMSTART
	v_dot2_f32_f16 v100, v121, v109, v100
	;;#ASMEND
	;;#ASMSTART
	v_dot2_f32_f16 v100, v122, v110, v100
	;;#ASMEND
	;;#ASMSTART
	v_dot2_f32_f16 v100, v123, v111, v100
	;;#ASMEND
	;;#ASMSTART
	v_dot2_f32_f16 v95, v120, v112, v95
	;;#ASMEND
	;;#ASMSTART
	v_dot2_f32_f16 v95, v121, v113, v95
	;;#ASMEND
	;;#ASMSTART
	v_dot2_f32_f16 v95, v122, v114, v95
	;;#ASMEND
	;;#ASMSTART
	v_dot2_f32_f16 v95, v123, v115, v95
	;;#ASMEND
	;;#ASMSTART
	v_dot2_f32_f16 v85, v120, v116, v85
	;;#ASMEND
	;;#ASMSTART
	v_dot2_f32_f16 v85, v121, v117, v85
	;;#ASMEND
	;;#ASMSTART
	v_dot2_f32_f16 v85, v122, v118, v85
	;;#ASMEND
	;;#ASMSTART
	v_dot2_f32_f16 v85, v123, v119, v85
	;;#ASMEND
	s_waitcnt lgkmcnt(1)
	;;#ASMSTART
	v_dot2_f32_f16 v102, v124, v104, v102
	;;#ASMEND
	;;#ASMSTART
	v_dot2_f32_f16 v102, v125, v105, v102
	;;#ASMEND
	;; [unrolled: 3-line block ×16, first 2 shown]
	s_waitcnt lgkmcnt(0)
	;;#ASMSTART
	v_dot2_f32_f16 v103, v128, v104, v103
	;;#ASMEND
	;;#ASMSTART
	v_dot2_f32_f16 v103, v129, v105, v103
	;;#ASMEND
	;; [unrolled: 3-line block ×16, first 2 shown]
	ds_load_b128 v[10:13], v40 offset:32784
	ds_load_b128 v[104:107], v9 offset:16
	;; [unrolled: 1-line block ×8, first 2 shown]
	s_waitcnt lgkmcnt(6)
	;;#ASMSTART
	v_dot2_f32_f16 v50, v10, v104, v50
	;;#ASMEND
	;;#ASMSTART
	v_dot2_f32_f16 v50, v11, v105, v50
	;;#ASMEND
	;;#ASMSTART
	v_dot2_f32_f16 v50, v12, v106, v50
	;;#ASMEND
	;;#ASMSTART
	v_dot2_f32_f16 v50, v13, v107, v50
	;;#ASMEND
	s_waitcnt lgkmcnt(5)
	;;#ASMSTART
	v_dot2_f32_f16 v99, v10, v108, v99
	;;#ASMEND
	;;#ASMSTART
	v_dot2_f32_f16 v99, v11, v109, v99
	;;#ASMEND
	;;#ASMSTART
	v_dot2_f32_f16 v99, v12, v110, v99
	;;#ASMEND
	;;#ASMSTART
	v_dot2_f32_f16 v99, v13, v111, v99
	;;#ASMEND
	;; [unrolled: 13-line block ×5, first 2 shown]
	;;#ASMSTART
	v_dot2_f32_f16 v100, v120, v108, v100
	;;#ASMEND
	;;#ASMSTART
	v_dot2_f32_f16 v100, v121, v109, v100
	;;#ASMEND
	;; [unrolled: 3-line block ×12, first 2 shown]
	s_waitcnt lgkmcnt(1)
	;;#ASMSTART
	v_dot2_f32_f16 v102, v124, v104, v102
	;;#ASMEND
	;;#ASMSTART
	v_dot2_f32_f16 v102, v125, v105, v102
	;;#ASMEND
	;; [unrolled: 3-line block ×16, first 2 shown]
	s_waitcnt lgkmcnt(0)
	;;#ASMSTART
	v_dot2_f32_f16 v103, v128, v104, v103
	;;#ASMEND
	;;#ASMSTART
	v_dot2_f32_f16 v103, v129, v105, v103
	;;#ASMEND
	;; [unrolled: 3-line block ×16, first 2 shown]
	ds_load_b128 v[10:13], v40 offset:32800
	ds_load_b128 v[104:107], v9 offset:32
	;; [unrolled: 1-line block ×8, first 2 shown]
	s_waitcnt lgkmcnt(6)
	;;#ASMSTART
	v_dot2_f32_f16 v50, v10, v104, v50
	;;#ASMEND
	;;#ASMSTART
	v_dot2_f32_f16 v50, v11, v105, v50
	;;#ASMEND
	;;#ASMSTART
	v_dot2_f32_f16 v50, v12, v106, v50
	;;#ASMEND
	;;#ASMSTART
	v_dot2_f32_f16 v50, v13, v107, v50
	;;#ASMEND
	s_waitcnt lgkmcnt(5)
	;;#ASMSTART
	v_dot2_f32_f16 v99, v10, v108, v99
	;;#ASMEND
	;;#ASMSTART
	v_dot2_f32_f16 v99, v11, v109, v99
	;;#ASMEND
	;;#ASMSTART
	v_dot2_f32_f16 v99, v12, v110, v99
	;;#ASMEND
	;;#ASMSTART
	v_dot2_f32_f16 v99, v13, v111, v99
	;;#ASMEND
	;; [unrolled: 13-line block ×5, first 2 shown]
	;;#ASMSTART
	v_dot2_f32_f16 v100, v120, v108, v100
	;;#ASMEND
	;;#ASMSTART
	v_dot2_f32_f16 v100, v121, v109, v100
	;;#ASMEND
	;; [unrolled: 3-line block ×12, first 2 shown]
	s_waitcnt lgkmcnt(1)
	;;#ASMSTART
	v_dot2_f32_f16 v102, v124, v104, v102
	;;#ASMEND
	;;#ASMSTART
	v_dot2_f32_f16 v102, v125, v105, v102
	;;#ASMEND
	;; [unrolled: 3-line block ×16, first 2 shown]
	s_waitcnt lgkmcnt(0)
	;;#ASMSTART
	v_dot2_f32_f16 v103, v128, v104, v103
	;;#ASMEND
	;;#ASMSTART
	v_dot2_f32_f16 v103, v129, v105, v103
	;;#ASMEND
	;;#ASMSTART
	v_dot2_f32_f16 v103, v130, v106, v103
	;;#ASMEND
	;;#ASMSTART
	v_dot2_f32_f16 v103, v131, v107, v103
	;;#ASMEND
	;;#ASMSTART
	v_dot2_f32_f16 v98, v128, v108, v98
	;;#ASMEND
	;;#ASMSTART
	v_dot2_f32_f16 v98, v129, v109, v98
	;;#ASMEND
	;;#ASMSTART
	v_dot2_f32_f16 v98, v130, v110, v98
	;;#ASMEND
	;;#ASMSTART
	v_dot2_f32_f16 v98, v131, v111, v98
	;;#ASMEND
	;;#ASMSTART
	v_dot2_f32_f16 v94, v128, v112, v94
	;;#ASMEND
	;;#ASMSTART
	v_dot2_f32_f16 v94, v129, v113, v94
	;;#ASMEND
	;;#ASMSTART
	v_dot2_f32_f16 v94, v130, v114, v94
	;;#ASMEND
	;;#ASMSTART
	v_dot2_f32_f16 v94, v131, v115, v94
	;;#ASMEND
	;;#ASMSTART
	v_dot2_f32_f16 v81, v128, v116, v81
	;;#ASMEND
	;;#ASMSTART
	v_dot2_f32_f16 v81, v129, v117, v81
	;;#ASMEND
	;;#ASMSTART
	v_dot2_f32_f16 v81, v130, v118, v81
	;;#ASMEND
	;;#ASMSTART
	v_dot2_f32_f16 v81, v131, v119, v81
	;;#ASMEND
	ds_load_b128 v[10:13], v40 offset:32816
	ds_load_b128 v[104:107], v9 offset:48
	;; [unrolled: 1-line block ×8, first 2 shown]
	s_waitcnt lgkmcnt(6)
	;;#ASMSTART
	v_dot2_f32_f16 v50, v10, v104, v50
	;;#ASMEND
	;;#ASMSTART
	v_dot2_f32_f16 v50, v11, v105, v50
	;;#ASMEND
	;;#ASMSTART
	v_dot2_f32_f16 v50, v12, v106, v50
	;;#ASMEND
	;;#ASMSTART
	v_dot2_f32_f16 v50, v13, v107, v50
	;;#ASMEND
	s_waitcnt lgkmcnt(5)
	;;#ASMSTART
	v_dot2_f32_f16 v99, v10, v108, v99
	;;#ASMEND
	;;#ASMSTART
	v_dot2_f32_f16 v99, v11, v109, v99
	;;#ASMEND
	;;#ASMSTART
	v_dot2_f32_f16 v99, v12, v110, v99
	;;#ASMEND
	;;#ASMSTART
	v_dot2_f32_f16 v99, v13, v111, v99
	;;#ASMEND
	;; [unrolled: 13-line block ×5, first 2 shown]
	;;#ASMSTART
	v_dot2_f32_f16 v100, v120, v108, v100
	;;#ASMEND
	;;#ASMSTART
	v_dot2_f32_f16 v100, v121, v109, v100
	;;#ASMEND
	;; [unrolled: 3-line block ×12, first 2 shown]
	s_waitcnt lgkmcnt(1)
	;;#ASMSTART
	v_dot2_f32_f16 v102, v124, v104, v102
	;;#ASMEND
	;;#ASMSTART
	v_dot2_f32_f16 v102, v125, v105, v102
	;;#ASMEND
	;; [unrolled: 3-line block ×16, first 2 shown]
	s_waitcnt lgkmcnt(0)
	;;#ASMSTART
	v_dot2_f32_f16 v103, v128, v104, v103
	;;#ASMEND
	;;#ASMSTART
	v_dot2_f32_f16 v103, v129, v105, v103
	;;#ASMEND
	;; [unrolled: 3-line block ×16, first 2 shown]
	ds_load_b128 v[10:13], v40 offset:32832
	ds_load_b128 v[104:107], v9 offset:64
	;; [unrolled: 1-line block ×8, first 2 shown]
	s_waitcnt lgkmcnt(6)
	;;#ASMSTART
	v_dot2_f32_f16 v50, v10, v104, v50
	;;#ASMEND
	;;#ASMSTART
	v_dot2_f32_f16 v50, v11, v105, v50
	;;#ASMEND
	;;#ASMSTART
	v_dot2_f32_f16 v50, v12, v106, v50
	;;#ASMEND
	;;#ASMSTART
	v_dot2_f32_f16 v50, v13, v107, v50
	;;#ASMEND
	s_waitcnt lgkmcnt(5)
	;;#ASMSTART
	v_dot2_f32_f16 v99, v10, v108, v99
	;;#ASMEND
	;;#ASMSTART
	v_dot2_f32_f16 v99, v11, v109, v99
	;;#ASMEND
	;;#ASMSTART
	v_dot2_f32_f16 v99, v12, v110, v99
	;;#ASMEND
	;;#ASMSTART
	v_dot2_f32_f16 v99, v13, v111, v99
	;;#ASMEND
	;; [unrolled: 13-line block ×5, first 2 shown]
	;;#ASMSTART
	v_dot2_f32_f16 v100, v120, v108, v100
	;;#ASMEND
	;;#ASMSTART
	v_dot2_f32_f16 v100, v121, v109, v100
	;;#ASMEND
	;; [unrolled: 3-line block ×12, first 2 shown]
	s_waitcnt lgkmcnt(1)
	;;#ASMSTART
	v_dot2_f32_f16 v102, v124, v104, v102
	;;#ASMEND
	;;#ASMSTART
	v_dot2_f32_f16 v102, v125, v105, v102
	;;#ASMEND
	;; [unrolled: 3-line block ×16, first 2 shown]
	s_waitcnt lgkmcnt(0)
	;;#ASMSTART
	v_dot2_f32_f16 v103, v128, v104, v103
	;;#ASMEND
	;;#ASMSTART
	v_dot2_f32_f16 v103, v129, v105, v103
	;;#ASMEND
	;; [unrolled: 3-line block ×16, first 2 shown]
	ds_load_b128 v[10:13], v40 offset:32848
	ds_load_b128 v[104:107], v9 offset:80
	;; [unrolled: 1-line block ×8, first 2 shown]
	s_waitcnt lgkmcnt(6)
	;;#ASMSTART
	v_dot2_f32_f16 v50, v10, v104, v50
	;;#ASMEND
	;;#ASMSTART
	v_dot2_f32_f16 v50, v11, v105, v50
	;;#ASMEND
	;;#ASMSTART
	v_dot2_f32_f16 v50, v12, v106, v50
	;;#ASMEND
	;;#ASMSTART
	v_dot2_f32_f16 v50, v13, v107, v50
	;;#ASMEND
	s_waitcnt lgkmcnt(5)
	;;#ASMSTART
	v_dot2_f32_f16 v99, v10, v108, v99
	;;#ASMEND
	;;#ASMSTART
	v_dot2_f32_f16 v99, v11, v109, v99
	;;#ASMEND
	;;#ASMSTART
	v_dot2_f32_f16 v99, v12, v110, v99
	;;#ASMEND
	;;#ASMSTART
	v_dot2_f32_f16 v99, v13, v111, v99
	;;#ASMEND
	;; [unrolled: 13-line block ×5, first 2 shown]
	;;#ASMSTART
	v_dot2_f32_f16 v100, v120, v108, v100
	;;#ASMEND
	;;#ASMSTART
	v_dot2_f32_f16 v100, v121, v109, v100
	;;#ASMEND
	;; [unrolled: 3-line block ×12, first 2 shown]
	s_waitcnt lgkmcnt(1)
	;;#ASMSTART
	v_dot2_f32_f16 v102, v124, v104, v102
	;;#ASMEND
	;;#ASMSTART
	v_dot2_f32_f16 v102, v125, v105, v102
	;;#ASMEND
	;;#ASMSTART
	v_dot2_f32_f16 v102, v126, v106, v102
	;;#ASMEND
	;;#ASMSTART
	v_dot2_f32_f16 v102, v127, v107, v102
	;;#ASMEND
	;;#ASMSTART
	v_dot2_f32_f16 v97, v124, v108, v97
	;;#ASMEND
	;;#ASMSTART
	v_dot2_f32_f16 v97, v125, v109, v97
	;;#ASMEND
	;;#ASMSTART
	v_dot2_f32_f16 v97, v126, v110, v97
	;;#ASMEND
	;;#ASMSTART
	v_dot2_f32_f16 v97, v127, v111, v97
	;;#ASMEND
	;;#ASMSTART
	v_dot2_f32_f16 v96, v124, v112, v96
	;;#ASMEND
	;;#ASMSTART
	v_dot2_f32_f16 v96, v125, v113, v96
	;;#ASMEND
	;;#ASMSTART
	v_dot2_f32_f16 v96, v126, v114, v96
	;;#ASMEND
	;;#ASMSTART
	v_dot2_f32_f16 v96, v127, v115, v96
	;;#ASMEND
	;;#ASMSTART
	v_dot2_f32_f16 v82, v124, v116, v82
	;;#ASMEND
	;;#ASMSTART
	v_dot2_f32_f16 v82, v125, v117, v82
	;;#ASMEND
	;;#ASMSTART
	v_dot2_f32_f16 v82, v126, v118, v82
	;;#ASMEND
	;;#ASMSTART
	v_dot2_f32_f16 v82, v127, v119, v82
	;;#ASMEND
	s_waitcnt lgkmcnt(0)
	;;#ASMSTART
	v_dot2_f32_f16 v103, v128, v104, v103
	;;#ASMEND
	;;#ASMSTART
	v_dot2_f32_f16 v103, v129, v105, v103
	;;#ASMEND
	;; [unrolled: 3-line block ×16, first 2 shown]
	ds_load_b128 v[10:13], v40 offset:32864
	ds_load_b128 v[104:107], v9 offset:96
	;; [unrolled: 1-line block ×8, first 2 shown]
	s_waitcnt lgkmcnt(6)
	;;#ASMSTART
	v_dot2_f32_f16 v50, v10, v104, v50
	;;#ASMEND
	;;#ASMSTART
	v_dot2_f32_f16 v50, v11, v105, v50
	;;#ASMEND
	;;#ASMSTART
	v_dot2_f32_f16 v50, v12, v106, v50
	;;#ASMEND
	;;#ASMSTART
	v_dot2_f32_f16 v50, v13, v107, v50
	;;#ASMEND
	s_waitcnt lgkmcnt(5)
	;;#ASMSTART
	v_dot2_f32_f16 v99, v10, v108, v99
	;;#ASMEND
	;;#ASMSTART
	v_dot2_f32_f16 v99, v11, v109, v99
	;;#ASMEND
	;;#ASMSTART
	v_dot2_f32_f16 v99, v12, v110, v99
	;;#ASMEND
	;;#ASMSTART
	v_dot2_f32_f16 v99, v13, v111, v99
	;;#ASMEND
	s_waitcnt lgkmcnt(4)
	;;#ASMSTART
	v_dot2_f32_f16 v93, v10, v112, v93
	;;#ASMEND
	;;#ASMSTART
	v_dot2_f32_f16 v93, v11, v113, v93
	;;#ASMEND
	;;#ASMSTART
	v_dot2_f32_f16 v93, v12, v114, v93
	;;#ASMEND
	;;#ASMSTART
	v_dot2_f32_f16 v93, v13, v115, v93
	;;#ASMEND
	s_waitcnt lgkmcnt(3)
	;;#ASMSTART
	v_dot2_f32_f16 v83, v10, v116, v83
	;;#ASMEND
	;;#ASMSTART
	v_dot2_f32_f16 v83, v11, v117, v83
	;;#ASMEND
	;;#ASMSTART
	v_dot2_f32_f16 v83, v12, v118, v83
	;;#ASMEND
	;;#ASMSTART
	v_dot2_f32_f16 v83, v13, v119, v83
	;;#ASMEND
	s_waitcnt lgkmcnt(2)
	;;#ASMSTART
	v_dot2_f32_f16 v101, v120, v104, v101
	;;#ASMEND
	;;#ASMSTART
	v_dot2_f32_f16 v101, v121, v105, v101
	;;#ASMEND
	;;#ASMSTART
	v_dot2_f32_f16 v101, v122, v106, v101
	;;#ASMEND
	;;#ASMSTART
	v_dot2_f32_f16 v101, v123, v107, v101
	;;#ASMEND
	;;#ASMSTART
	v_dot2_f32_f16 v100, v120, v108, v100
	;;#ASMEND
	;;#ASMSTART
	v_dot2_f32_f16 v100, v121, v109, v100
	;;#ASMEND
	;; [unrolled: 3-line block ×12, first 2 shown]
	s_waitcnt lgkmcnt(1)
	;;#ASMSTART
	v_dot2_f32_f16 v102, v124, v104, v102
	;;#ASMEND
	;;#ASMSTART
	v_dot2_f32_f16 v102, v125, v105, v102
	;;#ASMEND
	;; [unrolled: 3-line block ×16, first 2 shown]
	s_waitcnt lgkmcnt(0)
	;;#ASMSTART
	v_dot2_f32_f16 v103, v128, v104, v103
	;;#ASMEND
	;;#ASMSTART
	v_dot2_f32_f16 v103, v129, v105, v103
	;;#ASMEND
	;; [unrolled: 3-line block ×16, first 2 shown]
	ds_load_b128 v[10:13], v40 offset:32880
	ds_load_b128 v[104:107], v9 offset:112
	;; [unrolled: 1-line block ×8, first 2 shown]
	s_waitcnt lgkmcnt(6)
	;;#ASMSTART
	v_dot2_f32_f16 v50, v10, v104, v50
	;;#ASMEND
	;;#ASMSTART
	v_dot2_f32_f16 v50, v11, v105, v50
	;;#ASMEND
	;;#ASMSTART
	v_dot2_f32_f16 v50, v12, v106, v50
	;;#ASMEND
	;;#ASMSTART
	v_dot2_f32_f16 v50, v13, v107, v50
	;;#ASMEND
	s_waitcnt lgkmcnt(5)
	;;#ASMSTART
	v_dot2_f32_f16 v99, v10, v108, v99
	;;#ASMEND
	;;#ASMSTART
	v_dot2_f32_f16 v99, v11, v109, v99
	;;#ASMEND
	;;#ASMSTART
	v_dot2_f32_f16 v99, v12, v110, v99
	;;#ASMEND
	;;#ASMSTART
	v_dot2_f32_f16 v99, v13, v111, v99
	;;#ASMEND
	;; [unrolled: 13-line block ×5, first 2 shown]
	;;#ASMSTART
	v_dot2_f32_f16 v100, v120, v108, v100
	;;#ASMEND
	;;#ASMSTART
	v_dot2_f32_f16 v100, v121, v109, v100
	;;#ASMEND
	;; [unrolled: 3-line block ×12, first 2 shown]
	s_waitcnt lgkmcnt(1)
	;;#ASMSTART
	v_dot2_f32_f16 v102, v124, v104, v102
	;;#ASMEND
	;;#ASMSTART
	v_dot2_f32_f16 v102, v125, v105, v102
	;;#ASMEND
	;; [unrolled: 3-line block ×16, first 2 shown]
	s_waitcnt lgkmcnt(0)
	;;#ASMSTART
	v_dot2_f32_f16 v103, v128, v104, v103
	;;#ASMEND
	;;#ASMSTART
	v_dot2_f32_f16 v103, v129, v105, v103
	;;#ASMEND
	;; [unrolled: 3-line block ×16, first 2 shown]
	s_barrier
	buffer_gl0_inv
	s_clause 0x3
	global_load_b128 v[9:12], v[0:1], off offset:256
	global_load_b128 v[0:3], v[2:3], off offset:256
	;; [unrolled: 1-line block ×4, first 2 shown]
	v_add3_u32 v104, 0x100, s8, v32
	s_lshr_b32 s8, s23, 1
	s_waitcnt vmcnt(3)
	ds_store_b128 v35, v[9:12]
	s_waitcnt vmcnt(2)
	ds_store_b128 v36, v[0:3]
	;; [unrolled: 2-line block ×4, first 2 shown]
	s_waitcnt lgkmcnt(0)
	s_barrier
	buffer_gl0_inv
	ds_load_b128 v[0:3], v40 offset:32768
	ds_load_b128 v[4:7], v8 offset:256
	;; [unrolled: 1-line block ×8, first 2 shown]
	s_waitcnt lgkmcnt(6)
	;;#ASMSTART
	v_dot2_f32_f16 v50, v0, v4, v50
	;;#ASMEND
	;;#ASMSTART
	v_dot2_f32_f16 v50, v1, v5, v50
	;;#ASMEND
	;;#ASMSTART
	v_dot2_f32_f16 v50, v2, v6, v50
	;;#ASMEND
	;;#ASMSTART
	v_dot2_f32_f16 v50, v3, v7, v50
	;;#ASMEND
	s_waitcnt lgkmcnt(5)
	;;#ASMSTART
	v_dot2_f32_f16 v99, v0, v8, v99
	;;#ASMEND
	;;#ASMSTART
	v_dot2_f32_f16 v99, v1, v9, v99
	;;#ASMEND
	;;#ASMSTART
	v_dot2_f32_f16 v99, v2, v10, v99
	;;#ASMEND
	;;#ASMSTART
	v_dot2_f32_f16 v99, v3, v11, v99
	;;#ASMEND
	;; [unrolled: 13-line block ×5, first 2 shown]
	;;#ASMSTART
	v_dot2_f32_f16 v100, v109, v8, v100
	;;#ASMEND
	;;#ASMSTART
	v_dot2_f32_f16 v100, v110, v9, v100
	;;#ASMEND
	;; [unrolled: 3-line block ×12, first 2 shown]
	s_waitcnt lgkmcnt(1)
	;;#ASMSTART
	v_dot2_f32_f16 v102, v113, v4, v102
	;;#ASMEND
	;;#ASMSTART
	v_dot2_f32_f16 v102, v114, v5, v102
	;;#ASMEND
	;; [unrolled: 3-line block ×16, first 2 shown]
	s_waitcnt lgkmcnt(0)
	;;#ASMSTART
	v_dot2_f32_f16 v103, v117, v4, v103
	;;#ASMEND
	;;#ASMSTART
	v_dot2_f32_f16 v103, v118, v5, v103
	;;#ASMEND
	;; [unrolled: 3-line block ×16, first 2 shown]
	ds_load_b128 v[0:3], v40 offset:32784
	ds_load_b128 v[4:7], v104 offset:16
	;; [unrolled: 1-line block ×8, first 2 shown]
	s_waitcnt lgkmcnt(6)
	;;#ASMSTART
	v_dot2_f32_f16 v50, v0, v4, v50
	;;#ASMEND
	;;#ASMSTART
	v_dot2_f32_f16 v50, v1, v5, v50
	;;#ASMEND
	;;#ASMSTART
	v_dot2_f32_f16 v50, v2, v6, v50
	;;#ASMEND
	;;#ASMSTART
	v_dot2_f32_f16 v50, v3, v7, v50
	;;#ASMEND
	s_waitcnt lgkmcnt(5)
	;;#ASMSTART
	v_dot2_f32_f16 v99, v0, v8, v99
	;;#ASMEND
	;;#ASMSTART
	v_dot2_f32_f16 v99, v1, v9, v99
	;;#ASMEND
	;;#ASMSTART
	v_dot2_f32_f16 v99, v2, v10, v99
	;;#ASMEND
	;;#ASMSTART
	v_dot2_f32_f16 v99, v3, v11, v99
	;;#ASMEND
	;; [unrolled: 13-line block ×5, first 2 shown]
	;;#ASMSTART
	v_dot2_f32_f16 v100, v109, v8, v100
	;;#ASMEND
	;;#ASMSTART
	v_dot2_f32_f16 v100, v110, v9, v100
	;;#ASMEND
	;; [unrolled: 3-line block ×12, first 2 shown]
	s_waitcnt lgkmcnt(1)
	;;#ASMSTART
	v_dot2_f32_f16 v102, v113, v4, v102
	;;#ASMEND
	;;#ASMSTART
	v_dot2_f32_f16 v102, v114, v5, v102
	;;#ASMEND
	;; [unrolled: 3-line block ×16, first 2 shown]
	s_waitcnt lgkmcnt(0)
	;;#ASMSTART
	v_dot2_f32_f16 v103, v117, v4, v103
	;;#ASMEND
	;;#ASMSTART
	v_dot2_f32_f16 v103, v118, v5, v103
	;;#ASMEND
	;; [unrolled: 3-line block ×16, first 2 shown]
	ds_load_b128 v[0:3], v40 offset:32800
	ds_load_b128 v[4:7], v104 offset:32
	;; [unrolled: 1-line block ×8, first 2 shown]
	s_waitcnt lgkmcnt(6)
	;;#ASMSTART
	v_dot2_f32_f16 v50, v0, v4, v50
	;;#ASMEND
	;;#ASMSTART
	v_dot2_f32_f16 v50, v1, v5, v50
	;;#ASMEND
	;;#ASMSTART
	v_dot2_f32_f16 v50, v2, v6, v50
	;;#ASMEND
	;;#ASMSTART
	v_dot2_f32_f16 v50, v3, v7, v50
	;;#ASMEND
	s_waitcnt lgkmcnt(5)
	;;#ASMSTART
	v_dot2_f32_f16 v99, v0, v8, v99
	;;#ASMEND
	;;#ASMSTART
	v_dot2_f32_f16 v99, v1, v9, v99
	;;#ASMEND
	;;#ASMSTART
	v_dot2_f32_f16 v99, v2, v10, v99
	;;#ASMEND
	;;#ASMSTART
	v_dot2_f32_f16 v99, v3, v11, v99
	;;#ASMEND
	;; [unrolled: 13-line block ×5, first 2 shown]
	;;#ASMSTART
	v_dot2_f32_f16 v100, v109, v8, v100
	;;#ASMEND
	;;#ASMSTART
	v_dot2_f32_f16 v100, v110, v9, v100
	;;#ASMEND
	;; [unrolled: 3-line block ×12, first 2 shown]
	s_waitcnt lgkmcnt(1)
	;;#ASMSTART
	v_dot2_f32_f16 v102, v113, v4, v102
	;;#ASMEND
	;;#ASMSTART
	v_dot2_f32_f16 v102, v114, v5, v102
	;;#ASMEND
	;; [unrolled: 3-line block ×16, first 2 shown]
	s_waitcnt lgkmcnt(0)
	;;#ASMSTART
	v_dot2_f32_f16 v103, v117, v4, v103
	;;#ASMEND
	;;#ASMSTART
	v_dot2_f32_f16 v103, v118, v5, v103
	;;#ASMEND
	;; [unrolled: 3-line block ×16, first 2 shown]
	ds_load_b128 v[0:3], v40 offset:32816
	ds_load_b128 v[4:7], v104 offset:48
	;; [unrolled: 1-line block ×8, first 2 shown]
	s_waitcnt lgkmcnt(6)
	;;#ASMSTART
	v_dot2_f32_f16 v50, v0, v4, v50
	;;#ASMEND
	;;#ASMSTART
	v_dot2_f32_f16 v50, v1, v5, v50
	;;#ASMEND
	;;#ASMSTART
	v_dot2_f32_f16 v50, v2, v6, v50
	;;#ASMEND
	;;#ASMSTART
	v_dot2_f32_f16 v50, v3, v7, v50
	;;#ASMEND
	s_waitcnt lgkmcnt(5)
	;;#ASMSTART
	v_dot2_f32_f16 v99, v0, v8, v99
	;;#ASMEND
	;;#ASMSTART
	v_dot2_f32_f16 v99, v1, v9, v99
	;;#ASMEND
	;;#ASMSTART
	v_dot2_f32_f16 v99, v2, v10, v99
	;;#ASMEND
	;;#ASMSTART
	v_dot2_f32_f16 v99, v3, v11, v99
	;;#ASMEND
	;; [unrolled: 13-line block ×5, first 2 shown]
	;;#ASMSTART
	v_dot2_f32_f16 v100, v109, v8, v100
	;;#ASMEND
	;;#ASMSTART
	v_dot2_f32_f16 v100, v110, v9, v100
	;;#ASMEND
	;; [unrolled: 3-line block ×12, first 2 shown]
	s_waitcnt lgkmcnt(1)
	;;#ASMSTART
	v_dot2_f32_f16 v102, v113, v4, v102
	;;#ASMEND
	;;#ASMSTART
	v_dot2_f32_f16 v102, v114, v5, v102
	;;#ASMEND
	;; [unrolled: 3-line block ×16, first 2 shown]
	s_waitcnt lgkmcnt(0)
	;;#ASMSTART
	v_dot2_f32_f16 v103, v117, v4, v103
	;;#ASMEND
	;;#ASMSTART
	v_dot2_f32_f16 v103, v118, v5, v103
	;;#ASMEND
	;; [unrolled: 3-line block ×16, first 2 shown]
	ds_load_b128 v[0:3], v40 offset:32832
	ds_load_b128 v[4:7], v104 offset:64
	;; [unrolled: 1-line block ×8, first 2 shown]
	s_waitcnt lgkmcnt(6)
	;;#ASMSTART
	v_dot2_f32_f16 v50, v0, v4, v50
	;;#ASMEND
	;;#ASMSTART
	v_dot2_f32_f16 v50, v1, v5, v50
	;;#ASMEND
	;;#ASMSTART
	v_dot2_f32_f16 v50, v2, v6, v50
	;;#ASMEND
	;;#ASMSTART
	v_dot2_f32_f16 v50, v3, v7, v50
	;;#ASMEND
	s_waitcnt lgkmcnt(5)
	;;#ASMSTART
	v_dot2_f32_f16 v99, v0, v8, v99
	;;#ASMEND
	;;#ASMSTART
	v_dot2_f32_f16 v99, v1, v9, v99
	;;#ASMEND
	;;#ASMSTART
	v_dot2_f32_f16 v99, v2, v10, v99
	;;#ASMEND
	;;#ASMSTART
	v_dot2_f32_f16 v99, v3, v11, v99
	;;#ASMEND
	s_waitcnt lgkmcnt(4)
	;;#ASMSTART
	v_dot2_f32_f16 v93, v0, v12, v93
	;;#ASMEND
	;;#ASMSTART
	v_dot2_f32_f16 v93, v1, v13, v93
	;;#ASMEND
	;;#ASMSTART
	v_dot2_f32_f16 v93, v2, v14, v93
	;;#ASMEND
	;;#ASMSTART
	v_dot2_f32_f16 v93, v3, v15, v93
	;;#ASMEND
	s_waitcnt lgkmcnt(3)
	;;#ASMSTART
	v_dot2_f32_f16 v83, v0, v105, v83
	;;#ASMEND
	;;#ASMSTART
	v_dot2_f32_f16 v83, v1, v106, v83
	;;#ASMEND
	;;#ASMSTART
	v_dot2_f32_f16 v83, v2, v107, v83
	;;#ASMEND
	;;#ASMSTART
	v_dot2_f32_f16 v83, v3, v108, v83
	;;#ASMEND
	s_waitcnt lgkmcnt(2)
	;;#ASMSTART
	v_dot2_f32_f16 v101, v109, v4, v101
	;;#ASMEND
	;;#ASMSTART
	v_dot2_f32_f16 v101, v110, v5, v101
	;;#ASMEND
	;;#ASMSTART
	v_dot2_f32_f16 v101, v111, v6, v101
	;;#ASMEND
	;;#ASMSTART
	v_dot2_f32_f16 v101, v112, v7, v101
	;;#ASMEND
	;;#ASMSTART
	v_dot2_f32_f16 v100, v109, v8, v100
	;;#ASMEND
	;;#ASMSTART
	v_dot2_f32_f16 v100, v110, v9, v100
	;;#ASMEND
	;; [unrolled: 3-line block ×12, first 2 shown]
	s_waitcnt lgkmcnt(1)
	;;#ASMSTART
	v_dot2_f32_f16 v102, v113, v4, v102
	;;#ASMEND
	;;#ASMSTART
	v_dot2_f32_f16 v102, v114, v5, v102
	;;#ASMEND
	;; [unrolled: 3-line block ×16, first 2 shown]
	s_waitcnt lgkmcnt(0)
	;;#ASMSTART
	v_dot2_f32_f16 v103, v117, v4, v103
	;;#ASMEND
	;;#ASMSTART
	v_dot2_f32_f16 v103, v118, v5, v103
	;;#ASMEND
	;; [unrolled: 3-line block ×16, first 2 shown]
	ds_load_b128 v[12:15], v40 offset:32848
	ds_load_b128 v[0:3], v104 offset:80
	;; [unrolled: 1-line block ×8, first 2 shown]
	s_waitcnt lgkmcnt(6)
	;;#ASMSTART
	v_dot2_f32_f16 v50, v12, v0, v50
	;;#ASMEND
	;;#ASMSTART
	v_dot2_f32_f16 v50, v13, v1, v50
	;;#ASMEND
	;;#ASMSTART
	v_dot2_f32_f16 v50, v14, v2, v50
	;;#ASMEND
	;;#ASMSTART
	v_dot2_f32_f16 v50, v15, v3, v50
	;;#ASMEND
	s_waitcnt lgkmcnt(5)
	;;#ASMSTART
	v_dot2_f32_f16 v99, v12, v4, v99
	;;#ASMEND
	;;#ASMSTART
	v_dot2_f32_f16 v99, v13, v5, v99
	;;#ASMEND
	;;#ASMSTART
	v_dot2_f32_f16 v99, v14, v6, v99
	;;#ASMEND
	;;#ASMSTART
	v_dot2_f32_f16 v99, v15, v7, v99
	;;#ASMEND
	s_waitcnt lgkmcnt(4)
	;;#ASMSTART
	v_dot2_f32_f16 v93, v12, v8, v93
	;;#ASMEND
	;;#ASMSTART
	v_dot2_f32_f16 v93, v13, v9, v93
	;;#ASMEND
	;;#ASMSTART
	v_dot2_f32_f16 v93, v14, v10, v93
	;;#ASMEND
	;;#ASMSTART
	v_dot2_f32_f16 v93, v15, v11, v93
	;;#ASMEND
	s_waitcnt lgkmcnt(3)
	;;#ASMSTART
	v_dot2_f32_f16 v83, v12, v105, v83
	;;#ASMEND
	;;#ASMSTART
	v_dot2_f32_f16 v83, v13, v106, v83
	;;#ASMEND
	;;#ASMSTART
	v_dot2_f32_f16 v83, v14, v107, v83
	;;#ASMEND
	;;#ASMSTART
	v_dot2_f32_f16 v83, v15, v108, v83
	;;#ASMEND
	s_waitcnt lgkmcnt(2)
	;;#ASMSTART
	v_dot2_f32_f16 v101, v109, v0, v101
	;;#ASMEND
	;;#ASMSTART
	v_dot2_f32_f16 v101, v110, v1, v101
	;;#ASMEND
	;;#ASMSTART
	v_dot2_f32_f16 v101, v111, v2, v101
	;;#ASMEND
	;;#ASMSTART
	v_dot2_f32_f16 v101, v112, v3, v101
	;;#ASMEND
	;;#ASMSTART
	v_dot2_f32_f16 v100, v109, v4, v100
	;;#ASMEND
	;;#ASMSTART
	v_dot2_f32_f16 v100, v110, v5, v100
	;;#ASMEND
	;; [unrolled: 3-line block ×12, first 2 shown]
	s_waitcnt lgkmcnt(1)
	;;#ASMSTART
	v_dot2_f32_f16 v102, v113, v0, v102
	;;#ASMEND
	;;#ASMSTART
	v_dot2_f32_f16 v102, v114, v1, v102
	;;#ASMEND
	;; [unrolled: 3-line block ×16, first 2 shown]
	s_waitcnt lgkmcnt(0)
	;;#ASMSTART
	v_dot2_f32_f16 v103, v117, v0, v103
	;;#ASMEND
	;;#ASMSTART
	v_dot2_f32_f16 v103, v118, v1, v103
	;;#ASMEND
	;; [unrolled: 3-line block ×16, first 2 shown]
	ds_load_b128 v[0:3], v40 offset:32864
	ds_load_b128 v[4:7], v104 offset:96
	ds_load_b128 v[8:11], v104 offset:1120
	ds_load_b128 v[12:15], v104 offset:2144
	ds_load_b128 v[105:108], v104 offset:3168
	ds_load_b128 v[109:112], v40 offset:37472
	ds_load_b128 v[113:116], v40 offset:42080
	ds_load_b128 v[117:120], v40 offset:46688
	s_waitcnt lgkmcnt(6)
	;;#ASMSTART
	v_dot2_f32_f16 v50, v0, v4, v50
	;;#ASMEND
	;;#ASMSTART
	v_dot2_f32_f16 v50, v1, v5, v50
	;;#ASMEND
	;;#ASMSTART
	v_dot2_f32_f16 v50, v2, v6, v50
	;;#ASMEND
	;;#ASMSTART
	v_dot2_f32_f16 v50, v3, v7, v50
	;;#ASMEND
	s_waitcnt lgkmcnt(5)
	;;#ASMSTART
	v_dot2_f32_f16 v99, v0, v8, v99
	;;#ASMEND
	;;#ASMSTART
	v_dot2_f32_f16 v99, v1, v9, v99
	;;#ASMEND
	;;#ASMSTART
	v_dot2_f32_f16 v99, v2, v10, v99
	;;#ASMEND
	;;#ASMSTART
	v_dot2_f32_f16 v99, v3, v11, v99
	;;#ASMEND
	;; [unrolled: 13-line block ×5, first 2 shown]
	;;#ASMSTART
	v_dot2_f32_f16 v100, v109, v8, v100
	;;#ASMEND
	;;#ASMSTART
	v_dot2_f32_f16 v100, v110, v9, v100
	;;#ASMEND
	;; [unrolled: 3-line block ×12, first 2 shown]
	s_waitcnt lgkmcnt(1)
	;;#ASMSTART
	v_dot2_f32_f16 v102, v113, v4, v102
	;;#ASMEND
	;;#ASMSTART
	v_dot2_f32_f16 v102, v114, v5, v102
	;;#ASMEND
	;; [unrolled: 3-line block ×16, first 2 shown]
	s_waitcnt lgkmcnt(0)
	;;#ASMSTART
	v_dot2_f32_f16 v103, v117, v4, v103
	;;#ASMEND
	;;#ASMSTART
	v_dot2_f32_f16 v103, v118, v5, v103
	;;#ASMEND
	;; [unrolled: 3-line block ×16, first 2 shown]
	ds_load_b128 v[0:3], v40 offset:32880
	ds_load_b128 v[4:7], v104 offset:112
	;; [unrolled: 1-line block ×8, first 2 shown]
	s_waitcnt lgkmcnt(6)
	;;#ASMSTART
	v_dot2_f32_f16 v50, v0, v4, v50
	;;#ASMEND
	;;#ASMSTART
	v_dot2_f32_f16 v50, v1, v5, v50
	;;#ASMEND
	;;#ASMSTART
	v_dot2_f32_f16 v50, v2, v6, v50
	;;#ASMEND
	;;#ASMSTART
	v_dot2_f32_f16 v50, v3, v7, v50
	;;#ASMEND
	s_waitcnt lgkmcnt(5)
	;;#ASMSTART
	v_dot2_f32_f16 v99, v0, v8, v99
	;;#ASMEND
	;;#ASMSTART
	v_dot2_f32_f16 v99, v1, v9, v99
	;;#ASMEND
	;;#ASMSTART
	v_dot2_f32_f16 v99, v2, v10, v99
	;;#ASMEND
	;;#ASMSTART
	v_dot2_f32_f16 v99, v3, v11, v99
	;;#ASMEND
	;; [unrolled: 13-line block ×5, first 2 shown]
	;;#ASMSTART
	v_dot2_f32_f16 v100, v108, v8, v100
	;;#ASMEND
	;;#ASMSTART
	v_dot2_f32_f16 v100, v109, v9, v100
	;;#ASMEND
	;; [unrolled: 3-line block ×5, first 2 shown]
	s_lshl_b64 s[26:27], s[8:9], 2
	;;#ASMSTART
	v_dot2_f32_f16 v95, v109, v13, v95
	;;#ASMEND
	;;#ASMSTART
	v_dot2_f32_f16 v95, v110, v14, v95
	;;#ASMEND
	s_add_u32 s8, s20, s26
	;;#ASMSTART
	v_dot2_f32_f16 v95, v111, v15, v95
	;;#ASMEND
	;;#ASMSTART
	v_dot2_f32_f16 v85, v108, v104, v85
	;;#ASMEND
	;; [unrolled: 3-line block ×3, first 2 shown]
	s_addc_u32 s26, s21, s27
	v_add_co_u32 v121, vcc_lo, s8, v19
	;;#ASMSTART
	v_dot2_f32_f16 v85, v110, v106, v85
	;;#ASMEND
	;;#ASMSTART
	v_dot2_f32_f16 v85, v111, v107, v85
	;;#ASMEND
	s_waitcnt lgkmcnt(1)
	;;#ASMSTART
	v_dot2_f32_f16 v102, v112, v4, v102
	;;#ASMEND
	v_add_co_ci_u32_e32 v122, vcc_lo, s26, v20, vcc_lo
	;;#ASMSTART
	v_dot2_f32_f16 v102, v113, v5, v102
	;;#ASMEND
	v_add_co_u32 v123, vcc_lo, s8, v21
	;;#ASMSTART
	v_dot2_f32_f16 v102, v114, v6, v102
	;;#ASMEND
	;;#ASMSTART
	v_dot2_f32_f16 v102, v115, v7, v102
	;;#ASMEND
	;;#ASMSTART
	v_dot2_f32_f16 v97, v112, v8, v97
	;;#ASMEND
	v_add_co_ci_u32_e32 v124, vcc_lo, s26, v22, vcc_lo
	;;#ASMSTART
	v_dot2_f32_f16 v97, v113, v9, v97
	;;#ASMEND
	v_add_co_u32 v125, vcc_lo, s8, v23
	;;#ASMSTART
	v_dot2_f32_f16 v97, v114, v10, v97
	;;#ASMEND
	;;#ASMSTART
	v_dot2_f32_f16 v97, v115, v11, v97
	;;#ASMEND
	;; [unrolled: 14-line block ×4, first 2 shown]
	s_waitcnt lgkmcnt(0)
	;;#ASMSTART
	v_dot2_f32_f16 v103, v116, v4, v103
	;;#ASMEND
	v_add_co_ci_u32_e32 v121, vcc_lo, 0, v122, vcc_lo
	;;#ASMSTART
	v_dot2_f32_f16 v103, v117, v5, v103
	;;#ASMEND
	v_add_co_u32 v122, vcc_lo, v123, v47
	;;#ASMSTART
	v_dot2_f32_f16 v103, v118, v6, v103
	;;#ASMEND
	;;#ASMSTART
	v_dot2_f32_f16 v103, v119, v7, v103
	;;#ASMEND
	;;#ASMSTART
	v_dot2_f32_f16 v98, v116, v8, v98
	;;#ASMEND
	v_add_co_ci_u32_e32 v123, vcc_lo, 0, v124, vcc_lo
	;;#ASMSTART
	v_dot2_f32_f16 v98, v117, v9, v98
	;;#ASMEND
	v_add_co_u32 v124, vcc_lo, v125, v47
	;;#ASMSTART
	v_dot2_f32_f16 v98, v118, v10, v98
	;;#ASMEND
	;;#ASMSTART
	v_dot2_f32_f16 v98, v119, v11, v98
	;;#ASMEND
	;; [unrolled: 14-line block ×3, first 2 shown]
	;;#ASMSTART
	v_dot2_f32_f16 v81, v116, v104, v81
	;;#ASMEND
	v_add_co_ci_u32_e32 v127, vcc_lo, 0, v128, vcc_lo
	;;#ASMSTART
	v_dot2_f32_f16 v81, v117, v105, v81
	;;#ASMEND
	;;#ASMSTART
	v_dot2_f32_f16 v81, v118, v106, v81
	;;#ASMEND
	;; [unrolled: 3-line block ×3, first 2 shown]
	s_barrier
	buffer_gl0_inv
	s_clause 0x3
	global_load_b128 v[1:4], v[120:121], off
	global_load_b128 v[5:8], v[122:123], off
	;; [unrolled: 1-line block ×4, first 2 shown]
	v_lshl_add_u32 v0, s23, 1, v32
	s_waitcnt vmcnt(3)
	ds_store_b128 v35, v[1:4]
	s_waitcnt vmcnt(2)
	ds_store_b128 v36, v[5:8]
	;; [unrolled: 2-line block ×4, first 2 shown]
	s_waitcnt lgkmcnt(0)
	s_barrier
	buffer_gl0_inv
	ds_load_b128 v[1:4], v40 offset:32768
	ds_load_b128 v[5:8], v0
	ds_load_b128 v[9:12], v0 offset:1024
	ds_load_b128 v[104:107], v0 offset:2048
	ds_load_b128 v[108:111], v0 offset:3072
	ds_load_b128 v[112:115], v40 offset:37376
	ds_load_b128 v[116:119], v40 offset:41984
	ds_load_b128 v[120:123], v40 offset:46592
	s_waitcnt lgkmcnt(6)
	;;#ASMSTART
	v_dot2_f32_f16 v50, v1, v5, v50
	;;#ASMEND
	;;#ASMSTART
	v_dot2_f32_f16 v50, v2, v6, v50
	;;#ASMEND
	;;#ASMSTART
	v_dot2_f32_f16 v50, v3, v7, v50
	;;#ASMEND
	;;#ASMSTART
	v_dot2_f32_f16 v50, v4, v8, v50
	;;#ASMEND
	s_waitcnt lgkmcnt(5)
	;;#ASMSTART
	v_dot2_f32_f16 v99, v1, v9, v99
	;;#ASMEND
	;;#ASMSTART
	v_dot2_f32_f16 v99, v2, v10, v99
	;;#ASMEND
	;;#ASMSTART
	v_dot2_f32_f16 v99, v3, v11, v99
	;;#ASMEND
	;;#ASMSTART
	v_dot2_f32_f16 v99, v4, v12, v99
	;;#ASMEND
	;; [unrolled: 13-line block ×5, first 2 shown]
	;;#ASMSTART
	v_dot2_f32_f16 v100, v112, v9, v100
	;;#ASMEND
	;;#ASMSTART
	v_dot2_f32_f16 v100, v113, v10, v100
	;;#ASMEND
	;; [unrolled: 3-line block ×12, first 2 shown]
	s_waitcnt lgkmcnt(1)
	;;#ASMSTART
	v_dot2_f32_f16 v102, v116, v5, v102
	;;#ASMEND
	;;#ASMSTART
	v_dot2_f32_f16 v102, v117, v6, v102
	;;#ASMEND
	;;#ASMSTART
	v_dot2_f32_f16 v102, v118, v7, v102
	;;#ASMEND
	;;#ASMSTART
	v_dot2_f32_f16 v102, v119, v8, v102
	;;#ASMEND
	;;#ASMSTART
	v_dot2_f32_f16 v97, v116, v9, v97
	;;#ASMEND
	;;#ASMSTART
	v_dot2_f32_f16 v97, v117, v10, v97
	;;#ASMEND
	;;#ASMSTART
	v_dot2_f32_f16 v97, v118, v11, v97
	;;#ASMEND
	;;#ASMSTART
	v_dot2_f32_f16 v97, v119, v12, v97
	;;#ASMEND
	;;#ASMSTART
	v_dot2_f32_f16 v96, v116, v104, v96
	;;#ASMEND
	;;#ASMSTART
	v_dot2_f32_f16 v96, v117, v105, v96
	;;#ASMEND
	;;#ASMSTART
	v_dot2_f32_f16 v96, v118, v106, v96
	;;#ASMEND
	;;#ASMSTART
	v_dot2_f32_f16 v96, v119, v107, v96
	;;#ASMEND
	;;#ASMSTART
	v_dot2_f32_f16 v82, v116, v108, v82
	;;#ASMEND
	;;#ASMSTART
	v_dot2_f32_f16 v82, v117, v109, v82
	;;#ASMEND
	;;#ASMSTART
	v_dot2_f32_f16 v82, v118, v110, v82
	;;#ASMEND
	;;#ASMSTART
	v_dot2_f32_f16 v82, v119, v111, v82
	;;#ASMEND
	s_waitcnt lgkmcnt(0)
	;;#ASMSTART
	v_dot2_f32_f16 v103, v120, v5, v103
	;;#ASMEND
	;;#ASMSTART
	v_dot2_f32_f16 v103, v121, v6, v103
	;;#ASMEND
	;; [unrolled: 3-line block ×16, first 2 shown]
	ds_load_b128 v[1:4], v40 offset:32784
	ds_load_b128 v[5:8], v0 offset:16
	;; [unrolled: 1-line block ×8, first 2 shown]
	s_waitcnt lgkmcnt(6)
	;;#ASMSTART
	v_dot2_f32_f16 v50, v1, v5, v50
	;;#ASMEND
	;;#ASMSTART
	v_dot2_f32_f16 v50, v2, v6, v50
	;;#ASMEND
	;;#ASMSTART
	v_dot2_f32_f16 v50, v3, v7, v50
	;;#ASMEND
	;;#ASMSTART
	v_dot2_f32_f16 v50, v4, v8, v50
	;;#ASMEND
	s_waitcnt lgkmcnt(5)
	;;#ASMSTART
	v_dot2_f32_f16 v99, v1, v9, v99
	;;#ASMEND
	;;#ASMSTART
	v_dot2_f32_f16 v99, v2, v10, v99
	;;#ASMEND
	;;#ASMSTART
	v_dot2_f32_f16 v99, v3, v11, v99
	;;#ASMEND
	;;#ASMSTART
	v_dot2_f32_f16 v99, v4, v12, v99
	;;#ASMEND
	s_waitcnt lgkmcnt(4)
	;;#ASMSTART
	v_dot2_f32_f16 v93, v1, v104, v93
	;;#ASMEND
	;;#ASMSTART
	v_dot2_f32_f16 v93, v2, v105, v93
	;;#ASMEND
	;;#ASMSTART
	v_dot2_f32_f16 v93, v3, v106, v93
	;;#ASMEND
	;;#ASMSTART
	v_dot2_f32_f16 v93, v4, v107, v93
	;;#ASMEND
	s_waitcnt lgkmcnt(3)
	;;#ASMSTART
	v_dot2_f32_f16 v83, v1, v108, v83
	;;#ASMEND
	;;#ASMSTART
	v_dot2_f32_f16 v83, v2, v109, v83
	;;#ASMEND
	;;#ASMSTART
	v_dot2_f32_f16 v83, v3, v110, v83
	;;#ASMEND
	;;#ASMSTART
	v_dot2_f32_f16 v83, v4, v111, v83
	;;#ASMEND
	s_waitcnt lgkmcnt(2)
	;;#ASMSTART
	v_dot2_f32_f16 v101, v112, v5, v101
	;;#ASMEND
	;;#ASMSTART
	v_dot2_f32_f16 v101, v113, v6, v101
	;;#ASMEND
	;;#ASMSTART
	v_dot2_f32_f16 v101, v114, v7, v101
	;;#ASMEND
	;;#ASMSTART
	v_dot2_f32_f16 v101, v115, v8, v101
	;;#ASMEND
	;;#ASMSTART
	v_dot2_f32_f16 v100, v112, v9, v100
	;;#ASMEND
	;;#ASMSTART
	v_dot2_f32_f16 v100, v113, v10, v100
	;;#ASMEND
	;; [unrolled: 3-line block ×12, first 2 shown]
	s_waitcnt lgkmcnt(1)
	;;#ASMSTART
	v_dot2_f32_f16 v102, v116, v5, v102
	;;#ASMEND
	;;#ASMSTART
	v_dot2_f32_f16 v102, v117, v6, v102
	;;#ASMEND
	;; [unrolled: 3-line block ×16, first 2 shown]
	s_waitcnt lgkmcnt(0)
	;;#ASMSTART
	v_dot2_f32_f16 v103, v120, v5, v103
	;;#ASMEND
	;;#ASMSTART
	v_dot2_f32_f16 v103, v121, v6, v103
	;;#ASMEND
	;; [unrolled: 3-line block ×16, first 2 shown]
	ds_load_b128 v[1:4], v40 offset:32800
	ds_load_b128 v[5:8], v0 offset:32
	ds_load_b128 v[9:12], v0 offset:1056
	ds_load_b128 v[104:107], v0 offset:2080
	ds_load_b128 v[108:111], v0 offset:3104
	ds_load_b128 v[112:115], v40 offset:37408
	ds_load_b128 v[116:119], v40 offset:42016
	ds_load_b128 v[120:123], v40 offset:46624
	s_waitcnt lgkmcnt(6)
	;;#ASMSTART
	v_dot2_f32_f16 v50, v1, v5, v50
	;;#ASMEND
	;;#ASMSTART
	v_dot2_f32_f16 v50, v2, v6, v50
	;;#ASMEND
	;;#ASMSTART
	v_dot2_f32_f16 v50, v3, v7, v50
	;;#ASMEND
	;;#ASMSTART
	v_dot2_f32_f16 v50, v4, v8, v50
	;;#ASMEND
	s_waitcnt lgkmcnt(5)
	;;#ASMSTART
	v_dot2_f32_f16 v99, v1, v9, v99
	;;#ASMEND
	;;#ASMSTART
	v_dot2_f32_f16 v99, v2, v10, v99
	;;#ASMEND
	;;#ASMSTART
	v_dot2_f32_f16 v99, v3, v11, v99
	;;#ASMEND
	;;#ASMSTART
	v_dot2_f32_f16 v99, v4, v12, v99
	;;#ASMEND
	;; [unrolled: 13-line block ×5, first 2 shown]
	;;#ASMSTART
	v_dot2_f32_f16 v100, v112, v9, v100
	;;#ASMEND
	;;#ASMSTART
	v_dot2_f32_f16 v100, v113, v10, v100
	;;#ASMEND
	;; [unrolled: 3-line block ×12, first 2 shown]
	s_waitcnt lgkmcnt(1)
	;;#ASMSTART
	v_dot2_f32_f16 v102, v116, v5, v102
	;;#ASMEND
	;;#ASMSTART
	v_dot2_f32_f16 v102, v117, v6, v102
	;;#ASMEND
	;; [unrolled: 3-line block ×16, first 2 shown]
	s_waitcnt lgkmcnt(0)
	;;#ASMSTART
	v_dot2_f32_f16 v103, v120, v5, v103
	;;#ASMEND
	;;#ASMSTART
	v_dot2_f32_f16 v103, v121, v6, v103
	;;#ASMEND
	;; [unrolled: 3-line block ×16, first 2 shown]
	ds_load_b128 v[1:4], v40 offset:32816
	ds_load_b128 v[5:8], v0 offset:48
	;; [unrolled: 1-line block ×8, first 2 shown]
	s_waitcnt lgkmcnt(6)
	;;#ASMSTART
	v_dot2_f32_f16 v50, v1, v5, v50
	;;#ASMEND
	;;#ASMSTART
	v_dot2_f32_f16 v50, v2, v6, v50
	;;#ASMEND
	;;#ASMSTART
	v_dot2_f32_f16 v50, v3, v7, v50
	;;#ASMEND
	;;#ASMSTART
	v_dot2_f32_f16 v50, v4, v8, v50
	;;#ASMEND
	s_waitcnt lgkmcnt(5)
	;;#ASMSTART
	v_dot2_f32_f16 v99, v1, v9, v99
	;;#ASMEND
	;;#ASMSTART
	v_dot2_f32_f16 v99, v2, v10, v99
	;;#ASMEND
	;;#ASMSTART
	v_dot2_f32_f16 v99, v3, v11, v99
	;;#ASMEND
	;;#ASMSTART
	v_dot2_f32_f16 v99, v4, v12, v99
	;;#ASMEND
	;; [unrolled: 13-line block ×5, first 2 shown]
	;;#ASMSTART
	v_dot2_f32_f16 v100, v112, v9, v100
	;;#ASMEND
	;;#ASMSTART
	v_dot2_f32_f16 v100, v113, v10, v100
	;;#ASMEND
	;;#ASMSTART
	v_dot2_f32_f16 v100, v114, v11, v100
	;;#ASMEND
	;;#ASMSTART
	v_dot2_f32_f16 v100, v115, v12, v100
	;;#ASMEND
	;;#ASMSTART
	v_dot2_f32_f16 v95, v112, v104, v95
	;;#ASMEND
	;;#ASMSTART
	v_dot2_f32_f16 v95, v113, v105, v95
	;;#ASMEND
	;;#ASMSTART
	v_dot2_f32_f16 v95, v114, v106, v95
	;;#ASMEND
	;;#ASMSTART
	v_dot2_f32_f16 v95, v115, v107, v95
	;;#ASMEND
	;;#ASMSTART
	v_dot2_f32_f16 v85, v112, v108, v85
	;;#ASMEND
	;;#ASMSTART
	v_dot2_f32_f16 v85, v113, v109, v85
	;;#ASMEND
	;;#ASMSTART
	v_dot2_f32_f16 v85, v114, v110, v85
	;;#ASMEND
	;;#ASMSTART
	v_dot2_f32_f16 v85, v115, v111, v85
	;;#ASMEND
	s_waitcnt lgkmcnt(1)
	;;#ASMSTART
	v_dot2_f32_f16 v102, v116, v5, v102
	;;#ASMEND
	;;#ASMSTART
	v_dot2_f32_f16 v102, v117, v6, v102
	;;#ASMEND
	;; [unrolled: 3-line block ×16, first 2 shown]
	s_waitcnt lgkmcnt(0)
	;;#ASMSTART
	v_dot2_f32_f16 v103, v120, v5, v103
	;;#ASMEND
	;;#ASMSTART
	v_dot2_f32_f16 v103, v121, v6, v103
	;;#ASMEND
	;; [unrolled: 3-line block ×16, first 2 shown]
	ds_load_b128 v[1:4], v40 offset:32832
	ds_load_b128 v[5:8], v0 offset:64
	;; [unrolled: 1-line block ×8, first 2 shown]
	s_waitcnt lgkmcnt(6)
	;;#ASMSTART
	v_dot2_f32_f16 v50, v1, v5, v50
	;;#ASMEND
	;;#ASMSTART
	v_dot2_f32_f16 v50, v2, v6, v50
	;;#ASMEND
	;;#ASMSTART
	v_dot2_f32_f16 v50, v3, v7, v50
	;;#ASMEND
	;;#ASMSTART
	v_dot2_f32_f16 v50, v4, v8, v50
	;;#ASMEND
	s_waitcnt lgkmcnt(5)
	;;#ASMSTART
	v_dot2_f32_f16 v99, v1, v9, v99
	;;#ASMEND
	;;#ASMSTART
	v_dot2_f32_f16 v99, v2, v10, v99
	;;#ASMEND
	;;#ASMSTART
	v_dot2_f32_f16 v99, v3, v11, v99
	;;#ASMEND
	;;#ASMSTART
	v_dot2_f32_f16 v99, v4, v12, v99
	;;#ASMEND
	s_waitcnt lgkmcnt(4)
	;;#ASMSTART
	v_dot2_f32_f16 v93, v1, v104, v93
	;;#ASMEND
	;;#ASMSTART
	v_dot2_f32_f16 v93, v2, v105, v93
	;;#ASMEND
	;;#ASMSTART
	v_dot2_f32_f16 v93, v3, v106, v93
	;;#ASMEND
	;;#ASMSTART
	v_dot2_f32_f16 v93, v4, v107, v93
	;;#ASMEND
	s_waitcnt lgkmcnt(3)
	;;#ASMSTART
	v_dot2_f32_f16 v83, v1, v108, v83
	;;#ASMEND
	;;#ASMSTART
	v_dot2_f32_f16 v83, v2, v109, v83
	;;#ASMEND
	;;#ASMSTART
	v_dot2_f32_f16 v83, v3, v110, v83
	;;#ASMEND
	;;#ASMSTART
	v_dot2_f32_f16 v83, v4, v111, v83
	;;#ASMEND
	s_waitcnt lgkmcnt(2)
	;;#ASMSTART
	v_dot2_f32_f16 v101, v112, v5, v101
	;;#ASMEND
	;;#ASMSTART
	v_dot2_f32_f16 v101, v113, v6, v101
	;;#ASMEND
	;;#ASMSTART
	v_dot2_f32_f16 v101, v114, v7, v101
	;;#ASMEND
	;;#ASMSTART
	v_dot2_f32_f16 v101, v115, v8, v101
	;;#ASMEND
	;;#ASMSTART
	v_dot2_f32_f16 v100, v112, v9, v100
	;;#ASMEND
	;;#ASMSTART
	v_dot2_f32_f16 v100, v113, v10, v100
	;;#ASMEND
	;; [unrolled: 3-line block ×12, first 2 shown]
	s_waitcnt lgkmcnt(1)
	;;#ASMSTART
	v_dot2_f32_f16 v102, v116, v5, v102
	;;#ASMEND
	;;#ASMSTART
	v_dot2_f32_f16 v102, v117, v6, v102
	;;#ASMEND
	;; [unrolled: 3-line block ×16, first 2 shown]
	s_waitcnt lgkmcnt(0)
	;;#ASMSTART
	v_dot2_f32_f16 v103, v120, v5, v103
	;;#ASMEND
	;;#ASMSTART
	v_dot2_f32_f16 v103, v121, v6, v103
	;;#ASMEND
	;; [unrolled: 3-line block ×16, first 2 shown]
	ds_load_b128 v[1:4], v40 offset:32848
	ds_load_b128 v[5:8], v0 offset:80
	;; [unrolled: 1-line block ×8, first 2 shown]
	s_waitcnt lgkmcnt(6)
	;;#ASMSTART
	v_dot2_f32_f16 v50, v1, v5, v50
	;;#ASMEND
	;;#ASMSTART
	v_dot2_f32_f16 v50, v2, v6, v50
	;;#ASMEND
	;;#ASMSTART
	v_dot2_f32_f16 v50, v3, v7, v50
	;;#ASMEND
	;;#ASMSTART
	v_dot2_f32_f16 v50, v4, v8, v50
	;;#ASMEND
	s_waitcnt lgkmcnt(5)
	;;#ASMSTART
	v_dot2_f32_f16 v99, v1, v9, v99
	;;#ASMEND
	;;#ASMSTART
	v_dot2_f32_f16 v99, v2, v10, v99
	;;#ASMEND
	;;#ASMSTART
	v_dot2_f32_f16 v99, v3, v11, v99
	;;#ASMEND
	;;#ASMSTART
	v_dot2_f32_f16 v99, v4, v12, v99
	;;#ASMEND
	;; [unrolled: 13-line block ×5, first 2 shown]
	;;#ASMSTART
	v_dot2_f32_f16 v100, v112, v9, v100
	;;#ASMEND
	;;#ASMSTART
	v_dot2_f32_f16 v100, v113, v10, v100
	;;#ASMEND
	;; [unrolled: 3-line block ×12, first 2 shown]
	s_waitcnt lgkmcnt(1)
	;;#ASMSTART
	v_dot2_f32_f16 v102, v116, v5, v102
	;;#ASMEND
	;;#ASMSTART
	v_dot2_f32_f16 v102, v117, v6, v102
	;;#ASMEND
	;; [unrolled: 3-line block ×16, first 2 shown]
	s_waitcnt lgkmcnt(0)
	;;#ASMSTART
	v_dot2_f32_f16 v103, v120, v5, v103
	;;#ASMEND
	;;#ASMSTART
	v_dot2_f32_f16 v103, v121, v6, v103
	;;#ASMEND
	;; [unrolled: 3-line block ×16, first 2 shown]
	ds_load_b128 v[1:4], v40 offset:32864
	ds_load_b128 v[5:8], v0 offset:96
	;; [unrolled: 1-line block ×8, first 2 shown]
	s_waitcnt lgkmcnt(6)
	;;#ASMSTART
	v_dot2_f32_f16 v50, v1, v5, v50
	;;#ASMEND
	;;#ASMSTART
	v_dot2_f32_f16 v50, v2, v6, v50
	;;#ASMEND
	;;#ASMSTART
	v_dot2_f32_f16 v50, v3, v7, v50
	;;#ASMEND
	;;#ASMSTART
	v_dot2_f32_f16 v50, v4, v8, v50
	;;#ASMEND
	s_waitcnt lgkmcnt(5)
	;;#ASMSTART
	v_dot2_f32_f16 v99, v1, v9, v99
	;;#ASMEND
	;;#ASMSTART
	v_dot2_f32_f16 v99, v2, v10, v99
	;;#ASMEND
	;;#ASMSTART
	v_dot2_f32_f16 v99, v3, v11, v99
	;;#ASMEND
	;;#ASMSTART
	v_dot2_f32_f16 v99, v4, v12, v99
	;;#ASMEND
	;; [unrolled: 13-line block ×5, first 2 shown]
	;;#ASMSTART
	v_dot2_f32_f16 v100, v112, v9, v100
	;;#ASMEND
	;;#ASMSTART
	v_dot2_f32_f16 v100, v113, v10, v100
	;;#ASMEND
	;; [unrolled: 3-line block ×12, first 2 shown]
	s_waitcnt lgkmcnt(1)
	;;#ASMSTART
	v_dot2_f32_f16 v102, v116, v5, v102
	;;#ASMEND
	;;#ASMSTART
	v_dot2_f32_f16 v102, v117, v6, v102
	;;#ASMEND
	;; [unrolled: 3-line block ×16, first 2 shown]
	s_waitcnt lgkmcnt(0)
	;;#ASMSTART
	v_dot2_f32_f16 v103, v120, v5, v103
	;;#ASMEND
	;;#ASMSTART
	v_dot2_f32_f16 v103, v121, v6, v103
	;;#ASMEND
	;; [unrolled: 3-line block ×16, first 2 shown]
	ds_load_b128 v[1:4], v40 offset:32880
	ds_load_b128 v[5:8], v0 offset:112
	;; [unrolled: 1-line block ×8, first 2 shown]
	s_waitcnt lgkmcnt(6)
	;;#ASMSTART
	v_dot2_f32_f16 v50, v1, v5, v50
	;;#ASMEND
	;;#ASMSTART
	v_dot2_f32_f16 v50, v2, v6, v50
	;;#ASMEND
	;;#ASMSTART
	v_dot2_f32_f16 v50, v3, v7, v50
	;;#ASMEND
	;;#ASMSTART
	v_dot2_f32_f16 v50, v4, v8, v50
	;;#ASMEND
	s_waitcnt lgkmcnt(5)
	;;#ASMSTART
	v_dot2_f32_f16 v99, v1, v9, v99
	;;#ASMEND
	;;#ASMSTART
	v_dot2_f32_f16 v99, v2, v10, v99
	;;#ASMEND
	;;#ASMSTART
	v_dot2_f32_f16 v99, v3, v11, v99
	;;#ASMEND
	;;#ASMSTART
	v_dot2_f32_f16 v99, v4, v12, v99
	;;#ASMEND
	;; [unrolled: 13-line block ×5, first 2 shown]
	;;#ASMSTART
	v_dot2_f32_f16 v100, v112, v9, v100
	;;#ASMEND
	;;#ASMSTART
	v_dot2_f32_f16 v100, v113, v10, v100
	;;#ASMEND
	;; [unrolled: 3-line block ×12, first 2 shown]
	s_waitcnt lgkmcnt(1)
	;;#ASMSTART
	v_dot2_f32_f16 v102, v116, v5, v102
	;;#ASMEND
	;;#ASMSTART
	v_dot2_f32_f16 v102, v117, v6, v102
	;;#ASMEND
	;; [unrolled: 3-line block ×16, first 2 shown]
	s_waitcnt lgkmcnt(0)
	;;#ASMSTART
	v_dot2_f32_f16 v103, v120, v5, v103
	;;#ASMEND
	;;#ASMSTART
	v_dot2_f32_f16 v103, v121, v6, v103
	;;#ASMEND
	;;#ASMSTART
	v_dot2_f32_f16 v103, v122, v7, v103
	;;#ASMEND
	;;#ASMSTART
	v_dot2_f32_f16 v103, v123, v8, v103
	;;#ASMEND
	;;#ASMSTART
	v_dot2_f32_f16 v98, v120, v9, v98
	;;#ASMEND
	;;#ASMSTART
	v_dot2_f32_f16 v98, v121, v10, v98
	;;#ASMEND
	;;#ASMSTART
	v_dot2_f32_f16 v98, v122, v11, v98
	;;#ASMEND
	s_cmpk_gt_u32 s23, 0x1bf
	;;#ASMSTART
	v_dot2_f32_f16 v98, v123, v12, v98
	;;#ASMEND
	;;#ASMSTART
	v_dot2_f32_f16 v94, v120, v104, v94
	;;#ASMEND
	;; [unrolled: 3-line block ×3, first 2 shown]
	s_cselect_b32 s8, -1, 0
	;;#ASMSTART
	v_dot2_f32_f16 v94, v122, v106, v94
	;;#ASMEND
	;;#ASMSTART
	v_dot2_f32_f16 v94, v123, v107, v94
	;;#ASMEND
	;;#ASMSTART
	v_dot2_f32_f16 v81, v120, v108, v81
	;;#ASMEND
	s_and_b32 vcc_lo, exec_lo, s8
	;;#ASMSTART
	v_dot2_f32_f16 v81, v121, v109, v81
	;;#ASMEND
	;;#ASMSTART
	v_dot2_f32_f16 v81, v122, v110, v81
	;;#ASMEND
	;; [unrolled: 3-line block ×3, first 2 shown]
	s_cbranch_vccnz .LBB29_10
; %bb.12:                               ;   in Loop: Header=BB29_11 Depth=2
	s_barrier
	buffer_gl0_inv
	s_branch .LBB29_10
.LBB29_13:                              ;   in Loop: Header=BB29_9 Depth=1
	v_cmp_ngt_f32_e64 s8, 0x3f200000, |v50|
                                        ; implicit-def: $vgpr2
	s_delay_alu instid0(VALU_DEP_1) | instskip(NEXT) | instid1(SALU_CYCLE_1)
	s_and_saveexec_b32 s20, s8
	s_xor_b32 s8, exec_lo, s20
	s_cbranch_execz .LBB29_15
; %bb.14:                               ;   in Loop: Header=BB29_9 Depth=1
	v_add_f32_e64 v0, |v50|, |v50|
	s_delay_alu instid0(VALU_DEP_1) | instskip(SKIP_1) | instid1(VALU_DEP_2)
	v_mul_f32_e32 v1, 0x3fb8aa3b, v0
	v_cmp_ngt_f32_e32 vcc_lo, 0xc2ce8ed0, v0
	v_rndne_f32_e32 v2, v1
	v_fma_f32 v3, 0x3fb8aa3b, v0, -v1
	s_delay_alu instid0(VALU_DEP_2) | instskip(NEXT) | instid1(VALU_DEP_2)
	v_sub_f32_e32 v1, v1, v2
	v_fmac_f32_e32 v3, 0x32a5705f, v0
	v_cvt_i32_f32_e32 v2, v2
	s_delay_alu instid0(VALU_DEP_2) | instskip(NEXT) | instid1(VALU_DEP_1)
	v_add_f32_e32 v1, v1, v3
	v_exp_f32_e32 v1, v1
	s_waitcnt_depctr 0xfff
	v_ldexp_f32 v1, v1, v2
	s_delay_alu instid0(VALU_DEP_1) | instskip(SKIP_1) | instid1(VALU_DEP_2)
	v_cndmask_b32_e32 v1, 0, v1, vcc_lo
	v_cmp_nlt_f32_e32 vcc_lo, 0x42b17218, v0
	v_cndmask_b32_e32 v0, 0x7f800000, v1, vcc_lo
	s_delay_alu instid0(VALU_DEP_1) | instskip(NEXT) | instid1(VALU_DEP_1)
	v_add_f32_e32 v0, 1.0, v0
	v_rcp_f32_e32 v0, v0
	s_waitcnt_depctr 0xfff
	v_fma_f32 v2, v0, -2.0, 1.0
.LBB29_15:                              ;   in Loop: Header=BB29_9 Depth=1
	s_and_not1_saveexec_b32 s8, s8
; %bb.16:                               ;   in Loop: Header=BB29_9 Depth=1
	v_mul_f32_e32 v0, v50, v50
	s_delay_alu instid0(VALU_DEP_1) | instskip(NEXT) | instid1(VALU_DEP_1)
	v_fmaak_f32 v1, s19, v0, 0x3ca908c9
	v_fmaak_f32 v1, v0, v1, 0xbd5c1c4e
	s_delay_alu instid0(VALU_DEP_1) | instskip(NEXT) | instid1(VALU_DEP_1)
	v_fmaak_f32 v1, v0, v1, 0x3e088382
	v_fmaak_f32 v1, v0, v1, 0xbeaaaa99
	s_delay_alu instid0(VALU_DEP_1) | instskip(NEXT) | instid1(VALU_DEP_1)
	v_mul_f32_e64 v1, |v50|, v1
	v_fma_f32 v2, v0, v1, |v50|
; %bb.17:                               ;   in Loop: Header=BB29_9 Depth=1
	s_or_b32 exec_lo, exec_lo, s8
	v_add_nc_u32_e32 v0, s3, v18
	v_cmp_ngt_f32_e64 s8, 0x3f200000, |v101|
                                        ; implicit-def: $vgpr3
	s_delay_alu instid0(VALU_DEP_2) | instskip(NEXT) | instid1(VALU_DEP_1)
	v_ashrrev_i32_e32 v1, 31, v0
	v_lshlrev_b64 v[0:1], 1, v[0:1]
	s_delay_alu instid0(VALU_DEP_1) | instskip(NEXT) | instid1(VALU_DEP_2)
	v_add_co_u32 v0, vcc_lo, s36, v0
	v_add_co_ci_u32_e32 v1, vcc_lo, s37, v1, vcc_lo
	flat_load_u16 v4, v[0:1]
	s_and_saveexec_b32 s20, s8
	s_delay_alu instid0(SALU_CYCLE_1)
	s_xor_b32 s8, exec_lo, s20
	s_cbranch_execz .LBB29_19
; %bb.18:                               ;   in Loop: Header=BB29_9 Depth=1
	v_add_f32_e64 v3, |v101|, |v101|
	s_delay_alu instid0(VALU_DEP_1) | instskip(SKIP_1) | instid1(VALU_DEP_2)
	v_mul_f32_e32 v5, 0x3fb8aa3b, v3
	v_cmp_ngt_f32_e32 vcc_lo, 0xc2ce8ed0, v3
	v_rndne_f32_e32 v6, v5
	v_fma_f32 v7, 0x3fb8aa3b, v3, -v5
	s_delay_alu instid0(VALU_DEP_2) | instskip(NEXT) | instid1(VALU_DEP_2)
	v_sub_f32_e32 v5, v5, v6
	v_fmac_f32_e32 v7, 0x32a5705f, v3
	v_cvt_i32_f32_e32 v6, v6
	s_delay_alu instid0(VALU_DEP_2) | instskip(NEXT) | instid1(VALU_DEP_1)
	v_add_f32_e32 v5, v5, v7
	v_exp_f32_e32 v5, v5
	s_waitcnt_depctr 0xfff
	v_ldexp_f32 v5, v5, v6
	s_delay_alu instid0(VALU_DEP_1) | instskip(SKIP_1) | instid1(VALU_DEP_2)
	v_cndmask_b32_e32 v5, 0, v5, vcc_lo
	v_cmp_nlt_f32_e32 vcc_lo, 0x42b17218, v3
	v_cndmask_b32_e32 v3, 0x7f800000, v5, vcc_lo
	s_delay_alu instid0(VALU_DEP_1) | instskip(NEXT) | instid1(VALU_DEP_1)
	v_add_f32_e32 v3, 1.0, v3
	v_rcp_f32_e32 v3, v3
	s_waitcnt_depctr 0xfff
	v_fma_f32 v3, v3, -2.0, 1.0
.LBB29_19:                              ;   in Loop: Header=BB29_9 Depth=1
	s_and_not1_saveexec_b32 s8, s8
; %bb.20:                               ;   in Loop: Header=BB29_9 Depth=1
	v_mul_f32_e32 v3, v101, v101
	s_delay_alu instid0(VALU_DEP_1) | instskip(NEXT) | instid1(VALU_DEP_1)
	v_fmaak_f32 v5, s19, v3, 0x3ca908c9
	v_fmaak_f32 v5, v3, v5, 0xbd5c1c4e
	s_delay_alu instid0(VALU_DEP_1) | instskip(NEXT) | instid1(VALU_DEP_1)
	v_fmaak_f32 v5, v3, v5, 0x3e088382
	v_fmaak_f32 v5, v3, v5, 0xbeaaaa99
	s_delay_alu instid0(VALU_DEP_1) | instskip(NEXT) | instid1(VALU_DEP_1)
	v_mul_f32_e64 v5, |v101|, v5
	v_fma_f32 v3, v3, v5, |v101|
; %bb.21:                               ;   in Loop: Header=BB29_9 Depth=1
	s_or_b32 exec_lo, exec_lo, s8
	flat_load_u16 v5, v[0:1] offset:64
	v_cmp_ngt_f32_e64 s8, 0x3f200000, |v102|
                                        ; implicit-def: $vgpr6
	s_delay_alu instid0(VALU_DEP_1) | instskip(NEXT) | instid1(SALU_CYCLE_1)
	s_and_saveexec_b32 s20, s8
	s_xor_b32 s8, exec_lo, s20
	s_cbranch_execz .LBB29_23
; %bb.22:                               ;   in Loop: Header=BB29_9 Depth=1
	v_add_f32_e64 v6, |v102|, |v102|
	s_delay_alu instid0(VALU_DEP_1) | instskip(SKIP_1) | instid1(VALU_DEP_2)
	v_mul_f32_e32 v7, 0x3fb8aa3b, v6
	v_cmp_ngt_f32_e32 vcc_lo, 0xc2ce8ed0, v6
	v_rndne_f32_e32 v8, v7
	v_fma_f32 v9, 0x3fb8aa3b, v6, -v7
	s_delay_alu instid0(VALU_DEP_2) | instskip(NEXT) | instid1(VALU_DEP_2)
	v_sub_f32_e32 v7, v7, v8
	v_fmac_f32_e32 v9, 0x32a5705f, v6
	v_cvt_i32_f32_e32 v8, v8
	s_delay_alu instid0(VALU_DEP_2) | instskip(NEXT) | instid1(VALU_DEP_1)
	v_add_f32_e32 v7, v7, v9
	v_exp_f32_e32 v7, v7
	s_waitcnt_depctr 0xfff
	v_ldexp_f32 v7, v7, v8
	s_delay_alu instid0(VALU_DEP_1) | instskip(SKIP_1) | instid1(VALU_DEP_2)
	v_cndmask_b32_e32 v7, 0, v7, vcc_lo
	v_cmp_nlt_f32_e32 vcc_lo, 0x42b17218, v6
	v_cndmask_b32_e32 v6, 0x7f800000, v7, vcc_lo
	s_delay_alu instid0(VALU_DEP_1) | instskip(NEXT) | instid1(VALU_DEP_1)
	v_add_f32_e32 v6, 1.0, v6
	v_rcp_f32_e32 v6, v6
	s_waitcnt_depctr 0xfff
	v_fma_f32 v6, v6, -2.0, 1.0
.LBB29_23:                              ;   in Loop: Header=BB29_9 Depth=1
	s_and_not1_saveexec_b32 s8, s8
; %bb.24:                               ;   in Loop: Header=BB29_9 Depth=1
	v_mul_f32_e32 v6, v102, v102
	s_delay_alu instid0(VALU_DEP_1) | instskip(NEXT) | instid1(VALU_DEP_1)
	v_fmaak_f32 v7, s19, v6, 0x3ca908c9
	v_fmaak_f32 v7, v6, v7, 0xbd5c1c4e
	s_delay_alu instid0(VALU_DEP_1) | instskip(NEXT) | instid1(VALU_DEP_1)
	v_fmaak_f32 v7, v6, v7, 0x3e088382
	v_fmaak_f32 v7, v6, v7, 0xbeaaaa99
	s_delay_alu instid0(VALU_DEP_1) | instskip(NEXT) | instid1(VALU_DEP_1)
	v_mul_f32_e64 v7, |v102|, v7
	v_fma_f32 v6, v6, v7, |v102|
; %bb.25:                               ;   in Loop: Header=BB29_9 Depth=1
	s_or_b32 exec_lo, exec_lo, s8
	flat_load_u16 v104, v[0:1] offset:128
	v_cmp_ngt_f32_e64 s8, 0x3f200000, |v103|
                                        ; implicit-def: $vgpr7
	s_delay_alu instid0(VALU_DEP_1) | instskip(NEXT) | instid1(SALU_CYCLE_1)
	s_and_saveexec_b32 s20, s8
	s_xor_b32 s8, exec_lo, s20
	s_cbranch_execz .LBB29_27
; %bb.26:                               ;   in Loop: Header=BB29_9 Depth=1
	v_add_f32_e64 v7, |v103|, |v103|
	s_delay_alu instid0(VALU_DEP_1) | instskip(SKIP_1) | instid1(VALU_DEP_2)
	v_mul_f32_e32 v8, 0x3fb8aa3b, v7
	v_cmp_ngt_f32_e32 vcc_lo, 0xc2ce8ed0, v7
	v_rndne_f32_e32 v9, v8
	v_fma_f32 v10, 0x3fb8aa3b, v7, -v8
	s_delay_alu instid0(VALU_DEP_2) | instskip(NEXT) | instid1(VALU_DEP_2)
	v_sub_f32_e32 v8, v8, v9
	v_fmac_f32_e32 v10, 0x32a5705f, v7
	v_cvt_i32_f32_e32 v9, v9
	s_delay_alu instid0(VALU_DEP_2) | instskip(NEXT) | instid1(VALU_DEP_1)
	v_add_f32_e32 v8, v8, v10
	v_exp_f32_e32 v8, v8
	s_waitcnt_depctr 0xfff
	v_ldexp_f32 v8, v8, v9
	s_delay_alu instid0(VALU_DEP_1) | instskip(SKIP_1) | instid1(VALU_DEP_2)
	v_cndmask_b32_e32 v8, 0, v8, vcc_lo
	v_cmp_nlt_f32_e32 vcc_lo, 0x42b17218, v7
	v_cndmask_b32_e32 v7, 0x7f800000, v8, vcc_lo
	s_delay_alu instid0(VALU_DEP_1) | instskip(NEXT) | instid1(VALU_DEP_1)
	v_add_f32_e32 v7, 1.0, v7
	v_rcp_f32_e32 v7, v7
	s_waitcnt_depctr 0xfff
	v_fma_f32 v7, v7, -2.0, 1.0
.LBB29_27:                              ;   in Loop: Header=BB29_9 Depth=1
	s_and_not1_saveexec_b32 s8, s8
; %bb.28:                               ;   in Loop: Header=BB29_9 Depth=1
	v_mul_f32_e32 v7, v103, v103
	s_delay_alu instid0(VALU_DEP_1) | instskip(NEXT) | instid1(VALU_DEP_1)
	v_fmaak_f32 v8, s19, v7, 0x3ca908c9
	v_fmaak_f32 v8, v7, v8, 0xbd5c1c4e
	s_delay_alu instid0(VALU_DEP_1) | instskip(NEXT) | instid1(VALU_DEP_1)
	v_fmaak_f32 v8, v7, v8, 0x3e088382
	v_fmaak_f32 v8, v7, v8, 0xbeaaaa99
	s_delay_alu instid0(VALU_DEP_1) | instskip(NEXT) | instid1(VALU_DEP_1)
	v_mul_f32_e64 v8, |v103|, v8
	v_fma_f32 v7, v7, v8, |v103|
; %bb.29:                               ;   in Loop: Header=BB29_9 Depth=1
	s_or_b32 exec_lo, exec_lo, s8
	flat_load_u16 v105, v[0:1] offset:192
	v_bfi_b32 v0, 0x7fffffff, v2, v50
	v_bfi_b32 v1, 0x7fffffff, v3, v101
	;; [unrolled: 1-line block ×3, first 2 shown]
	v_xor_b32_e32 v50, 16, v33
	v_xor_b32_e32 v15, 8, v33
	s_waitcnt vmcnt(3) lgkmcnt(3)
	v_fma_mix_f32 v10, v0, s18, v4 op_sel_hi:[0,0,1]
	s_waitcnt vmcnt(2) lgkmcnt(2)
	v_fma_mix_f32 v11, v1, s18, v5 op_sel_hi:[0,0,1]
	v_bfi_b32 v0, 0x7fffffff, v6, v102
	v_cmp_gt_i32_e32 vcc_lo, 32, v50
	v_xor_b32_e32 v14, 4, v33
	v_xor_b32_e32 v13, 2, v33
	v_add_f32_e32 v3, 0x40051340, v11
	s_waitcnt vmcnt(1) lgkmcnt(1)
	v_fma_mix_f32 v101, v0, s18, v104 op_sel_hi:[0,0,1]
	v_cndmask_b32_e32 v0, v33, v50, vcc_lo
	v_add_f32_e32 v1, 0x40051340, v10
	v_cmp_gt_i32_e32 vcc_lo, 32, v15
	v_xor_b32_e32 v12, 1, v33
	v_cmp_ngt_f32_e64 s8, 0x3f200000, |v99|
                                        ; implicit-def: $vgpr7
	v_lshlrev_b32_e32 v0, 2, v0
	s_waitcnt vmcnt(0) lgkmcnt(0)
	v_fma_mix_f32 v102, v2, s18, v105 op_sel_hi:[0,0,1]
	v_add_f32_e32 v2, 0x40051340, v101
	v_max3_f32 v1, v92, v1, v3
	s_delay_alu instid0(VALU_DEP_3) | instskip(NEXT) | instid1(VALU_DEP_1)
	v_add_f32_e32 v3, 0x40051340, v102
	v_max3_f32 v1, v1, v2, v3
	ds_bpermute_b32 v2, v0, v1
	v_cndmask_b32_e32 v3, v33, v15, vcc_lo
	v_cmp_gt_i32_e32 vcc_lo, 32, v14
	s_waitcnt lgkmcnt(0)
	s_delay_alu instid0(VALU_DEP_2) | instskip(SKIP_2) | instid1(VALU_DEP_2)
	v_dual_max_f32 v2, v2, v2 :: v_dual_lshlrev_b32 v103, 2, v3
	v_cndmask_b32_e32 v3, v33, v14, vcc_lo
	v_cmp_gt_i32_e32 vcc_lo, 32, v13
	v_dual_max_f32 v1, v1, v2 :: v_dual_lshlrev_b32 v8, 2, v3
	v_cndmask_b32_e32 v3, v33, v13, vcc_lo
	v_cmp_gt_i32_e32 vcc_lo, 32, v12
	ds_bpermute_b32 v2, v103, v1
	v_lshlrev_b32_e32 v6, 2, v3
	s_waitcnt lgkmcnt(0)
	v_max_f32_e32 v2, v2, v2
	s_delay_alu instid0(VALU_DEP_1) | instskip(SKIP_3) | instid1(VALU_DEP_1)
	v_max_f32_e32 v1, v1, v2
	ds_bpermute_b32 v2, v8, v1
	s_waitcnt lgkmcnt(0)
	v_max_f32_e32 v2, v2, v2
	v_max_f32_e32 v1, v1, v2
	ds_bpermute_b32 v2, v6, v1
	s_waitcnt lgkmcnt(0)
	v_dual_cndmask_b32 v3, v33, v12 :: v_dual_max_f32 v2, v2, v2
	s_delay_alu instid0(VALU_DEP_1) | instskip(NEXT) | instid1(VALU_DEP_2)
	v_lshlrev_b32_e32 v3, 2, v3
	v_max_f32_e32 v1, v1, v2
	ds_bpermute_b32 v2, v3, v1
	s_and_saveexec_b32 s20, s8
	s_delay_alu instid0(SALU_CYCLE_1)
	s_xor_b32 s8, exec_lo, s20
	s_cbranch_execz .LBB29_31
; %bb.30:                               ;   in Loop: Header=BB29_9 Depth=1
	v_add_f32_e64 v7, |v99|, |v99|
	s_delay_alu instid0(VALU_DEP_1) | instskip(SKIP_1) | instid1(VALU_DEP_2)
	v_mul_f32_e32 v9, 0x3fb8aa3b, v7
	v_cmp_ngt_f32_e32 vcc_lo, 0xc2ce8ed0, v7
	v_rndne_f32_e32 v106, v9
	v_fma_f32 v107, 0x3fb8aa3b, v7, -v9
	s_delay_alu instid0(VALU_DEP_2) | instskip(NEXT) | instid1(VALU_DEP_2)
	v_sub_f32_e32 v9, v9, v106
	v_fmac_f32_e32 v107, 0x32a5705f, v7
	v_cvt_i32_f32_e32 v106, v106
	s_delay_alu instid0(VALU_DEP_2) | instskip(NEXT) | instid1(VALU_DEP_1)
	v_add_f32_e32 v9, v9, v107
	v_exp_f32_e32 v9, v9
	s_waitcnt_depctr 0xfff
	v_ldexp_f32 v9, v9, v106
	s_delay_alu instid0(VALU_DEP_1) | instskip(SKIP_1) | instid1(VALU_DEP_2)
	v_cndmask_b32_e32 v9, 0, v9, vcc_lo
	v_cmp_nlt_f32_e32 vcc_lo, 0x42b17218, v7
	v_cndmask_b32_e32 v7, 0x7f800000, v9, vcc_lo
	s_delay_alu instid0(VALU_DEP_1) | instskip(NEXT) | instid1(VALU_DEP_1)
	v_add_f32_e32 v7, 1.0, v7
	v_rcp_f32_e32 v7, v7
	s_waitcnt_depctr 0xfff
	v_fma_f32 v7, v7, -2.0, 1.0
.LBB29_31:                              ;   in Loop: Header=BB29_9 Depth=1
	s_and_not1_saveexec_b32 s8, s8
; %bb.32:                               ;   in Loop: Header=BB29_9 Depth=1
	v_mul_f32_e32 v7, v99, v99
	s_delay_alu instid0(VALU_DEP_1) | instskip(NEXT) | instid1(VALU_DEP_1)
	v_fmaak_f32 v9, s19, v7, 0x3ca908c9
	v_fmaak_f32 v9, v7, v9, 0xbd5c1c4e
	s_delay_alu instid0(VALU_DEP_1) | instskip(NEXT) | instid1(VALU_DEP_1)
	v_fmaak_f32 v9, v7, v9, 0x3e088382
	v_fmaak_f32 v9, v7, v9, 0xbeaaaa99
	s_delay_alu instid0(VALU_DEP_1) | instskip(NEXT) | instid1(VALU_DEP_1)
	v_mul_f32_e64 v9, |v99|, v9
	v_fma_f32 v7, v7, v9, |v99|
; %bb.33:                               ;   in Loop: Header=BB29_9 Depth=1
	s_or_b32 exec_lo, exec_lo, s8
	v_cmp_ngt_f32_e64 s8, 0x3f200000, |v100|
                                        ; implicit-def: $vgpr106
	s_delay_alu instid0(VALU_DEP_1) | instskip(NEXT) | instid1(SALU_CYCLE_1)
	s_and_saveexec_b32 s20, s8
	s_xor_b32 s8, exec_lo, s20
	s_cbranch_execz .LBB29_35
; %bb.34:                               ;   in Loop: Header=BB29_9 Depth=1
	v_add_f32_e64 v9, |v100|, |v100|
	s_delay_alu instid0(VALU_DEP_1) | instskip(SKIP_1) | instid1(VALU_DEP_2)
	v_mul_f32_e32 v106, 0x3fb8aa3b, v9
	v_cmp_ngt_f32_e32 vcc_lo, 0xc2ce8ed0, v9
	v_rndne_f32_e32 v107, v106
	v_fma_f32 v108, 0x3fb8aa3b, v9, -v106
	s_delay_alu instid0(VALU_DEP_2) | instskip(NEXT) | instid1(VALU_DEP_2)
	v_sub_f32_e32 v106, v106, v107
	v_fmac_f32_e32 v108, 0x32a5705f, v9
	v_cvt_i32_f32_e32 v107, v107
	s_delay_alu instid0(VALU_DEP_2) | instskip(NEXT) | instid1(VALU_DEP_1)
	v_add_f32_e32 v106, v106, v108
	v_exp_f32_e32 v106, v106
	s_waitcnt_depctr 0xfff
	v_ldexp_f32 v106, v106, v107
	s_delay_alu instid0(VALU_DEP_1) | instskip(SKIP_1) | instid1(VALU_DEP_2)
	v_cndmask_b32_e32 v106, 0, v106, vcc_lo
	v_cmp_nlt_f32_e32 vcc_lo, 0x42b17218, v9
	v_cndmask_b32_e32 v9, 0x7f800000, v106, vcc_lo
	s_delay_alu instid0(VALU_DEP_1) | instskip(NEXT) | instid1(VALU_DEP_1)
	v_add_f32_e32 v9, 1.0, v9
	v_rcp_f32_e32 v9, v9
	s_waitcnt_depctr 0xfff
	v_fma_f32 v106, v9, -2.0, 1.0
.LBB29_35:                              ;   in Loop: Header=BB29_9 Depth=1
	s_and_not1_saveexec_b32 s8, s8
; %bb.36:                               ;   in Loop: Header=BB29_9 Depth=1
	v_mul_f32_e32 v9, v100, v100
	s_delay_alu instid0(VALU_DEP_1) | instskip(NEXT) | instid1(VALU_DEP_1)
	v_fmaak_f32 v106, s19, v9, 0x3ca908c9
	v_fmaak_f32 v106, v9, v106, 0xbd5c1c4e
	s_delay_alu instid0(VALU_DEP_1) | instskip(NEXT) | instid1(VALU_DEP_1)
	v_fmaak_f32 v106, v9, v106, 0x3e088382
	v_fmaak_f32 v106, v9, v106, 0xbeaaaa99
	s_delay_alu instid0(VALU_DEP_1) | instskip(NEXT) | instid1(VALU_DEP_1)
	v_mul_f32_e64 v106, |v100|, v106
	v_fma_f32 v106, v9, v106, |v100|
; %bb.37:                               ;   in Loop: Header=BB29_9 Depth=1
	s_or_b32 exec_lo, exec_lo, s8
	v_cmp_ngt_f32_e64 s8, 0x3f200000, |v97|
                                        ; implicit-def: $vgpr107
	s_delay_alu instid0(VALU_DEP_1) | instskip(NEXT) | instid1(SALU_CYCLE_1)
	s_and_saveexec_b32 s20, s8
	s_xor_b32 s8, exec_lo, s20
	s_cbranch_execz .LBB29_39
; %bb.38:                               ;   in Loop: Header=BB29_9 Depth=1
	v_add_f32_e64 v9, |v97|, |v97|
	s_delay_alu instid0(VALU_DEP_1) | instskip(SKIP_1) | instid1(VALU_DEP_2)
	v_mul_f32_e32 v107, 0x3fb8aa3b, v9
	v_cmp_ngt_f32_e32 vcc_lo, 0xc2ce8ed0, v9
	v_rndne_f32_e32 v108, v107
	v_fma_f32 v109, 0x3fb8aa3b, v9, -v107
	s_delay_alu instid0(VALU_DEP_2) | instskip(NEXT) | instid1(VALU_DEP_2)
	v_sub_f32_e32 v107, v107, v108
	v_fmac_f32_e32 v109, 0x32a5705f, v9
	v_cvt_i32_f32_e32 v108, v108
	s_delay_alu instid0(VALU_DEP_2) | instskip(NEXT) | instid1(VALU_DEP_1)
	v_add_f32_e32 v107, v107, v109
	v_exp_f32_e32 v107, v107
	s_waitcnt_depctr 0xfff
	v_ldexp_f32 v107, v107, v108
	s_delay_alu instid0(VALU_DEP_1) | instskip(SKIP_1) | instid1(VALU_DEP_2)
	v_cndmask_b32_e32 v107, 0, v107, vcc_lo
	v_cmp_nlt_f32_e32 vcc_lo, 0x42b17218, v9
	v_cndmask_b32_e32 v9, 0x7f800000, v107, vcc_lo
	s_delay_alu instid0(VALU_DEP_1) | instskip(NEXT) | instid1(VALU_DEP_1)
	v_add_f32_e32 v9, 1.0, v9
	v_rcp_f32_e32 v9, v9
	s_waitcnt_depctr 0xfff
	v_fma_f32 v107, v9, -2.0, 1.0
.LBB29_39:                              ;   in Loop: Header=BB29_9 Depth=1
	s_and_not1_saveexec_b32 s8, s8
; %bb.40:                               ;   in Loop: Header=BB29_9 Depth=1
	v_mul_f32_e32 v9, v97, v97
	s_delay_alu instid0(VALU_DEP_1) | instskip(NEXT) | instid1(VALU_DEP_1)
	v_fmaak_f32 v107, s19, v9, 0x3ca908c9
	v_fmaak_f32 v107, v9, v107, 0xbd5c1c4e
	s_delay_alu instid0(VALU_DEP_1) | instskip(NEXT) | instid1(VALU_DEP_1)
	v_fmaak_f32 v107, v9, v107, 0x3e088382
	v_fmaak_f32 v107, v9, v107, 0xbeaaaa99
	s_delay_alu instid0(VALU_DEP_1) | instskip(NEXT) | instid1(VALU_DEP_1)
	v_mul_f32_e64 v107, |v97|, v107
	v_fma_f32 v107, v9, v107, |v97|
; %bb.41:                               ;   in Loop: Header=BB29_9 Depth=1
	s_or_b32 exec_lo, exec_lo, s8
	v_cmp_ngt_f32_e64 s8, 0x3f200000, |v98|
                                        ; implicit-def: $vgpr108
	s_delay_alu instid0(VALU_DEP_1) | instskip(NEXT) | instid1(SALU_CYCLE_1)
	s_and_saveexec_b32 s20, s8
	s_xor_b32 s8, exec_lo, s20
	s_cbranch_execz .LBB29_43
; %bb.42:                               ;   in Loop: Header=BB29_9 Depth=1
	v_add_f32_e64 v9, |v98|, |v98|
	s_delay_alu instid0(VALU_DEP_1) | instskip(SKIP_1) | instid1(VALU_DEP_2)
	v_mul_f32_e32 v108, 0x3fb8aa3b, v9
	v_cmp_ngt_f32_e32 vcc_lo, 0xc2ce8ed0, v9
	v_rndne_f32_e32 v109, v108
	v_fma_f32 v110, 0x3fb8aa3b, v9, -v108
	s_delay_alu instid0(VALU_DEP_2) | instskip(NEXT) | instid1(VALU_DEP_2)
	v_sub_f32_e32 v108, v108, v109
	v_fmac_f32_e32 v110, 0x32a5705f, v9
	v_cvt_i32_f32_e32 v109, v109
	s_delay_alu instid0(VALU_DEP_2) | instskip(NEXT) | instid1(VALU_DEP_1)
	v_add_f32_e32 v108, v108, v110
	v_exp_f32_e32 v108, v108
	s_waitcnt_depctr 0xfff
	v_ldexp_f32 v108, v108, v109
	s_delay_alu instid0(VALU_DEP_1) | instskip(SKIP_1) | instid1(VALU_DEP_2)
	v_cndmask_b32_e32 v108, 0, v108, vcc_lo
	v_cmp_nlt_f32_e32 vcc_lo, 0x42b17218, v9
	v_cndmask_b32_e32 v9, 0x7f800000, v108, vcc_lo
	s_delay_alu instid0(VALU_DEP_1) | instskip(NEXT) | instid1(VALU_DEP_1)
	v_add_f32_e32 v9, 1.0, v9
	v_rcp_f32_e32 v9, v9
	s_waitcnt_depctr 0xfff
	v_fma_f32 v108, v9, -2.0, 1.0
.LBB29_43:                              ;   in Loop: Header=BB29_9 Depth=1
	s_and_not1_saveexec_b32 s8, s8
; %bb.44:                               ;   in Loop: Header=BB29_9 Depth=1
	v_mul_f32_e32 v9, v98, v98
	s_delay_alu instid0(VALU_DEP_1) | instskip(NEXT) | instid1(VALU_DEP_1)
	v_fmaak_f32 v108, s19, v9, 0x3ca908c9
	v_fmaak_f32 v108, v9, v108, 0xbd5c1c4e
	s_delay_alu instid0(VALU_DEP_1) | instskip(NEXT) | instid1(VALU_DEP_1)
	v_fmaak_f32 v108, v9, v108, 0x3e088382
	v_fmaak_f32 v108, v9, v108, 0xbeaaaa99
	s_delay_alu instid0(VALU_DEP_1) | instskip(NEXT) | instid1(VALU_DEP_1)
	v_mul_f32_e64 v108, |v98|, v108
	v_fma_f32 v108, v9, v108, |v98|
; %bb.45:                               ;   in Loop: Header=BB29_9 Depth=1
	s_or_b32 exec_lo, exec_lo, s8
	v_cvt_f32_f16_e32 v9, v4
	v_bfi_b32 v99, 0x7fffffff, v7, v99
	v_cvt_f32_f16_e32 v7, v5
	v_bfi_b32 v100, 0x7fffffff, v106, v100
	v_cvt_f32_f16_e32 v4, v104
	v_cvt_f32_f16_e32 v5, v105
	v_fma_f32 v99, s18, v99, v9
	v_bfi_b32 v104, 0x7fffffff, v107, v97
	v_fma_f32 v97, s18, v100, v7
	v_bfi_b32 v100, 0x7fffffff, v108, v98
	v_cmp_ngt_f32_e64 s8, 0x3f200000, |v93|
	v_add_f32_e32 v105, 0x40051340, v99
	v_fma_f32 v98, s18, v104, v4
	v_add_f32_e32 v104, 0x40051340, v97
	v_fma_f32 v100, s18, v100, v5
	s_delay_alu instid0(VALU_DEP_3) | instskip(NEXT) | instid1(VALU_DEP_3)
	v_add_f32_e32 v106, 0x40051340, v98
	v_max3_f32 v104, v90, v105, v104
	s_delay_alu instid0(VALU_DEP_3) | instskip(NEXT) | instid1(VALU_DEP_1)
	v_add_f32_e32 v105, 0x40051340, v100
	v_max3_f32 v104, v104, v106, v105
                                        ; implicit-def: $vgpr106
	ds_bpermute_b32 v105, v0, v104
	s_waitcnt lgkmcnt(0)
	v_max_f32_e32 v105, v105, v105
	s_delay_alu instid0(VALU_DEP_1) | instskip(SKIP_3) | instid1(VALU_DEP_1)
	v_max_f32_e32 v104, v104, v105
	ds_bpermute_b32 v105, v103, v104
	s_waitcnt lgkmcnt(0)
	v_max_f32_e32 v105, v105, v105
	v_max_f32_e32 v104, v104, v105
	ds_bpermute_b32 v105, v8, v104
	s_waitcnt lgkmcnt(0)
	v_max_f32_e32 v105, v105, v105
	s_delay_alu instid0(VALU_DEP_1) | instskip(SKIP_3) | instid1(VALU_DEP_1)
	v_max_f32_e32 v104, v104, v105
	ds_bpermute_b32 v105, v6, v104
	s_waitcnt lgkmcnt(0)
	v_max_f32_e32 v105, v105, v105
	v_max_f32_e32 v104, v104, v105
	ds_bpermute_b32 v105, v3, v104
	s_and_saveexec_b32 s20, s8
	s_delay_alu instid0(SALU_CYCLE_1)
	s_xor_b32 s8, exec_lo, s20
	s_cbranch_execz .LBB29_47
; %bb.46:                               ;   in Loop: Header=BB29_9 Depth=1
	v_add_f32_e64 v106, |v93|, |v93|
	s_delay_alu instid0(VALU_DEP_1) | instskip(SKIP_1) | instid1(VALU_DEP_2)
	v_mul_f32_e32 v107, 0x3fb8aa3b, v106
	v_cmp_ngt_f32_e32 vcc_lo, 0xc2ce8ed0, v106
	v_rndne_f32_e32 v108, v107
	v_fma_f32 v109, 0x3fb8aa3b, v106, -v107
	s_delay_alu instid0(VALU_DEP_2) | instskip(NEXT) | instid1(VALU_DEP_2)
	v_sub_f32_e32 v107, v107, v108
	v_fmac_f32_e32 v109, 0x32a5705f, v106
	v_cvt_i32_f32_e32 v108, v108
	s_delay_alu instid0(VALU_DEP_2) | instskip(NEXT) | instid1(VALU_DEP_1)
	v_add_f32_e32 v107, v107, v109
	v_exp_f32_e32 v107, v107
	s_waitcnt_depctr 0xfff
	v_ldexp_f32 v107, v107, v108
	s_delay_alu instid0(VALU_DEP_1) | instskip(SKIP_1) | instid1(VALU_DEP_2)
	v_cndmask_b32_e32 v107, 0, v107, vcc_lo
	v_cmp_nlt_f32_e32 vcc_lo, 0x42b17218, v106
	v_cndmask_b32_e32 v106, 0x7f800000, v107, vcc_lo
	s_delay_alu instid0(VALU_DEP_1) | instskip(NEXT) | instid1(VALU_DEP_1)
	v_add_f32_e32 v106, 1.0, v106
	v_rcp_f32_e32 v106, v106
	s_waitcnt_depctr 0xfff
	v_fma_f32 v106, v106, -2.0, 1.0
.LBB29_47:                              ;   in Loop: Header=BB29_9 Depth=1
	s_and_not1_saveexec_b32 s8, s8
; %bb.48:                               ;   in Loop: Header=BB29_9 Depth=1
	v_mul_f32_e32 v106, v93, v93
	s_delay_alu instid0(VALU_DEP_1) | instskip(NEXT) | instid1(VALU_DEP_1)
	v_fmaak_f32 v107, s19, v106, 0x3ca908c9
	v_fmaak_f32 v107, v106, v107, 0xbd5c1c4e
	s_delay_alu instid0(VALU_DEP_1) | instskip(NEXT) | instid1(VALU_DEP_1)
	v_fmaak_f32 v107, v106, v107, 0x3e088382
	v_fmaak_f32 v107, v106, v107, 0xbeaaaa99
	s_delay_alu instid0(VALU_DEP_1) | instskip(NEXT) | instid1(VALU_DEP_1)
	v_mul_f32_e64 v107, |v93|, v107
	v_fma_f32 v106, v106, v107, |v93|
; %bb.49:                               ;   in Loop: Header=BB29_9 Depth=1
	s_or_b32 exec_lo, exec_lo, s8
	v_cmp_ngt_f32_e64 s8, 0x3f200000, |v95|
                                        ; implicit-def: $vgpr107
	s_delay_alu instid0(VALU_DEP_1) | instskip(NEXT) | instid1(SALU_CYCLE_1)
	s_and_saveexec_b32 s20, s8
	s_xor_b32 s8, exec_lo, s20
	s_cbranch_execz .LBB29_51
; %bb.50:                               ;   in Loop: Header=BB29_9 Depth=1
	v_add_f32_e64 v107, |v95|, |v95|
	s_delay_alu instid0(VALU_DEP_1) | instskip(SKIP_1) | instid1(VALU_DEP_2)
	v_mul_f32_e32 v108, 0x3fb8aa3b, v107
	v_cmp_ngt_f32_e32 vcc_lo, 0xc2ce8ed0, v107
	v_rndne_f32_e32 v109, v108
	v_fma_f32 v110, 0x3fb8aa3b, v107, -v108
	s_delay_alu instid0(VALU_DEP_2) | instskip(NEXT) | instid1(VALU_DEP_2)
	v_sub_f32_e32 v108, v108, v109
	v_fmac_f32_e32 v110, 0x32a5705f, v107
	v_cvt_i32_f32_e32 v109, v109
	s_delay_alu instid0(VALU_DEP_2) | instskip(NEXT) | instid1(VALU_DEP_1)
	v_add_f32_e32 v108, v108, v110
	v_exp_f32_e32 v108, v108
	s_waitcnt_depctr 0xfff
	v_ldexp_f32 v108, v108, v109
	s_delay_alu instid0(VALU_DEP_1) | instskip(SKIP_1) | instid1(VALU_DEP_2)
	v_cndmask_b32_e32 v108, 0, v108, vcc_lo
	v_cmp_nlt_f32_e32 vcc_lo, 0x42b17218, v107
	v_cndmask_b32_e32 v107, 0x7f800000, v108, vcc_lo
	s_delay_alu instid0(VALU_DEP_1) | instskip(NEXT) | instid1(VALU_DEP_1)
	v_add_f32_e32 v107, 1.0, v107
	v_rcp_f32_e32 v107, v107
	s_waitcnt_depctr 0xfff
	v_fma_f32 v107, v107, -2.0, 1.0
.LBB29_51:                              ;   in Loop: Header=BB29_9 Depth=1
	s_and_not1_saveexec_b32 s8, s8
; %bb.52:                               ;   in Loop: Header=BB29_9 Depth=1
	v_mul_f32_e32 v107, v95, v95
	s_delay_alu instid0(VALU_DEP_1) | instskip(NEXT) | instid1(VALU_DEP_1)
	v_fmaak_f32 v108, s19, v107, 0x3ca908c9
	v_fmaak_f32 v108, v107, v108, 0xbd5c1c4e
	s_delay_alu instid0(VALU_DEP_1) | instskip(NEXT) | instid1(VALU_DEP_1)
	v_fmaak_f32 v108, v107, v108, 0x3e088382
	v_fmaak_f32 v108, v107, v108, 0xbeaaaa99
	s_delay_alu instid0(VALU_DEP_1) | instskip(NEXT) | instid1(VALU_DEP_1)
	v_mul_f32_e64 v108, |v95|, v108
	v_fma_f32 v107, v107, v108, |v95|
; %bb.53:                               ;   in Loop: Header=BB29_9 Depth=1
	s_or_b32 exec_lo, exec_lo, s8
	v_cmp_ngt_f32_e64 s8, 0x3f200000, |v96|
                                        ; implicit-def: $vgpr108
	s_delay_alu instid0(VALU_DEP_1) | instskip(NEXT) | instid1(SALU_CYCLE_1)
	s_and_saveexec_b32 s20, s8
	s_xor_b32 s8, exec_lo, s20
	s_cbranch_execz .LBB29_55
; %bb.54:                               ;   in Loop: Header=BB29_9 Depth=1
	v_add_f32_e64 v108, |v96|, |v96|
	s_delay_alu instid0(VALU_DEP_1) | instskip(SKIP_1) | instid1(VALU_DEP_2)
	v_mul_f32_e32 v109, 0x3fb8aa3b, v108
	v_cmp_ngt_f32_e32 vcc_lo, 0xc2ce8ed0, v108
	v_rndne_f32_e32 v110, v109
	v_fma_f32 v111, 0x3fb8aa3b, v108, -v109
	s_delay_alu instid0(VALU_DEP_2) | instskip(NEXT) | instid1(VALU_DEP_2)
	v_sub_f32_e32 v109, v109, v110
	v_fmac_f32_e32 v111, 0x32a5705f, v108
	v_cvt_i32_f32_e32 v110, v110
	s_delay_alu instid0(VALU_DEP_2) | instskip(NEXT) | instid1(VALU_DEP_1)
	v_add_f32_e32 v109, v109, v111
	v_exp_f32_e32 v109, v109
	s_waitcnt_depctr 0xfff
	v_ldexp_f32 v109, v109, v110
	s_delay_alu instid0(VALU_DEP_1) | instskip(SKIP_1) | instid1(VALU_DEP_2)
	v_cndmask_b32_e32 v109, 0, v109, vcc_lo
	v_cmp_nlt_f32_e32 vcc_lo, 0x42b17218, v108
	v_cndmask_b32_e32 v108, 0x7f800000, v109, vcc_lo
	s_delay_alu instid0(VALU_DEP_1) | instskip(NEXT) | instid1(VALU_DEP_1)
	v_add_f32_e32 v108, 1.0, v108
	v_rcp_f32_e32 v108, v108
	s_waitcnt_depctr 0xfff
	v_fma_f32 v108, v108, -2.0, 1.0
.LBB29_55:                              ;   in Loop: Header=BB29_9 Depth=1
	s_and_not1_saveexec_b32 s8, s8
; %bb.56:                               ;   in Loop: Header=BB29_9 Depth=1
	v_mul_f32_e32 v108, v96, v96
	s_delay_alu instid0(VALU_DEP_1) | instskip(NEXT) | instid1(VALU_DEP_1)
	v_fmaak_f32 v109, s19, v108, 0x3ca908c9
	v_fmaak_f32 v109, v108, v109, 0xbd5c1c4e
	s_delay_alu instid0(VALU_DEP_1) | instskip(NEXT) | instid1(VALU_DEP_1)
	v_fmaak_f32 v109, v108, v109, 0x3e088382
	v_fmaak_f32 v109, v108, v109, 0xbeaaaa99
	s_delay_alu instid0(VALU_DEP_1) | instskip(NEXT) | instid1(VALU_DEP_1)
	v_mul_f32_e64 v109, |v96|, v109
	v_fma_f32 v108, v108, v109, |v96|
; %bb.57:                               ;   in Loop: Header=BB29_9 Depth=1
	s_or_b32 exec_lo, exec_lo, s8
	v_cmp_ngt_f32_e64 s8, 0x3f200000, |v94|
                                        ; implicit-def: $vgpr109
	s_delay_alu instid0(VALU_DEP_1) | instskip(NEXT) | instid1(SALU_CYCLE_1)
	s_and_saveexec_b32 s20, s8
	s_xor_b32 s8, exec_lo, s20
	s_cbranch_execz .LBB29_59
; %bb.58:                               ;   in Loop: Header=BB29_9 Depth=1
	v_add_f32_e64 v109, |v94|, |v94|
	s_delay_alu instid0(VALU_DEP_1) | instskip(SKIP_1) | instid1(VALU_DEP_2)
	v_mul_f32_e32 v110, 0x3fb8aa3b, v109
	v_cmp_ngt_f32_e32 vcc_lo, 0xc2ce8ed0, v109
	v_rndne_f32_e32 v111, v110
	v_fma_f32 v112, 0x3fb8aa3b, v109, -v110
	s_delay_alu instid0(VALU_DEP_2) | instskip(NEXT) | instid1(VALU_DEP_2)
	v_sub_f32_e32 v110, v110, v111
	v_fmac_f32_e32 v112, 0x32a5705f, v109
	v_cvt_i32_f32_e32 v111, v111
	s_delay_alu instid0(VALU_DEP_2) | instskip(NEXT) | instid1(VALU_DEP_1)
	v_add_f32_e32 v110, v110, v112
	v_exp_f32_e32 v110, v110
	s_waitcnt_depctr 0xfff
	v_ldexp_f32 v110, v110, v111
	s_delay_alu instid0(VALU_DEP_1) | instskip(SKIP_1) | instid1(VALU_DEP_2)
	v_cndmask_b32_e32 v110, 0, v110, vcc_lo
	v_cmp_nlt_f32_e32 vcc_lo, 0x42b17218, v109
	v_cndmask_b32_e32 v109, 0x7f800000, v110, vcc_lo
	s_delay_alu instid0(VALU_DEP_1) | instskip(NEXT) | instid1(VALU_DEP_1)
	v_add_f32_e32 v109, 1.0, v109
	v_rcp_f32_e32 v109, v109
	s_waitcnt_depctr 0xfff
	v_fma_f32 v109, v109, -2.0, 1.0
.LBB29_59:                              ;   in Loop: Header=BB29_9 Depth=1
	s_and_not1_saveexec_b32 s8, s8
; %bb.60:                               ;   in Loop: Header=BB29_9 Depth=1
	v_mul_f32_e32 v109, v94, v94
	s_delay_alu instid0(VALU_DEP_1) | instskip(NEXT) | instid1(VALU_DEP_1)
	v_fmaak_f32 v110, s19, v109, 0x3ca908c9
	v_fmaak_f32 v110, v109, v110, 0xbd5c1c4e
	s_delay_alu instid0(VALU_DEP_1) | instskip(NEXT) | instid1(VALU_DEP_1)
	v_fmaak_f32 v110, v109, v110, 0x3e088382
	v_fmaak_f32 v110, v109, v110, 0xbeaaaa99
	s_delay_alu instid0(VALU_DEP_1) | instskip(NEXT) | instid1(VALU_DEP_1)
	v_mul_f32_e64 v110, |v94|, v110
	v_fma_f32 v109, v109, v110, |v94|
; %bb.61:                               ;   in Loop: Header=BB29_9 Depth=1
	s_or_b32 exec_lo, exec_lo, s8
	v_bfi_b32 v93, 0x7fffffff, v106, v93
	v_bfi_b32 v95, 0x7fffffff, v107, v95
	;; [unrolled: 1-line block ×3, first 2 shown]
	v_cmp_ngt_f32_e64 s8, 0x3f200000, |v83|
	s_delay_alu instid0(VALU_DEP_4) | instskip(NEXT) | instid1(VALU_DEP_4)
	v_fma_f32 v96, s18, v93, v9
	v_fma_f32 v95, s18, v95, v7
	v_bfi_b32 v93, 0x7fffffff, v109, v94
	v_fma_f32 v94, s18, v106, v4
	s_delay_alu instid0(VALU_DEP_3) | instskip(NEXT) | instid1(VALU_DEP_3)
	v_dual_add_f32 v106, 0x40051340, v96 :: v_dual_add_f32 v107, 0x40051340, v95
	v_fma_f32 v93, s18, v93, v5
	s_delay_alu instid0(VALU_DEP_3) | instskip(NEXT) | instid1(VALU_DEP_3)
	v_add_f32_e32 v108, 0x40051340, v94
	v_max3_f32 v106, v88, v106, v107
	s_delay_alu instid0(VALU_DEP_3) | instskip(NEXT) | instid1(VALU_DEP_1)
	v_add_f32_e32 v107, 0x40051340, v93
	v_max3_f32 v106, v106, v108, v107
                                        ; implicit-def: $vgpr108
	ds_bpermute_b32 v107, v0, v106
	s_waitcnt lgkmcnt(0)
	v_max_f32_e32 v107, v107, v107
	s_delay_alu instid0(VALU_DEP_1) | instskip(SKIP_3) | instid1(VALU_DEP_1)
	v_max_f32_e32 v106, v106, v107
	ds_bpermute_b32 v107, v103, v106
	s_waitcnt lgkmcnt(0)
	v_max_f32_e32 v107, v107, v107
	v_max_f32_e32 v106, v106, v107
	ds_bpermute_b32 v107, v8, v106
	s_waitcnt lgkmcnt(0)
	v_max_f32_e32 v107, v107, v107
	s_delay_alu instid0(VALU_DEP_1) | instskip(SKIP_3) | instid1(VALU_DEP_1)
	v_max_f32_e32 v106, v106, v107
	ds_bpermute_b32 v107, v6, v106
	s_waitcnt lgkmcnt(0)
	v_max_f32_e32 v107, v107, v107
	v_max_f32_e32 v106, v106, v107
	ds_bpermute_b32 v107, v3, v106
	s_and_saveexec_b32 s20, s8
	s_delay_alu instid0(SALU_CYCLE_1)
	s_xor_b32 s8, exec_lo, s20
	s_cbranch_execz .LBB29_63
; %bb.62:                               ;   in Loop: Header=BB29_9 Depth=1
	v_add_f32_e64 v108, |v83|, |v83|
	s_delay_alu instid0(VALU_DEP_1) | instskip(SKIP_1) | instid1(VALU_DEP_2)
	v_mul_f32_e32 v109, 0x3fb8aa3b, v108
	v_cmp_ngt_f32_e32 vcc_lo, 0xc2ce8ed0, v108
	v_rndne_f32_e32 v110, v109
	v_fma_f32 v111, 0x3fb8aa3b, v108, -v109
	s_delay_alu instid0(VALU_DEP_2) | instskip(NEXT) | instid1(VALU_DEP_2)
	v_sub_f32_e32 v109, v109, v110
	v_fmac_f32_e32 v111, 0x32a5705f, v108
	v_cvt_i32_f32_e32 v110, v110
	s_delay_alu instid0(VALU_DEP_2) | instskip(NEXT) | instid1(VALU_DEP_1)
	v_add_f32_e32 v109, v109, v111
	v_exp_f32_e32 v109, v109
	s_waitcnt_depctr 0xfff
	v_ldexp_f32 v109, v109, v110
	s_delay_alu instid0(VALU_DEP_1) | instskip(SKIP_1) | instid1(VALU_DEP_2)
	v_cndmask_b32_e32 v109, 0, v109, vcc_lo
	v_cmp_nlt_f32_e32 vcc_lo, 0x42b17218, v108
	v_cndmask_b32_e32 v108, 0x7f800000, v109, vcc_lo
	s_delay_alu instid0(VALU_DEP_1) | instskip(NEXT) | instid1(VALU_DEP_1)
	v_add_f32_e32 v108, 1.0, v108
	v_rcp_f32_e32 v108, v108
	s_waitcnt_depctr 0xfff
	v_fma_f32 v108, v108, -2.0, 1.0
.LBB29_63:                              ;   in Loop: Header=BB29_9 Depth=1
	s_and_not1_saveexec_b32 s8, s8
; %bb.64:                               ;   in Loop: Header=BB29_9 Depth=1
	v_mul_f32_e32 v108, v83, v83
	s_delay_alu instid0(VALU_DEP_1) | instskip(NEXT) | instid1(VALU_DEP_1)
	v_fmaak_f32 v109, s19, v108, 0x3ca908c9
	v_fmaak_f32 v109, v108, v109, 0xbd5c1c4e
	s_delay_alu instid0(VALU_DEP_1) | instskip(NEXT) | instid1(VALU_DEP_1)
	v_fmaak_f32 v109, v108, v109, 0x3e088382
	v_fmaak_f32 v109, v108, v109, 0xbeaaaa99
	s_delay_alu instid0(VALU_DEP_1) | instskip(NEXT) | instid1(VALU_DEP_1)
	v_mul_f32_e64 v109, |v83|, v109
	v_fma_f32 v108, v108, v109, |v83|
; %bb.65:                               ;   in Loop: Header=BB29_9 Depth=1
	s_or_b32 exec_lo, exec_lo, s8
	v_cmp_ngt_f32_e64 s8, 0x3f200000, |v85|
                                        ; implicit-def: $vgpr109
	s_delay_alu instid0(VALU_DEP_1) | instskip(NEXT) | instid1(SALU_CYCLE_1)
	s_and_saveexec_b32 s20, s8
	s_xor_b32 s8, exec_lo, s20
	s_cbranch_execz .LBB29_67
; %bb.66:                               ;   in Loop: Header=BB29_9 Depth=1
	v_add_f32_e64 v109, |v85|, |v85|
	s_delay_alu instid0(VALU_DEP_1) | instskip(SKIP_1) | instid1(VALU_DEP_2)
	v_mul_f32_e32 v110, 0x3fb8aa3b, v109
	v_cmp_ngt_f32_e32 vcc_lo, 0xc2ce8ed0, v109
	v_rndne_f32_e32 v111, v110
	v_fma_f32 v112, 0x3fb8aa3b, v109, -v110
	s_delay_alu instid0(VALU_DEP_2) | instskip(NEXT) | instid1(VALU_DEP_2)
	v_sub_f32_e32 v110, v110, v111
	v_fmac_f32_e32 v112, 0x32a5705f, v109
	v_cvt_i32_f32_e32 v111, v111
	s_delay_alu instid0(VALU_DEP_2) | instskip(NEXT) | instid1(VALU_DEP_1)
	v_add_f32_e32 v110, v110, v112
	v_exp_f32_e32 v110, v110
	s_waitcnt_depctr 0xfff
	v_ldexp_f32 v110, v110, v111
	s_delay_alu instid0(VALU_DEP_1) | instskip(SKIP_1) | instid1(VALU_DEP_2)
	v_cndmask_b32_e32 v110, 0, v110, vcc_lo
	v_cmp_nlt_f32_e32 vcc_lo, 0x42b17218, v109
	v_cndmask_b32_e32 v109, 0x7f800000, v110, vcc_lo
	s_delay_alu instid0(VALU_DEP_1) | instskip(NEXT) | instid1(VALU_DEP_1)
	v_add_f32_e32 v109, 1.0, v109
	v_rcp_f32_e32 v109, v109
	s_waitcnt_depctr 0xfff
	v_fma_f32 v109, v109, -2.0, 1.0
.LBB29_67:                              ;   in Loop: Header=BB29_9 Depth=1
	s_and_not1_saveexec_b32 s8, s8
; %bb.68:                               ;   in Loop: Header=BB29_9 Depth=1
	v_mul_f32_e32 v109, v85, v85
	s_delay_alu instid0(VALU_DEP_1) | instskip(NEXT) | instid1(VALU_DEP_1)
	v_fmaak_f32 v110, s19, v109, 0x3ca908c9
	v_fmaak_f32 v110, v109, v110, 0xbd5c1c4e
	s_delay_alu instid0(VALU_DEP_1) | instskip(NEXT) | instid1(VALU_DEP_1)
	v_fmaak_f32 v110, v109, v110, 0x3e088382
	v_fmaak_f32 v110, v109, v110, 0xbeaaaa99
	s_delay_alu instid0(VALU_DEP_1) | instskip(NEXT) | instid1(VALU_DEP_1)
	v_mul_f32_e64 v110, |v85|, v110
	v_fma_f32 v109, v109, v110, |v85|
; %bb.69:                               ;   in Loop: Header=BB29_9 Depth=1
	s_or_b32 exec_lo, exec_lo, s8
	v_cmp_ngt_f32_e64 s8, 0x3f200000, |v82|
                                        ; implicit-def: $vgpr110
	s_delay_alu instid0(VALU_DEP_1) | instskip(NEXT) | instid1(SALU_CYCLE_1)
	s_and_saveexec_b32 s20, s8
	s_xor_b32 s8, exec_lo, s20
	s_cbranch_execz .LBB29_71
; %bb.70:                               ;   in Loop: Header=BB29_9 Depth=1
	v_add_f32_e64 v110, |v82|, |v82|
	s_delay_alu instid0(VALU_DEP_1) | instskip(SKIP_1) | instid1(VALU_DEP_2)
	v_mul_f32_e32 v111, 0x3fb8aa3b, v110
	v_cmp_ngt_f32_e32 vcc_lo, 0xc2ce8ed0, v110
	v_rndne_f32_e32 v112, v111
	v_fma_f32 v113, 0x3fb8aa3b, v110, -v111
	s_delay_alu instid0(VALU_DEP_2) | instskip(NEXT) | instid1(VALU_DEP_2)
	v_sub_f32_e32 v111, v111, v112
	v_fmac_f32_e32 v113, 0x32a5705f, v110
	v_cvt_i32_f32_e32 v112, v112
	s_delay_alu instid0(VALU_DEP_2) | instskip(NEXT) | instid1(VALU_DEP_1)
	v_add_f32_e32 v111, v111, v113
	v_exp_f32_e32 v111, v111
	s_waitcnt_depctr 0xfff
	v_ldexp_f32 v111, v111, v112
	s_delay_alu instid0(VALU_DEP_1) | instskip(SKIP_1) | instid1(VALU_DEP_2)
	v_cndmask_b32_e32 v111, 0, v111, vcc_lo
	v_cmp_nlt_f32_e32 vcc_lo, 0x42b17218, v110
	v_cndmask_b32_e32 v110, 0x7f800000, v111, vcc_lo
	s_delay_alu instid0(VALU_DEP_1) | instskip(NEXT) | instid1(VALU_DEP_1)
	v_add_f32_e32 v110, 1.0, v110
	v_rcp_f32_e32 v110, v110
	s_waitcnt_depctr 0xfff
	v_fma_f32 v110, v110, -2.0, 1.0
.LBB29_71:                              ;   in Loop: Header=BB29_9 Depth=1
	s_and_not1_saveexec_b32 s8, s8
; %bb.72:                               ;   in Loop: Header=BB29_9 Depth=1
	v_mul_f32_e32 v110, v82, v82
	s_delay_alu instid0(VALU_DEP_1) | instskip(NEXT) | instid1(VALU_DEP_1)
	v_fmaak_f32 v111, s19, v110, 0x3ca908c9
	v_fmaak_f32 v111, v110, v111, 0xbd5c1c4e
	s_delay_alu instid0(VALU_DEP_1) | instskip(NEXT) | instid1(VALU_DEP_1)
	v_fmaak_f32 v111, v110, v111, 0x3e088382
	v_fmaak_f32 v111, v110, v111, 0xbeaaaa99
	s_delay_alu instid0(VALU_DEP_1) | instskip(NEXT) | instid1(VALU_DEP_1)
	v_mul_f32_e64 v111, |v82|, v111
	v_fma_f32 v110, v110, v111, |v82|
; %bb.73:                               ;   in Loop: Header=BB29_9 Depth=1
	s_or_b32 exec_lo, exec_lo, s8
	v_cmp_ngt_f32_e64 s8, 0x3f200000, |v81|
                                        ; implicit-def: $vgpr111
	s_delay_alu instid0(VALU_DEP_1) | instskip(NEXT) | instid1(SALU_CYCLE_1)
	s_and_saveexec_b32 s20, s8
	s_xor_b32 s8, exec_lo, s20
	s_cbranch_execz .LBB29_75
; %bb.74:                               ;   in Loop: Header=BB29_9 Depth=1
	v_add_f32_e64 v111, |v81|, |v81|
	s_delay_alu instid0(VALU_DEP_1) | instskip(SKIP_1) | instid1(VALU_DEP_2)
	v_mul_f32_e32 v112, 0x3fb8aa3b, v111
	v_cmp_ngt_f32_e32 vcc_lo, 0xc2ce8ed0, v111
	v_rndne_f32_e32 v113, v112
	v_fma_f32 v114, 0x3fb8aa3b, v111, -v112
	s_delay_alu instid0(VALU_DEP_2) | instskip(NEXT) | instid1(VALU_DEP_2)
	v_sub_f32_e32 v112, v112, v113
	v_fmac_f32_e32 v114, 0x32a5705f, v111
	v_cvt_i32_f32_e32 v113, v113
	s_delay_alu instid0(VALU_DEP_2) | instskip(NEXT) | instid1(VALU_DEP_1)
	v_add_f32_e32 v112, v112, v114
	v_exp_f32_e32 v112, v112
	s_waitcnt_depctr 0xfff
	v_ldexp_f32 v112, v112, v113
	s_delay_alu instid0(VALU_DEP_1) | instskip(SKIP_1) | instid1(VALU_DEP_2)
	v_cndmask_b32_e32 v112, 0, v112, vcc_lo
	v_cmp_nlt_f32_e32 vcc_lo, 0x42b17218, v111
	v_cndmask_b32_e32 v111, 0x7f800000, v112, vcc_lo
	s_delay_alu instid0(VALU_DEP_1) | instskip(NEXT) | instid1(VALU_DEP_1)
	v_add_f32_e32 v111, 1.0, v111
	v_rcp_f32_e32 v111, v111
	s_waitcnt_depctr 0xfff
	v_fma_f32 v111, v111, -2.0, 1.0
.LBB29_75:                              ;   in Loop: Header=BB29_9 Depth=1
	s_and_not1_saveexec_b32 s8, s8
; %bb.76:                               ;   in Loop: Header=BB29_9 Depth=1
	v_mul_f32_e32 v111, v81, v81
	s_delay_alu instid0(VALU_DEP_1) | instskip(NEXT) | instid1(VALU_DEP_1)
	v_fmaak_f32 v112, s19, v111, 0x3ca908c9
	v_fmaak_f32 v112, v111, v112, 0xbd5c1c4e
	s_delay_alu instid0(VALU_DEP_1) | instskip(NEXT) | instid1(VALU_DEP_1)
	v_fmaak_f32 v112, v111, v112, 0x3e088382
	v_fmaak_f32 v112, v111, v112, 0xbeaaaa99
	s_delay_alu instid0(VALU_DEP_1) | instskip(NEXT) | instid1(VALU_DEP_1)
	v_mul_f32_e64 v112, |v81|, v112
	v_fma_f32 v111, v111, v112, |v81|
; %bb.77:                               ;   in Loop: Header=BB29_9 Depth=1
	s_or_b32 exec_lo, exec_lo, s8
	v_bfi_b32 v83, 0x7fffffff, v108, v83
	v_bfi_b32 v85, 0x7fffffff, v109, v85
	;; [unrolled: 1-line block ×4, first 2 shown]
	s_mul_hi_i32 s21, s3, s10
	v_fmac_f32_e32 v9, s18, v83
	s_delay_alu instid0(VALU_DEP_3) | instskip(NEXT) | instid1(VALU_DEP_3)
	v_dual_fmac_f32 v7, s18, v85 :: v_dual_fmac_f32 v4, s18, v82
	v_fmac_f32_e32 v5, s18, v81
	s_mul_i32 s20, s3, s10
	s_delay_alu instid0(VALU_DEP_3) | instskip(NEXT) | instid1(VALU_DEP_3)
	v_dual_add_f32 v81, 0x40051340, v9 :: v_dual_max_f32 v106, v106, v106
	v_dual_add_f32 v82, 0x40051340, v7 :: v_dual_add_f32 v83, 0x40051340, v4
	s_lshl_b64 s[20:21], s[20:21], 2
	s_waitcnt lgkmcnt(0)
	s_add_u32 s8, s11, s20
	s_delay_alu instid0(VALU_DEP_1)
	v_max3_f32 v81, v86, v81, v82
	v_dual_max_f32 v82, v107, v107 :: v_dual_add_f32 v85, 0x40051340, v5
	s_addc_u32 s20, s17, s21
	s_barrier
	buffer_gl0_inv
	v_max3_f32 v81, v81, v83, v85
	v_max_f32_e32 v83, v104, v104
	v_dual_max_f32 v85, v2, v2 :: v_dual_max_f32 v104, v1, v1
	v_max_f32_e32 v2, v106, v82
	ds_bpermute_b32 v107, v0, v81
	v_add_co_u32 v82, vcc_lo, s8, v27
	v_max_f32_e32 v0, v104, v85
	v_max_f32_e32 v105, v105, v105
	s_delay_alu instid0(VALU_DEP_2) | instskip(NEXT) | instid1(VALU_DEP_2)
	v_dual_sub_f32 v95, v95, v2 :: v_dual_sub_f32 v92, v92, v0
	v_max_f32_e32 v1, v83, v105
	v_add_co_ci_u32_e32 v83, vcc_lo, s20, v28, vcc_lo
	v_add_co_u32 v85, vcc_lo, s8, v29
	v_add_co_ci_u32_e32 v104, vcc_lo, s20, v30, vcc_lo
	s_or_b32 s8, s3, 16
	s_delay_alu instid0(SALU_CYCLE_1)
	s_mul_hi_i32 s21, s8, s10
	s_mul_i32 s20, s8, s10
	s_waitcnt lgkmcnt(0)
	v_dual_max_f32 v105, v107, v107 :: v_dual_sub_f32 v116, v102, v0
	v_dual_sub_f32 v118, v99, v1 :: v_dual_sub_f32 v113, v10, v0
	v_add_co_u32 v10, vcc_lo, v82, v39
	s_delay_alu instid0(VALU_DEP_3)
	v_dual_max_f32 v117, v81, v105 :: v_dual_mul_f32 v124, 0x3fb8aa3b, v116
	v_sub_f32_e32 v114, v11, v0
	v_add_co_ci_u32_e32 v11, vcc_lo, 0, v83, vcc_lo
	ds_bpermute_b32 v122, v103, v117
	v_add_co_u32 v81, vcc_lo, v85, v39
	v_mul_f32_e32 v126, 0x3fb8aa3b, v118
	v_add_co_ci_u32_e32 v82, vcc_lo, 0, v104, vcc_lo
	v_dual_sub_f32 v115, v101, v0 :: v_dual_sub_f32 v120, v98, v1
	v_sub_f32_e32 v119, v97, v1
	v_sub_f32_e32 v121, v100, v1
	s_clause 0x3
	global_load_b128 v[97:100], v[10:11], off
	global_load_b128 v[101:104], v[10:11], off offset:512
	global_load_b128 v[105:108], v[81:82], off
	global_load_b128 v[109:112], v[81:82], off offset:512
	v_rndne_f32_e32 v135, v126
	v_mul_f32_e32 v125, 0x3fb8aa3b, v92
	v_fma_f32 v134, 0x3fb8aa3b, v118, -v126
	v_rndne_f32_e32 v131, v124
	s_delay_alu instid0(VALU_DEP_4) | instskip(NEXT) | instid1(VALU_DEP_4)
	v_dual_mul_f32 v83, 0x3fb8aa3b, v113 :: v_dual_sub_f32 v126, v126, v135
	v_fma_f32 v132, 0x3fb8aa3b, v92, -v125
	s_delay_alu instid0(VALU_DEP_4)
	v_fmac_f32_e32 v134, 0x32a5705f, v118
	s_waitcnt lgkmcnt(0)
	v_dual_mul_f32 v128, 0x3fb8aa3b, v120 :: v_dual_max_f32 v81, v122, v122
	v_rndne_f32_e32 v133, v125
	v_fmac_f32_e32 v132, 0x32a5705f, v92
	v_cmp_ngt_f32_e32 vcc_lo, 0xc2ce8ed0, v113
	s_delay_alu instid0(VALU_DEP_4)
	v_rndne_f32_e32 v139, v128
	v_max_f32_e32 v81, v117, v81
	v_fma_f32 v117, 0x3fb8aa3b, v116, -v124
	v_sub_f32_e32 v124, v124, v131
	v_fma_f32 v10, 0x3fb8aa3b, v113, -v83
	v_rndne_f32_e32 v11, v83
	ds_bpermute_b32 v8, v8, v81
	v_mul_f32_e32 v85, 0x3fb8aa3b, v114
	v_fma_f32 v138, 0x3fb8aa3b, v120, -v128
	v_dual_fmac_f32 v10, 0x32a5705f, v113 :: v_dual_sub_f32 v83, v83, v11
	v_mul_f32_e32 v123, 0x3fb8aa3b, v115
	v_cvt_i32_f32_e32 v11, v11
	s_delay_alu instid0(VALU_DEP_4)
	v_fmac_f32_e32 v138, 0x32a5705f, v120
	s_lshl_b64 s[20:21], s[20:21], 2
	v_add_f32_e32 v10, v83, v10
	v_fma_f32 v129, 0x3fb8aa3b, v115, -v123
	v_rndne_f32_e32 v130, v123
	s_add_u32 s8, s11, s20
	s_addc_u32 s20, s17, s21
	v_exp_f32_e32 v10, v10
	s_delay_alu instid0(VALU_DEP_1)
	v_sub_f32_e32 v123, v123, v130
	v_cvt_i32_f32_e32 v130, v130
	s_waitcnt lgkmcnt(0)
	v_max_f32_e32 v8, v8, v8
	v_fma_f32 v82, 0x3fb8aa3b, v114, -v85
	v_rndne_f32_e32 v122, v85
	v_fmac_f32_e32 v129, 0x32a5705f, v115
	s_delay_alu instid0(TRANS32_DEP_1)
	v_ldexp_f32 v10, v10, v11
	v_max_f32_e32 v8, v81, v8
	v_fmac_f32_e32 v82, 0x32a5705f, v114
	v_sub_f32_e32 v85, v85, v122
	v_mul_f32_e32 v127, 0x3fb8aa3b, v119
	v_dual_fmac_f32 v117, 0x32a5705f, v116 :: v_dual_cndmask_b32 v10, 0, v10
	ds_bpermute_b32 v6, v6, v8
	v_dual_add_f32 v82, v85, v82 :: v_dual_add_f32 v81, v123, v129
	v_cvt_i32_f32_e32 v122, v122
	v_sub_f32_e32 v125, v125, v133
	v_add_f32_e32 v83, v124, v117
	s_delay_alu instid0(VALU_DEP_4)
	v_exp_f32_e32 v82, v82
	v_exp_f32_e32 v81, v81
	v_cmp_ngt_f32_e32 vcc_lo, 0xc2ce8ed0, v114
	v_cvt_i32_f32_e32 v123, v131
	v_exp_f32_e32 v83, v83
	v_cvt_i32_f32_e32 v124, v133
	v_fma_f32 v136, 0x3fb8aa3b, v119, -v127
	v_rndne_f32_e32 v137, v127
	s_delay_alu instid0(TRANS32_DEP_3) | instskip(NEXT) | instid1(TRANS32_DEP_2)
	v_ldexp_f32 v11, v82, v122
	v_ldexp_f32 v81, v81, v130
	s_delay_alu instid0(VALU_DEP_4)
	v_fmac_f32_e32 v136, 0x32a5705f, v119
	s_waitcnt lgkmcnt(0)
	v_dual_max_f32 v6, v6, v6 :: v_dual_add_f32 v85, v125, v132
	v_cndmask_b32_e32 v11, 0, v11, vcc_lo
	v_cmp_ngt_f32_e32 vcc_lo, 0xc2ce8ed0, v115
	v_ldexp_f32 v82, v83, v123
	s_delay_alu instid0(VALU_DEP_4)
	v_max_f32_e32 v6, v8, v6
	v_exp_f32_e32 v85, v85
	v_cndmask_b32_e32 v81, 0, v81, vcc_lo
	v_cmp_ngt_f32_e32 vcc_lo, 0xc2ce8ed0, v116
	ds_bpermute_b32 v3, v3, v6
	v_cndmask_b32_e32 v82, 0, v82, vcc_lo
	v_cmp_ngt_f32_e32 vcc_lo, 0xc2ce8ed0, v92
	v_ldexp_f32 v83, v85, v124
	s_delay_alu instid0(VALU_DEP_1)
	v_cndmask_b32_e32 v8, 0, v83, vcc_lo
	v_cmp_nlt_f32_e32 vcc_lo, 0x42b17218, v113
	v_cvt_i32_f32_e32 v83, v137
	v_cndmask_b32_e32 v10, 0x7f800000, v10, vcc_lo
	v_cmp_nlt_f32_e32 vcc_lo, 0x42b17218, v114
	s_waitcnt lgkmcnt(0)
	v_max_f32_e32 v3, v3, v3
	s_delay_alu instid0(VALU_DEP_3) | instskip(SKIP_2) | instid1(VALU_DEP_2)
	v_cvt_f16_f32_e32 v85, v10
	v_cndmask_b32_e32 v11, 0x7f800000, v11, vcc_lo
	v_cmp_nlt_f32_e32 vcc_lo, 0x42b17218, v115
	v_dual_add_f32 v10, v10, v11 :: v_dual_cndmask_b32 v81, 0x7f800000, v81
	v_cmp_nlt_f32_e32 vcc_lo, 0x42b17218, v92
	v_add_f32_e32 v117, v126, v134
	s_delay_alu instid0(VALU_DEP_3)
	v_add_f32_e32 v10, v81, v10
	v_cndmask_b32_e32 v8, 0x7f800000, v8, vcc_lo
	v_cmp_nlt_f32_e32 vcc_lo, 0x42b17218, v116
	v_sub_f32_e32 v125, v127, v137
	v_exp_f32_e32 v117, v117
	v_cvt_f16_f32_e32 v113, v81
	v_cvt_f16_f32_e32 v92, v8
	v_cndmask_b32_e32 v82, 0x7f800000, v82, vcc_lo
	v_cmp_ngt_f32_e32 vcc_lo, 0xc2ce8ed0, v118
	s_delay_alu instid0(VALU_DEP_3) | instskip(NEXT) | instid1(VALU_DEP_3)
	v_pk_mul_f16 v116, v92, v74 op_sel_hi:[0,1]
	v_dual_add_f32 v81, v82, v10 :: v_dual_sub_f32 v10, v128, v139
	v_dual_mul_f32 v74, 0x3fb8aa3b, v121 :: v_dual_max_f32 v3, v6, v3
	v_cvt_i32_f32_e32 v6, v135
	s_delay_alu instid0(VALU_DEP_3) | instskip(SKIP_2) | instid1(VALU_DEP_4)
	v_dual_fmac_f32 v81, v91, v8 :: v_dual_add_f32 v10, v10, v138
	v_add_f32_e32 v8, v125, v136
	v_pk_mul_f16 v122, v92, v75 op_sel_hi:[0,1]
	v_ldexp_f32 v6, v117, v6
	v_cvt_f16_f32_e32 v114, v82
	v_pk_mul_f16 v115, v92, v76 op_sel_hi:[0,1]
	v_exp_f32_e32 v8, v8
	v_fma_f32 v76, 0x3fb8aa3b, v121, -v74
	v_cndmask_b32_e32 v6, 0, v6, vcc_lo
	v_cmp_nlt_f32_e32 vcc_lo, 0x42b17218, v118
	v_sub_f32_e32 v75, v90, v1
	v_rndne_f32_e32 v82, v74
	v_exp_f32_e32 v10, v10
	v_cvt_f16_f32_e32 v11, v11
	v_cndmask_b32_e32 v6, 0x7f800000, v6, vcc_lo
	v_cmp_ngt_f32_e32 vcc_lo, 0xc2ce8ed0, v119
	v_ldexp_f32 v8, v8, v83
	v_sub_f32_e32 v74, v74, v82
	v_cvt_i32_f32_e32 v83, v139
	v_cvt_i32_f32_e32 v82, v82
	v_pk_mul_f16 v79, v92, v79 op_sel_hi:[0,1]
	v_cndmask_b32_e32 v8, 0, v8, vcc_lo
	v_cmp_nlt_f32_e32 vcc_lo, 0x42b17218, v119
	v_ldexp_f32 v10, v10, v83
	v_pk_mul_f16 v78, v92, v78 op_sel_hi:[0,1]
	v_pk_mul_f16 v80, v92, v80 op_sel_hi:[0,1]
	;; [unrolled: 1-line block ×3, first 2 shown]
	v_cndmask_b32_e32 v8, 0x7f800000, v8, vcc_lo
	v_mul_f32_e32 v90, 0x3fb8aa3b, v75
	v_cmp_ngt_f32_e32 vcc_lo, 0xc2ce8ed0, v120
	v_sub_f32_e32 v9, v9, v3
	v_sub_f32_e32 v7, v7, v3
	s_delay_alu instid0(VALU_DEP_4) | instskip(SKIP_3) | instid1(VALU_DEP_4)
	v_rndne_f32_e32 v91, v90
	v_fmac_f32_e32 v76, 0x32a5705f, v121
	v_cndmask_b32_e32 v10, 0, v10, vcc_lo
	v_cmp_nlt_f32_e32 vcc_lo, 0x42b17218, v120
	v_sub_f32_e32 v83, v90, v91
	s_delay_alu instid0(VALU_DEP_4)
	v_add_f32_e32 v74, v74, v76
	v_fma_f32 v76, 0x3fb8aa3b, v75, -v90
	v_sub_f32_e32 v90, v96, v2
	v_cndmask_b32_e32 v10, 0x7f800000, v10, vcc_lo
	v_cmp_ngt_f32_e32 vcc_lo, 0xc2ce8ed0, v121
	v_exp_f32_e32 v74, v74
	v_fmac_f32_e32 v76, 0x32a5705f, v75
	s_delay_alu instid0(VALU_DEP_1)
	v_add_f32_e32 v76, v83, v76
	v_add_f32_e32 v83, v6, v8
	v_cvt_f16_f32_e32 v6, v6
	s_waitcnt_depctr 0xfff
	v_ldexp_f32 v74, v74, v82
	v_exp_f32_e32 v76, v76
	v_add_f32_e32 v82, v10, v83
	v_cvt_i32_f32_e32 v83, v91
	s_delay_alu instid0(VALU_DEP_3) | instskip(SKIP_1) | instid1(VALU_DEP_2)
	v_cndmask_b32_e32 v74, 0, v74, vcc_lo
	v_cmp_nlt_f32_e32 vcc_lo, 0x42b17218, v121
	v_cndmask_b32_e32 v74, 0x7f800000, v74, vcc_lo
	s_waitcnt_depctr 0xfff
	v_ldexp_f32 v76, v76, v83
	v_mul_f32_e32 v83, 0x3fb8aa3b, v90
	v_cmp_ngt_f32_e32 vcc_lo, 0xc2ce8ed0, v75
	v_add_f32_e32 v82, v74, v82
	s_delay_alu instid0(VALU_DEP_3) | instskip(SKIP_3) | instid1(VALU_DEP_4)
	v_fma_f32 v91, 0x3fb8aa3b, v90, -v83
	v_cndmask_b32_e32 v76, 0, v76, vcc_lo
	v_rndne_f32_e32 v96, v83
	v_cmp_nlt_f32_e32 vcc_lo, 0x42b17218, v75
	v_fmac_f32_e32 v91, 0x32a5705f, v90
	s_delay_alu instid0(VALU_DEP_4) | instskip(NEXT) | instid1(VALU_DEP_4)
	v_cndmask_b32_e32 v75, 0x7f800000, v76, vcc_lo
	v_dual_sub_f32 v76, v83, v96 :: v_dual_mul_f32 v83, 0x3fb8aa3b, v95
	v_cmp_ngt_f32_e32 vcc_lo, 0xc2ce8ed0, v90
	s_delay_alu instid0(VALU_DEP_3) | instskip(SKIP_1) | instid1(VALU_DEP_4)
	v_cvt_f16_f32_e32 v117, v75
	v_fmac_f32_e32 v82, v89, v75
	v_add_f32_e32 v75, v76, v91
	v_fma_f32 v76, 0x3fb8aa3b, v95, -v83
	v_rndne_f32_e32 v89, v83
	v_pk_mul_f16 v118, v117, v70 op_sel_hi:[0,1]
	v_pk_mul_f16 v120, v117, v69 op_sel_hi:[0,1]
	v_exp_f32_e32 v70, v75
	v_cvt_i32_f32_e32 v69, v96
	v_pk_mul_f16 v91, v117, v73 op_sel_hi:[0,1]
	v_sub_f32_e32 v73, v83, v89
	v_pk_mul_f16 v121, v117, v71 op_sel_hi:[0,1]
	v_cvt_i32_f32_e32 v75, v89
	v_pk_mul_f16 v119, v117, v72 op_sel_hi:[0,1]
	v_cvt_f16_f32_e32 v8, v8
	v_cvt_f16_f32_e32 v10, v10
	v_pk_mul_f16 v66, v117, v66 op_sel_hi:[0,1]
	v_ldexp_f32 v69, v70, v69
	v_pk_mul_f16 v67, v117, v67 op_sel_hi:[0,1]
	s_delay_alu instid0(VALU_DEP_2) | instskip(SKIP_1) | instid1(VALU_DEP_2)
	v_cndmask_b32_e32 v69, 0, v69, vcc_lo
	v_cmp_nlt_f32_e32 vcc_lo, 0x42b17218, v90
	v_cndmask_b32_e32 v69, 0x7f800000, v69, vcc_lo
	v_fmac_f32_e32 v76, 0x32a5705f, v95
	v_cmp_ngt_f32_e32 vcc_lo, 0xc2ce8ed0, v95
	s_delay_alu instid0(VALU_DEP_2) | instskip(SKIP_2) | instid1(VALU_DEP_3)
	v_add_f32_e32 v71, v73, v76
	v_sub_f32_e32 v73, v88, v2
	v_cvt_f16_f32_e32 v88, v69
	v_exp_f32_e32 v70, v71
	s_delay_alu instid0(VALU_DEP_2) | instskip(SKIP_3) | instid1(VALU_DEP_2)
	v_mul_f32_e32 v89, 0x3fb8aa3b, v73
	s_waitcnt_depctr 0xfff
	v_ldexp_f32 v70, v70, v75
	v_sub_f32_e32 v75, v93, v2
	v_cndmask_b32_e32 v70, 0, v70, vcc_lo
	v_cmp_nlt_f32_e32 vcc_lo, 0x42b17218, v95
	v_rndne_f32_e32 v95, v89
	v_sub_f32_e32 v72, v94, v2
	v_fma_f32 v94, 0x3fb8aa3b, v73, -v89
	s_delay_alu instid0(VALU_DEP_3) | instskip(NEXT) | instid1(VALU_DEP_3)
	v_dual_cndmask_b32 v70, 0x7f800000, v70 :: v_dual_sub_f32 v89, v89, v95
	v_mul_f32_e32 v71, 0x3fb8aa3b, v72
	s_delay_alu instid0(VALU_DEP_3) | instskip(SKIP_1) | instid1(VALU_DEP_4)
	v_fmac_f32_e32 v94, 0x32a5705f, v73
	v_cmp_ngt_f32_e32 vcc_lo, 0xc2ce8ed0, v72
	v_add_f32_e32 v69, v69, v70
	s_delay_alu instid0(VALU_DEP_4) | instskip(SKIP_1) | instid1(VALU_DEP_1)
	v_fma_f32 v76, 0x3fb8aa3b, v72, -v71
	v_rndne_f32_e32 v83, v71
	v_dual_fmac_f32 v76, 0x32a5705f, v72 :: v_dual_sub_f32 v71, v71, v83
	v_cvt_i32_f32_e32 v83, v83
	v_cvt_f16_f32_e32 v74, v74
	s_delay_alu instid0(VALU_DEP_3) | instskip(NEXT) | instid1(VALU_DEP_1)
	v_dual_add_f32 v71, v71, v76 :: v_dual_mul_f32 v76, 0x3fb8aa3b, v75
	v_exp_f32_e32 v71, v71
	s_waitcnt_depctr 0xfff
	v_ldexp_f32 v71, v71, v83
	v_add_f32_e32 v83, v89, v94
	v_mul_f32_e32 v89, 0x3fb8aa3b, v9
	v_fma_f32 v90, 0x3fb8aa3b, v75, -v76
	v_rndne_f32_e32 v93, v76
	v_cndmask_b32_e32 v71, 0, v71, vcc_lo
	v_cmp_nlt_f32_e32 vcc_lo, 0x42b17218, v72
	v_exp_f32_e32 v83, v83
	v_rndne_f32_e32 v94, v89
	v_sub_f32_e32 v76, v76, v93
	v_cvt_i32_f32_e32 v72, v93
	v_fma_f32 v93, 0x3fb8aa3b, v9, -v89
	v_fmac_f32_e32 v90, 0x32a5705f, v75
	v_cndmask_b32_e32 v71, 0x7f800000, v71, vcc_lo
	v_cmp_ngt_f32_e32 vcc_lo, 0xc2ce8ed0, v75
	s_delay_alu instid0(VALU_DEP_3) | instskip(SKIP_1) | instid1(VALU_DEP_4)
	v_dual_fmac_f32 v93, 0x32a5705f, v9 :: v_dual_add_f32 v76, v76, v90
	v_cvt_i32_f32_e32 v90, v95
	v_add_f32_e32 v69, v71, v69
	v_cvt_f16_f32_e32 v70, v70
	v_cvt_f16_f32_e32 v71, v71
	v_exp_f32_e32 v76, v76
	s_waitcnt_depctr 0xfff
	v_ldexp_f32 v72, v76, v72
	v_ldexp_f32 v76, v83, v90
	s_delay_alu instid0(VALU_DEP_2) | instskip(SKIP_1) | instid1(VALU_DEP_2)
	v_dual_sub_f32 v83, v89, v94 :: v_dual_cndmask_b32 v72, 0, v72
	v_cmp_ngt_f32_e32 vcc_lo, 0xc2ce8ed0, v73
	v_dual_add_f32 v83, v83, v93 :: v_dual_cndmask_b32 v76, 0, v76
	v_cmp_nlt_f32_e32 vcc_lo, 0x42b17218, v75
	s_delay_alu instid0(VALU_DEP_2) | instskip(SKIP_2) | instid1(VALU_DEP_2)
	v_exp_f32_e32 v75, v83
	v_cndmask_b32_e32 v72, 0x7f800000, v72, vcc_lo
	v_cmp_nlt_f32_e32 vcc_lo, 0x42b17218, v73
	v_add_f32_e32 v83, v72, v69
	v_cndmask_b32_e32 v73, 0x7f800000, v76, vcc_lo
	v_mul_f32_e32 v76, 0x3fb8aa3b, v7
	v_cmp_ngt_f32_e32 vcc_lo, 0xc2ce8ed0, v9
	s_delay_alu instid0(VALU_DEP_3) | instskip(SKIP_4) | instid1(VALU_DEP_3)
	v_fmac_f32_e32 v83, v87, v73
	v_cvt_f16_f32_e32 v69, v72
	v_cvt_i32_f32_e32 v72, v94
	v_cvt_f16_f32_e32 v89, v73
	v_fma_f32 v73, 0x3fb8aa3b, v7, -v76
	v_ldexp_f32 v72, v75, v72
	v_rndne_f32_e32 v75, v76
	v_sub_f32_e32 v5, v5, v3
	v_pk_mul_f16 v87, v89, v64 op_sel_hi:[0,1]
	v_sub_f32_e32 v64, v86, v3
	v_cndmask_b32_e32 v72, 0, v72, vcc_lo
	v_cmp_nlt_f32_e32 vcc_lo, 0x42b17218, v9
	v_sub_f32_e32 v4, v4, v3
	s_delay_alu instid0(VALU_DEP_4) | instskip(SKIP_2) | instid1(VALU_DEP_4)
	v_dual_mul_f32 v90, 0x3fb8aa3b, v5 :: v_dual_mul_f32 v95, 0x3fb8aa3b, v64
	v_pk_mul_f16 v61, v89, v61 op_sel_hi:[0,1]
	v_dual_cndmask_b32 v9, 0x7f800000, v72 :: v_dual_sub_f32 v76, v76, v75
	v_mul_f32_e32 v86, 0x3fb8aa3b, v4
	v_fmac_f32_e32 v73, 0x32a5705f, v7
	v_fma_f32 v93, 0x3fb8aa3b, v5, -v90
	v_rndne_f32_e32 v94, v90
	v_cvt_i32_f32_e32 v75, v75
	v_cmp_ngt_f32_e32 vcc_lo, 0xc2ce8ed0, v7
	v_add_f32_e32 v72, v76, v73
	v_fma_f32 v73, 0x3fb8aa3b, v4, -v86
	v_rndne_f32_e32 v76, v86
	v_dual_fmac_f32 v93, 0x32a5705f, v5 :: v_dual_sub_f32 v90, v90, v94
	s_delay_alu instid0(VALU_DEP_4) | instskip(NEXT) | instid1(VALU_DEP_3)
	v_exp_f32_e32 v72, v72
	v_fmac_f32_e32 v73, 0x32a5705f, v4
	s_delay_alu instid0(VALU_DEP_3)
	v_sub_f32_e32 v86, v86, v76
	v_cvt_i32_f32_e32 v76, v76
	v_cvt_i32_f32_e32 v94, v94
	v_cvt_f16_f32_e32 v96, v9
	v_pk_mul_f16 v63, v89, v63 op_sel_hi:[0,1]
	v_add_f32_e32 v73, v86, v73
	s_delay_alu instid0(TRANS32_DEP_1) | instskip(NEXT) | instid1(VALU_DEP_1)
	v_ldexp_f32 v72, v72, v75
	v_cndmask_b32_e32 v72, 0, v72, vcc_lo
	v_cmp_nlt_f32_e32 vcc_lo, 0x42b17218, v7
	v_add_f32_e32 v86, v90, v93
	v_fma_f32 v90, 0x3fb8aa3b, v64, -v95
	v_rndne_f32_e32 v93, v95
	v_cndmask_b32_e32 v7, 0x7f800000, v72, vcc_lo
	s_delay_alu instid0(VALU_DEP_4) | instskip(NEXT) | instid1(VALU_DEP_3)
	v_exp_f32_e32 v75, v86
	v_fmac_f32_e32 v90, 0x32a5705f, v64
	v_exp_f32_e32 v73, v73
	v_cmp_ngt_f32_e32 vcc_lo, 0xc2ce8ed0, v4
	s_waitcnt_depctr 0xfff
	v_ldexp_f32 v72, v75, v94
	v_pk_mul_f16 v94, v89, v58 op_sel_hi:[0,1]
	v_ldexp_f32 v73, v73, v76
	v_cvt_i32_f32_e32 v76, v93
	s_delay_alu instid0(VALU_DEP_2) | instskip(SKIP_3) | instid1(VALU_DEP_4)
	v_cndmask_b32_e32 v73, 0, v73, vcc_lo
	v_cmp_ngt_f32_e32 vcc_lo, 0xc2ce8ed0, v5
	v_cndmask_b32_e32 v72, 0, v72, vcc_lo
	v_cmp_nlt_f32_e32 vcc_lo, 0x42b17218, v4
	v_cndmask_b32_e32 v73, 0x7f800000, v73, vcc_lo
	v_sub_f32_e32 v86, v95, v93
	v_cmp_nlt_f32_e32 vcc_lo, 0x42b17218, v5
	v_pack_b32_f16 v5, v88, v96
	v_pk_mul_f16 v93, v89, v57 op_sel_hi:[0,1]
	s_delay_alu instid0(VALU_DEP_4) | instskip(SKIP_1) | instid1(VALU_DEP_2)
	v_add_f32_e32 v86, v86, v90
	v_add_nc_u32_e32 v90, v41, v42
	v_exp_f32_e32 v75, v86
	v_cndmask_b32_e32 v86, 0x7f800000, v72, vcc_lo
	v_add_f32_e32 v72, v9, v7
	v_cvt_f16_f32_e32 v7, v7
	v_cmp_ngt_f32_e32 vcc_lo, 0xc2ce8ed0, v64
	v_cvt_f16_f32_e32 v9, v73
	s_delay_alu instid0(VALU_DEP_3) | instskip(NEXT) | instid1(TRANS32_DEP_1)
	v_pack_b32_f16 v7, v70, v7
	v_ldexp_f32 v4, v75, v76
	v_cvt_f16_f32_e32 v75, v86
	s_delay_alu instid0(VALU_DEP_4) | instskip(NEXT) | instid1(VALU_DEP_3)
	v_pack_b32_f16 v9, v71, v9
	v_cndmask_b32_e32 v76, 0, v4, vcc_lo
	v_pack_b32_f16 v4, v85, v6
	v_pack_b32_f16 v6, v11, v8
	v_cmp_nlt_f32_e32 vcc_lo, 0x42b17218, v64
	v_add_nc_u32_e32 v64, 0x8000, v42
	v_pack_b32_f16 v8, v113, v10
	v_pack_b32_f16 v11, v69, v75
	;; [unrolled: 1-line block ×3, first 2 shown]
	v_add_f32_e32 v85, v73, v72
	v_cndmask_b32_e32 v88, 0x7f800000, v76, vcc_lo
	ds_store_2addr_b64 v90, v[4:5], v[6:7] offset1:32
	ds_store_2addr_b64 v90, v[8:9], v[10:11] offset0:64 offset1:96
	s_waitcnt vmcnt(3)
	ds_store_b128 v43, v[97:100]
	s_waitcnt vmcnt(2)
	ds_store_b128 v44, v[101:104]
	;; [unrolled: 2-line block ×4, first 2 shown]
	s_waitcnt lgkmcnt(0)
	s_barrier
	buffer_gl0_inv
	ds_load_2addr_b64 v[69:72], v64 offset1:32
	ds_load_b128 v[73:76], v41
	v_add_f32_e32 v85, v86, v85
	v_cvt_f16_f32_e32 v4, v88
	v_pk_mul_f16 v90, v89, v59 op_sel_hi:[0,1]
	v_pk_mul_f16 v86, v89, v62 op_sel_hi:[0,1]
	s_delay_alu instid0(VALU_DEP_4) | instskip(NEXT) | instid1(VALU_DEP_4)
	v_fmac_f32_e32 v85, v84, v88
	v_pk_mul_f16 v59, v4, v55 op_sel_hi:[0,1]
	v_pk_mul_f16 v62, v4, v56 op_sel_hi:[0,1]
	;; [unrolled: 1-line block ×6, first 2 shown]
	ds_load_2addr_b64 v[51:54], v64 offset0:64 offset1:96
	ds_load_b128 v[55:58], v41 offset:16
	v_pk_mul_f16 v49, v4, v49 op_sel_hi:[0,1]
	v_pk_mul_f16 v48, v4, v48 op_sel_hi:[0,1]
	ds_load_b128 v[8:11], v41 offset:32
	ds_load_b128 v[4:7], v41 offset:48
	s_waitcnt lgkmcnt(4)
	v_pk_mul_f16 v99, v69, v74 op_sel_hi:[1,0]
	v_pk_mul_f16 v97, v69, v73 op_sel_hi:[1,0]
	v_pk_mul_f16 v98, v69, v73 op_sel:[0,1]
	v_pk_fma_f16 v69, v69, v74, v59 op_sel:[0,1,0]
	v_pk_fma_f16 v79, v70, v73, v79 op_sel_hi:[1,0,1]
	v_pk_fma_f16 v89, v89, v60, v99 op_sel_hi:[0,1,1]
	v_pk_fma_f16 v91, v70, v73, v91 op_sel:[0,1,0]
	v_pk_fma_f16 v87, v70, v74, v87 op_sel_hi:[1,0,1]
	v_pk_fma_f16 v70, v70, v74, v62 op_sel:[0,1,0]
	v_pk_fma_f16 v99, v71, v74, v61 op_sel_hi:[1,0,1]
	ds_load_2addr_b64 v[59:62], v64 offset0:128 offset1:160
	v_pk_fma_f16 v92, v92, v68, v97 op_sel_hi:[0,1,1]
	v_pk_fma_f16 v97, v117, v65, v98 op_sel_hi:[0,1,1]
	;; [unrolled: 1-line block ×3, first 2 shown]
	v_pk_fma_f16 v98, v71, v73, v118 op_sel:[0,1,0]
	v_pk_fma_f16 v71, v71, v74, v84 op_sel:[0,1,0]
	v_pk_fma_f16 v80, v72, v73, v80 op_sel_hi:[1,0,1]
	v_pk_fma_f16 v84, v72, v73, v119 op_sel:[0,1,0]
	s_waitcnt lgkmcnt(4)
	v_pk_fma_f16 v100, v51, v73, v115 op_sel_hi:[1,0,1]
	v_pk_fma_f16 v101, v51, v73, v120 op_sel:[0,1,0]
	v_pk_fma_f16 v90, v51, v74, v90 op_sel_hi:[1,0,1]
	v_pk_fma_f16 v51, v51, v74, v95 op_sel:[0,1,0]
	;; [unrolled: 2-line block ×6, first 2 shown]
	ds_load_2addr_b64 v[65:68], v64 offset0:192 offset1:224
	v_pk_fma_f16 v93, v53, v74, v93 op_sel_hi:[1,0,1]
	v_pk_fma_f16 v49, v53, v74, v49 op_sel:[0,1,0]
	v_add_nc_u32_e32 v53, 0x8800, v42
	v_pk_fma_f16 v63, v72, v74, v63 op_sel_hi:[1,0,1]
	v_pk_fma_f16 v88, v72, v74, v88 op_sel:[0,1,0]
	v_pk_fma_f16 v94, v54, v74, v94 op_sel_hi:[1,0,1]
	v_pk_fma_f16 v48, v54, v74, v48 op_sel:[0,1,0]
	s_waitcnt lgkmcnt(1)
	v_pk_fma_f16 v54, v59, v75, v92 op_sel_hi:[1,0,1]
	v_pk_fma_f16 v74, v59, v75, v97 op_sel:[0,1,0]
	v_pk_fma_f16 v92, v59, v76, v69 op_sel:[0,1,0]
	;; [unrolled: 1-line block ×4, first 2 shown]
	ds_load_2addr_b64 v[69:72], v53 offset1:32
	v_pk_fma_f16 v89, v59, v76, v89 op_sel_hi:[1,0,1]
	v_pk_fma_f16 v79, v60, v75, v79 op_sel_hi:[1,0,1]
	v_pk_fma_f16 v91, v60, v75, v91 op_sel:[0,1,0]
	v_pk_fma_f16 v87, v60, v76, v87 op_sel_hi:[1,0,1]
	v_pk_fma_f16 v78, v61, v75, v78 op_sel_hi:[1,0,1]
	v_pk_fma_f16 v98, v61, v75, v98 op_sel:[0,1,0]
	;; [unrolled: 3-line block ×3, first 2 shown]
	v_pk_fma_f16 v63, v62, v76, v63 op_sel_hi:[1,0,1]
	v_pk_fma_f16 v88, v62, v76, v88 op_sel:[0,1,0]
	s_waitcnt lgkmcnt(1)
	v_pk_fma_f16 v100, v65, v75, v100 op_sel_hi:[1,0,1]
	v_pk_fma_f16 v101, v65, v75, v101 op_sel:[0,1,0]
	v_pk_fma_f16 v90, v65, v76, v90 op_sel_hi:[1,0,1]
	v_pk_fma_f16 v51, v65, v76, v51 op_sel:[0,1,0]
	;; [unrolled: 2-line block ×7, first 2 shown]
	ds_load_2addr_b64 v[59:62], v53 offset0:64 offset1:96
	v_pk_fma_f16 v75, v68, v76, v94 op_sel_hi:[1,0,1]
	v_pk_fma_f16 v48, v68, v76, v48 op_sel:[0,1,0]
	ds_load_2addr_b64 v[65:68], v53 offset0:128 offset1:160
	s_waitcnt lgkmcnt(2)
	v_pk_fma_f16 v54, v69, v55, v54 op_sel_hi:[1,0,1]
	v_pk_fma_f16 v74, v69, v55, v74 op_sel:[0,1,0]
	v_pk_fma_f16 v76, v69, v56, v89 op_sel_hi:[1,0,1]
	v_pk_fma_f16 v89, v69, v56, v92 op_sel:[0,1,0]
	;; [unrolled: 2-line block ×8, first 2 shown]
	s_waitcnt lgkmcnt(1)
	v_pk_fma_f16 v99, v59, v55, v100 op_sel_hi:[1,0,1]
	v_pk_fma_f16 v100, v59, v55, v101 op_sel:[0,1,0]
	v_pk_fma_f16 v90, v59, v56, v90 op_sel_hi:[1,0,1]
	v_pk_fma_f16 v51, v59, v56, v51 op_sel:[0,1,0]
	;; [unrolled: 2-line block ×8, first 2 shown]
	s_waitcnt lgkmcnt(0)
	v_pk_fma_f16 v56, v65, v57, v54 op_sel_hi:[1,0,1]
	v_add_nc_u32_e32 v54, 0x9000, v42
	ds_load_2addr_b64 v[69:72], v53 offset0:192 offset1:224
	v_pk_fma_f16 v74, v65, v57, v74 op_sel:[0,1,0]
	v_pk_fma_f16 v75, v65, v58, v76 op_sel_hi:[1,0,1]
	v_pk_fma_f16 v76, v65, v58, v89 op_sel:[0,1,0]
	ds_load_2addr_b64 v[59:62], v54 offset1:32
	v_pk_fma_f16 v79, v66, v57, v79 op_sel_hi:[1,0,1]
	v_pk_fma_f16 v89, v66, v57, v91 op_sel:[0,1,0]
	v_pk_fma_f16 v87, v66, v58, v87 op_sel_hi:[1,0,1]
	v_pk_fma_f16 v91, v66, v58, v92 op_sel:[0,1,0]
	;; [unrolled: 2-line block ×6, first 2 shown]
	ds_load_2addr_b64 v[65:68], v54 offset0:64 offset1:96
	s_waitcnt lgkmcnt(2)
	v_pk_fma_f16 v98, v69, v57, v99 op_sel_hi:[1,0,1]
	v_pk_fma_f16 v99, v69, v57, v100 op_sel:[0,1,0]
	v_pk_fma_f16 v90, v69, v58, v90 op_sel_hi:[1,0,1]
	v_pk_fma_f16 v51, v69, v58, v51 op_sel:[0,1,0]
	;; [unrolled: 2-line block ×8, first 2 shown]
	s_waitcnt lgkmcnt(1)
	v_pk_fma_f16 v72, v59, v8, v56 op_sel_hi:[1,0,1]
	ds_load_2addr_b64 v[55:58], v54 offset0:128 offset1:160
	v_pk_fma_f16 v74, v59, v8, v74 op_sel:[0,1,0]
	v_pk_fma_f16 v75, v59, v9, v75 op_sel_hi:[1,0,1]
	v_pk_fma_f16 v76, v59, v9, v76 op_sel:[0,1,0]
	v_pk_fma_f16 v79, v60, v8, v79 op_sel_hi:[1,0,1]
	;; [unrolled: 2-line block ×7, first 2 shown]
	v_pk_fma_f16 v88, v62, v9, v88 op_sel:[0,1,0]
	ds_load_2addr_b64 v[59:62], v54 offset0:192 offset1:224
	s_waitcnt lgkmcnt(2)
	v_pk_fma_f16 v98, v65, v8, v98 op_sel_hi:[1,0,1]
	v_pk_fma_f16 v99, v65, v8, v99 op_sel:[0,1,0]
	v_pk_fma_f16 v90, v65, v9, v90 op_sel_hi:[1,0,1]
	v_pk_fma_f16 v51, v65, v9, v51 op_sel:[0,1,0]
	;; [unrolled: 2-line block ×5, first 2 shown]
	v_add_co_u32 v8, vcc_lo, s8, v27
	v_pk_fma_f16 v179, v66, v9, v86 op_sel_hi:[1,0,1]
	v_pk_fma_f16 v180, v66, v9, v52 op_sel:[0,1,0]
	v_pk_fma_f16 v183, v67, v9, v93 op_sel_hi:[1,0,1]
	v_pk_fma_f16 v184, v67, v9, v49 op_sel:[0,1,0]
	;; [unrolled: 2-line block ×3, first 2 shown]
	v_add_co_ci_u32_e32 v9, vcc_lo, s20, v28, vcc_lo
	v_add_co_u32 v162, vcc_lo, s8, v29
	v_add_co_ci_u32_e32 v163, vcc_lo, s20, v30, vcc_lo
	v_add_co_u32 v8, vcc_lo, v8, v39
	s_delay_alu instid0(VALU_DEP_4)
	v_add_co_ci_u32_e32 v9, vcc_lo, 0, v9, vcc_lo
	s_waitcnt lgkmcnt(1)
	v_pk_fma_f16 v189, v55, v10, v72 op_sel_hi:[1,0,1]
	v_pk_fma_f16 v190, v55, v10, v74 op_sel:[0,1,0]
	v_pk_fma_f16 v191, v55, v11, v75 op_sel_hi:[1,0,1]
	v_pk_fma_f16 v192, v55, v11, v76 op_sel:[0,1,0]
	v_add_nc_u32_e32 v55, 0x9800, v42
	v_add_nc_u32_e32 v52, 0xa000, v42
	;; [unrolled: 1-line block ×4, first 2 shown]
	v_add_co_u32 v174, vcc_lo, v162, v39
	s_waitcnt lgkmcnt(0)
	v_pk_fma_f16 v206, v59, v11, v51 op_sel:[0,1,0]
	v_add_nc_u32_e32 v51, 0xa800, v42
	v_add_co_ci_u32_e32 v175, vcc_lo, 0, v163, vcc_lo
	v_pk_fma_f16 v193, v56, v10, v79 op_sel_hi:[1,0,1]
	v_pk_fma_f16 v194, v56, v10, v89 op_sel:[0,1,0]
	v_pk_fma_f16 v195, v56, v11, v87 op_sel_hi:[1,0,1]
	v_pk_fma_f16 v196, v56, v11, v91 op_sel:[0,1,0]
	;; [unrolled: 2-line block ×7, first 2 shown]
	v_pk_fma_f16 v205, v59, v11, v90 op_sel_hi:[1,0,1]
	v_pk_fma_f16 v207, v60, v10, v65 op_sel_hi:[1,0,1]
	ds_load_2addr_b64 v[56:59], v55 offset1:32
	ds_load_2addr_b64 v[65:68], v55 offset0:64 offset1:96
	ds_load_2addr_b64 v[69:72], v55 offset0:128 offset1:160
	;; [unrolled: 1-line block ×3, first 2 shown]
	ds_load_2addr_b64 v[77:80], v52 offset1:32
	ds_load_2addr_b64 v[86:89], v52 offset0:64 offset1:96
	ds_load_2addr_b64 v[90:93], v52 offset0:128 offset1:160
	;; [unrolled: 1-line block ×3, first 2 shown]
	ds_load_2addr_b64 v[98:101], v51 offset1:32
	ds_load_2addr_b64 v[102:105], v51 offset0:64 offset1:96
	ds_load_b128 v[106:109], v41 offset:64
	ds_load_b128 v[110:113], v41 offset:80
	ds_load_2addr_b64 v[114:117], v51 offset0:128 offset1:160
	ds_load_2addr_b64 v[118:121], v51 offset0:192 offset1:224
	ds_load_2addr_b64 v[122:125], v49 offset1:32
	ds_load_2addr_b64 v[126:129], v49 offset0:64 offset1:96
	ds_load_2addr_b64 v[130:133], v49 offset0:128 offset1:160
	;; [unrolled: 1-line block ×3, first 2 shown]
	ds_load_2addr_b64 v[138:141], v48 offset1:32
	ds_load_2addr_b64 v[142:145], v48 offset0:64 offset1:96
	ds_load_b128 v[146:149], v41 offset:96
	ds_load_b128 v[150:153], v41 offset:112
	ds_load_2addr_b64 v[154:157], v48 offset0:128 offset1:160
	ds_load_2addr_b64 v[158:161], v48 offset0:192 offset1:224
	s_waitcnt lgkmcnt(0)
	s_barrier
	buffer_gl0_inv
	s_clause 0x3
	global_load_b128 v[162:165], v[8:9], off
	global_load_b128 v[166:169], v[8:9], off offset:512
	global_load_b128 v[170:173], v[174:175], off
	global_load_b128 v[174:177], v[174:175], off offset:512
	v_pk_fma_f16 v8, v60, v10, v178 op_sel:[0,1,0]
	v_pk_fma_f16 v9, v60, v11, v179 op_sel_hi:[1,0,1]
	v_pk_fma_f16 v60, v60, v11, v180 op_sel:[0,1,0]
	v_pk_fma_f16 v178, v61, v10, v181 op_sel_hi:[1,0,1]
	;; [unrolled: 2-line block ×24, first 2 shown]
	v_pk_fma_f16 v57, v70, v7, v57 op_sel:[0,1,0]
	v_pk_fma_f16 v58, v71, v7, v58 op_sel:[0,1,0]
	v_pk_fma_f16 v63, v72, v7, v63 op_sel_hi:[1,0,1]
	v_pk_fma_f16 v59, v72, v7, v59 op_sel:[0,1,0]
	v_pk_fma_f16 v180, v70, v6, v186 op_sel:[0,1,0]
	v_pk_fma_f16 v181, v70, v7, v187 op_sel_hi:[1,0,1]
	v_pk_fma_f16 v70, v71, v6, v188 op_sel_hi:[1,0,1]
	v_pk_fma_f16 v182, v71, v6, v189 op_sel:[0,1,0]
	v_pk_fma_f16 v183, v71, v7, v190 op_sel_hi:[1,0,1]
	v_pk_fma_f16 v71, v72, v6, v191 op_sel_hi:[1,0,1]
	v_pk_fma_f16 v84, v72, v6, v84 op_sel:[0,1,0]
	v_pk_fma_f16 v72, v73, v6, v192 op_sel_hi:[1,0,1]
	v_pk_fma_f16 v184, v73, v6, v193 op_sel:[0,1,0]
	;; [unrolled: 2-line block ×6, first 2 shown]
	v_pk_fma_f16 v61, v75, v7, v61 op_sel:[0,1,0]
	v_pk_fma_f16 v67, v76, v6, v67 op_sel_hi:[1,0,1]
	v_pk_fma_f16 v4, v76, v6, v4 op_sel:[0,1,0]
	v_pk_fma_f16 v6, v76, v7, v10 op_sel_hi:[1,0,1]
	v_pk_fma_f16 v10, v77, v106, v62 op_sel:[0,1,0]
	v_pk_fma_f16 v56, v77, v107, v56 op_sel:[0,1,0]
	v_pk_fma_f16 v62, v78, v106, v69 op_sel_hi:[1,0,1]
	v_pk_fma_f16 v57, v78, v107, v57 op_sel:[0,1,0]
	;; [unrolled: 3-line block ×3, first 2 shown]
	v_pk_fma_f16 v60, v87, v107, v60 op_sel:[0,1,0]
	v_pk_fma_f16 v61, v88, v107, v61 op_sel:[0,1,0]
	;; [unrolled: 1-line block ×3, first 2 shown]
	v_pk_fma_f16 v62, v91, v108, v62 op_sel_hi:[1,0,1]
	v_pk_fma_f16 v57, v91, v109, v57 op_sel:[0,1,0]
	v_pk_fma_f16 v58, v92, v109, v58 op_sel:[0,1,0]
	v_pk_fma_f16 v63, v93, v109, v63 op_sel_hi:[1,0,1]
	v_pk_fma_f16 v59, v93, v109, v59 op_sel:[0,1,0]
	v_pk_fma_f16 v60, v95, v109, v60 op_sel:[0,1,0]
	;; [unrolled: 1-line block ×4, first 2 shown]
	v_pk_fma_f16 v62, v99, v110, v62 op_sel_hi:[1,0,1]
	v_pk_fma_f16 v57, v99, v111, v57 op_sel:[0,1,0]
	v_pk_fma_f16 v58, v100, v111, v58 op_sel:[0,1,0]
	v_pk_fma_f16 v63, v101, v111, v63 op_sel_hi:[1,0,1]
	v_pk_fma_f16 v59, v101, v111, v59 op_sel:[0,1,0]
	v_pk_fma_f16 v5, v76, v7, v5 op_sel:[0,1,0]
	v_pk_fma_f16 v178, v75, v7, v179 op_sel_hi:[1,0,1]
	v_pk_fma_f16 v7, v77, v106, v11 op_sel_hi:[1,0,1]
	;; [unrolled: 1-line block ×3, first 2 shown]
	v_pk_fma_f16 v68, v78, v106, v180 op_sel:[0,1,0]
	v_pk_fma_f16 v69, v78, v107, v181 op_sel_hi:[1,0,1]
	v_pk_fma_f16 v70, v79, v106, v70 op_sel_hi:[1,0,1]
	v_pk_fma_f16 v75, v79, v106, v182 op_sel:[0,1,0]
	v_pk_fma_f16 v76, v79, v107, v183 op_sel_hi:[1,0,1]
	v_pk_fma_f16 v71, v80, v106, v71 op_sel_hi:[1,0,1]
	v_pk_fma_f16 v77, v80, v106, v84 op_sel:[0,1,0]
	v_pk_fma_f16 v60, v103, v111, v60 op_sel:[0,1,0]
	v_pk_fma_f16 v61, v104, v111, v61 op_sel:[0,1,0]
	v_pk_fma_f16 v56, v114, v113, v56 op_sel:[0,1,0]
	v_pk_fma_f16 v62, v115, v112, v62 op_sel_hi:[1,0,1]
	v_pk_fma_f16 v57, v115, v113, v57 op_sel:[0,1,0]
	v_pk_fma_f16 v58, v116, v113, v58 op_sel:[0,1,0]
	v_pk_fma_f16 v63, v117, v113, v63 op_sel_hi:[1,0,1]
	v_pk_fma_f16 v59, v117, v113, v59 op_sel:[0,1,0]
	v_pk_fma_f16 v72, v86, v106, v72 op_sel_hi:[1,0,1]
	v_pk_fma_f16 v65, v86, v107, v65 op_sel:[0,1,0]
	v_pk_fma_f16 v8, v87, v106, v8 op_sel:[0,1,0]
	v_pk_fma_f16 v9, v87, v107, v9 op_sel_hi:[1,0,1]
	v_pk_fma_f16 v66, v88, v106, v66 op_sel_hi:[1,0,1]
	;; [unrolled: 1-line block ×3, first 2 shown]
	v_pk_fma_f16 v4, v89, v106, v4 op_sel:[0,1,0]
	v_pk_fma_f16 v6, v89, v107, v6 op_sel_hi:[1,0,1]
	v_pk_fma_f16 v5, v89, v107, v5 op_sel:[0,1,0]
	v_pk_fma_f16 v73, v87, v106, v73 op_sel_hi:[1,0,1]
	;; [unrolled: 2-line block ×5, first 2 shown]
	v_pk_fma_f16 v70, v92, v108, v70 op_sel_hi:[1,0,1]
	v_pk_fma_f16 v75, v92, v108, v75 op_sel:[0,1,0]
	v_pk_fma_f16 v76, v92, v109, v76 op_sel_hi:[1,0,1]
	v_pk_fma_f16 v71, v93, v108, v71 op_sel_hi:[1,0,1]
	v_pk_fma_f16 v77, v93, v108, v77 op_sel:[0,1,0]
	v_pk_fma_f16 v60, v119, v113, v60 op_sel:[0,1,0]
	;; [unrolled: 1-line block ×4, first 2 shown]
	v_pk_fma_f16 v62, v123, v146, v62 op_sel_hi:[1,0,1]
	v_pk_fma_f16 v57, v123, v147, v57 op_sel:[0,1,0]
	v_pk_fma_f16 v58, v124, v147, v58 op_sel:[0,1,0]
	v_pk_fma_f16 v63, v125, v147, v63 op_sel_hi:[1,0,1]
	v_pk_fma_f16 v59, v125, v147, v59 op_sel:[0,1,0]
	v_pk_fma_f16 v72, v94, v108, v72 op_sel_hi:[1,0,1]
	v_pk_fma_f16 v65, v94, v109, v65 op_sel:[0,1,0]
	v_pk_fma_f16 v8, v95, v108, v8 op_sel:[0,1,0]
	v_pk_fma_f16 v9, v95, v109, v9 op_sel_hi:[1,0,1]
	v_pk_fma_f16 v66, v96, v108, v66 op_sel_hi:[1,0,1]
	;; [unrolled: 1-line block ×3, first 2 shown]
	v_pk_fma_f16 v4, v97, v108, v4 op_sel:[0,1,0]
	v_pk_fma_f16 v6, v97, v109, v6 op_sel_hi:[1,0,1]
	v_pk_fma_f16 v5, v97, v109, v5 op_sel:[0,1,0]
	v_pk_fma_f16 v73, v95, v108, v73 op_sel_hi:[1,0,1]
	;; [unrolled: 2-line block ×5, first 2 shown]
	v_pk_fma_f16 v70, v100, v110, v70 op_sel_hi:[1,0,1]
	v_pk_fma_f16 v75, v100, v110, v75 op_sel:[0,1,0]
	v_pk_fma_f16 v76, v100, v111, v76 op_sel_hi:[1,0,1]
	v_pk_fma_f16 v71, v101, v110, v71 op_sel_hi:[1,0,1]
	v_pk_fma_f16 v77, v101, v110, v77 op_sel:[0,1,0]
	v_pk_fma_f16 v60, v127, v147, v60 op_sel:[0,1,0]
	;; [unrolled: 1-line block ×4, first 2 shown]
	v_pk_fma_f16 v62, v131, v148, v62 op_sel_hi:[1,0,1]
	v_pk_fma_f16 v57, v131, v149, v57 op_sel:[0,1,0]
	v_pk_fma_f16 v58, v132, v149, v58 op_sel:[0,1,0]
	v_pk_fma_f16 v63, v133, v149, v63 op_sel_hi:[1,0,1]
	v_pk_fma_f16 v59, v133, v149, v59 op_sel:[0,1,0]
	v_pk_fma_f16 v72, v102, v110, v72 op_sel_hi:[1,0,1]
	v_pk_fma_f16 v65, v102, v111, v65 op_sel:[0,1,0]
	v_pk_fma_f16 v8, v103, v110, v8 op_sel:[0,1,0]
	v_pk_fma_f16 v9, v103, v111, v9 op_sel_hi:[1,0,1]
	v_pk_fma_f16 v66, v104, v110, v66 op_sel_hi:[1,0,1]
	;; [unrolled: 1-line block ×3, first 2 shown]
	v_pk_fma_f16 v4, v105, v110, v4 op_sel:[0,1,0]
	v_pk_fma_f16 v6, v105, v111, v6 op_sel_hi:[1,0,1]
	v_pk_fma_f16 v5, v105, v111, v5 op_sel:[0,1,0]
	v_pk_fma_f16 v78, v86, v106, v184 op_sel:[0,1,0]
	v_pk_fma_f16 v79, v86, v107, v185 op_sel_hi:[1,0,1]
	v_pk_fma_f16 v80, v88, v107, v178 op_sel_hi:[1,0,1]
	;; [unrolled: 1-line block ×3, first 2 shown]
	v_pk_fma_f16 v74, v104, v110, v74 op_sel:[0,1,0]
	v_pk_fma_f16 v7, v114, v112, v7 op_sel_hi:[1,0,1]
	v_pk_fma_f16 v10, v114, v112, v10 op_sel:[0,1,0]
	v_pk_fma_f16 v11, v114, v113, v11 op_sel_hi:[1,0,1]
	;; [unrolled: 2-line block ×3, first 2 shown]
	v_pk_fma_f16 v70, v116, v112, v70 op_sel_hi:[1,0,1]
	v_pk_fma_f16 v75, v116, v112, v75 op_sel:[0,1,0]
	v_pk_fma_f16 v76, v116, v113, v76 op_sel_hi:[1,0,1]
	v_pk_fma_f16 v71, v117, v112, v71 op_sel_hi:[1,0,1]
	v_pk_fma_f16 v77, v117, v112, v77 op_sel:[0,1,0]
	v_pk_fma_f16 v60, v135, v149, v60 op_sel:[0,1,0]
	;; [unrolled: 1-line block ×4, first 2 shown]
	v_pk_fma_f16 v62, v139, v150, v62 op_sel_hi:[1,0,1]
	v_pk_fma_f16 v57, v139, v151, v57 op_sel:[0,1,0]
	v_pk_fma_f16 v58, v140, v151, v58 op_sel:[0,1,0]
	v_pk_fma_f16 v63, v141, v151, v63 op_sel_hi:[1,0,1]
	v_pk_fma_f16 v59, v141, v151, v59 op_sel:[0,1,0]
	v_pk_fma_f16 v72, v118, v112, v72 op_sel_hi:[1,0,1]
	v_pk_fma_f16 v65, v118, v113, v65 op_sel:[0,1,0]
	v_pk_fma_f16 v8, v119, v112, v8 op_sel:[0,1,0]
	v_pk_fma_f16 v9, v119, v113, v9 op_sel_hi:[1,0,1]
	v_pk_fma_f16 v66, v120, v112, v66 op_sel_hi:[1,0,1]
	;; [unrolled: 1-line block ×3, first 2 shown]
	v_pk_fma_f16 v4, v121, v112, v4 op_sel:[0,1,0]
	v_pk_fma_f16 v6, v121, v113, v6 op_sel_hi:[1,0,1]
	v_pk_fma_f16 v5, v121, v113, v5 op_sel:[0,1,0]
	v_pk_fma_f16 v78, v94, v108, v78 op_sel:[0,1,0]
	v_pk_fma_f16 v79, v94, v109, v79 op_sel_hi:[1,0,1]
	v_pk_fma_f16 v80, v96, v109, v80 op_sel_hi:[1,0,1]
	;; [unrolled: 1-line block ×3, first 2 shown]
	v_pk_fma_f16 v74, v120, v112, v74 op_sel:[0,1,0]
	v_pk_fma_f16 v7, v122, v146, v7 op_sel_hi:[1,0,1]
	v_pk_fma_f16 v10, v122, v146, v10 op_sel:[0,1,0]
	v_pk_fma_f16 v11, v122, v147, v11 op_sel_hi:[1,0,1]
	v_pk_fma_f16 v68, v123, v146, v68 op_sel:[0,1,0]
	v_pk_fma_f16 v69, v123, v147, v69 op_sel_hi:[1,0,1]
	v_pk_fma_f16 v70, v124, v146, v70 op_sel_hi:[1,0,1]
	v_pk_fma_f16 v75, v124, v146, v75 op_sel:[0,1,0]
	v_pk_fma_f16 v76, v124, v147, v76 op_sel_hi:[1,0,1]
	v_pk_fma_f16 v71, v125, v146, v71 op_sel_hi:[1,0,1]
	v_pk_fma_f16 v77, v125, v146, v77 op_sel:[0,1,0]
	v_pk_fma_f16 v84, v143, v151, v60 op_sel:[0,1,0]
	;; [unrolled: 1-line block ×4, first 2 shown]
	v_pk_fma_f16 v91, v155, v152, v62 op_sel_hi:[1,0,1]
	v_pk_fma_f16 v94, v155, v153, v57 op_sel:[0,1,0]
	v_pk_fma_f16 v96, v156, v153, v58 op_sel:[0,1,0]
	v_pk_fma_f16 v98, v157, v153, v63 op_sel_hi:[1,0,1]
	v_pk_fma_f16 v99, v157, v153, v59 op_sel:[0,1,0]
	s_waitcnt vmcnt(3)
	ds_store_b128 v43, v[162:165]
	s_waitcnt vmcnt(2)
	ds_store_b128 v44, v[166:169]
	;; [unrolled: 2-line block ×4, first 2 shown]
	s_waitcnt lgkmcnt(0)
	s_barrier
	buffer_gl0_inv
	ds_load_2addr_b64 v[56:59], v64 offset1:32
	ds_load_b128 v[60:63], v41 offset:128
	v_pk_fma_f16 v72, v126, v146, v72 op_sel_hi:[1,0,1]
	v_pk_fma_f16 v65, v126, v147, v65 op_sel:[0,1,0]
	v_pk_fma_f16 v8, v127, v146, v8 op_sel:[0,1,0]
	v_pk_fma_f16 v9, v127, v147, v9 op_sel_hi:[1,0,1]
	v_pk_fma_f16 v66, v128, v146, v66 op_sel_hi:[1,0,1]
	v_pk_fma_f16 v67, v129, v146, v67 op_sel_hi:[1,0,1]
	v_pk_fma_f16 v4, v129, v146, v4 op_sel:[0,1,0]
	v_pk_fma_f16 v6, v129, v147, v6 op_sel_hi:[1,0,1]
	v_pk_fma_f16 v5, v129, v147, v5 op_sel:[0,1,0]
	v_pk_fma_f16 v78, v102, v110, v78 op_sel:[0,1,0]
	v_pk_fma_f16 v79, v102, v111, v79 op_sel_hi:[1,0,1]
	v_pk_fma_f16 v80, v104, v111, v80 op_sel_hi:[1,0,1]
	v_pk_fma_f16 v73, v127, v146, v73 op_sel_hi:[1,0,1]
	v_pk_fma_f16 v74, v128, v146, v74 op_sel:[0,1,0]
	v_pk_fma_f16 v7, v130, v148, v7 op_sel_hi:[1,0,1]
	v_pk_fma_f16 v10, v130, v148, v10 op_sel:[0,1,0]
	v_pk_fma_f16 v11, v130, v149, v11 op_sel_hi:[1,0,1]
	v_pk_fma_f16 v68, v131, v148, v68 op_sel:[0,1,0]
	v_pk_fma_f16 v69, v131, v149, v69 op_sel_hi:[1,0,1]
	v_pk_fma_f16 v70, v132, v148, v70 op_sel_hi:[1,0,1]
	v_pk_fma_f16 v75, v132, v148, v75 op_sel:[0,1,0]
	v_pk_fma_f16 v76, v132, v149, v76 op_sel_hi:[1,0,1]
	v_pk_fma_f16 v71, v133, v148, v71 op_sel_hi:[1,0,1]
	v_pk_fma_f16 v77, v133, v148, v77 op_sel:[0,1,0]
	v_pk_fma_f16 v72, v134, v148, v72 op_sel_hi:[1,0,1]
	v_pk_fma_f16 v65, v134, v149, v65 op_sel:[0,1,0]
	v_pk_fma_f16 v8, v135, v148, v8 op_sel:[0,1,0]
	v_pk_fma_f16 v9, v135, v149, v9 op_sel_hi:[1,0,1]
	v_pk_fma_f16 v66, v136, v148, v66 op_sel_hi:[1,0,1]
	v_pk_fma_f16 v67, v137, v148, v67 op_sel_hi:[1,0,1]
	v_pk_fma_f16 v4, v137, v148, v4 op_sel:[0,1,0]
	v_pk_fma_f16 v6, v137, v149, v6 op_sel_hi:[1,0,1]
	v_pk_fma_f16 v5, v137, v149, v5 op_sel:[0,1,0]
	v_pk_fma_f16 v78, v118, v112, v78 op_sel:[0,1,0]
	v_pk_fma_f16 v79, v118, v113, v79 op_sel_hi:[1,0,1]
	v_pk_fma_f16 v80, v120, v113, v80 op_sel_hi:[1,0,1]
	v_pk_fma_f16 v73, v135, v148, v73 op_sel_hi:[1,0,1]
	v_pk_fma_f16 v74, v136, v148, v74 op_sel:[0,1,0]
	v_pk_fma_f16 v7, v138, v150, v7 op_sel_hi:[1,0,1]
	v_pk_fma_f16 v10, v138, v150, v10 op_sel:[0,1,0]
	v_pk_fma_f16 v11, v138, v151, v11 op_sel_hi:[1,0,1]
	v_pk_fma_f16 v68, v139, v150, v68 op_sel:[0,1,0]
	v_pk_fma_f16 v69, v139, v151, v69 op_sel_hi:[1,0,1]
	v_pk_fma_f16 v70, v140, v150, v70 op_sel_hi:[1,0,1]
	v_pk_fma_f16 v75, v140, v150, v75 op_sel:[0,1,0]
	v_pk_fma_f16 v76, v140, v151, v76 op_sel_hi:[1,0,1]
	v_pk_fma_f16 v71, v141, v150, v71 op_sel_hi:[1,0,1]
	v_pk_fma_f16 v77, v141, v150, v77 op_sel:[0,1,0]
	;; [unrolled: 24-line block ×3, first 2 shown]
	v_pk_fma_f16 v100, v158, v152, v72 op_sel_hi:[1,0,1]
	v_pk_fma_f16 v101, v158, v153, v65 op_sel:[0,1,0]
	v_pk_fma_f16 v103, v159, v152, v8 op_sel:[0,1,0]
	v_pk_fma_f16 v104, v159, v153, v9 op_sel_hi:[1,0,1]
	v_pk_fma_f16 v105, v160, v152, v66 op_sel_hi:[1,0,1]
	;; [unrolled: 1-line block ×3, first 2 shown]
	v_pk_fma_f16 v108, v161, v152, v4 op_sel:[0,1,0]
	v_pk_fma_f16 v109, v161, v153, v6 op_sel_hi:[1,0,1]
	v_pk_fma_f16 v110, v161, v153, v5 op_sel:[0,1,0]
	ds_load_2addr_b64 v[65:68], v64 offset0:64 offset1:96
	ds_load_b128 v[69:72], v41 offset:144
	ds_load_b128 v[8:11], v41 offset:160
	;; [unrolled: 1-line block ×3, first 2 shown]
	v_pk_fma_f16 v78, v134, v148, v78 op_sel:[0,1,0]
	v_pk_fma_f16 v79, v134, v149, v79 op_sel_hi:[1,0,1]
	v_pk_fma_f16 v80, v136, v149, v80 op_sel_hi:[1,0,1]
	;; [unrolled: 1-line block ×3, first 2 shown]
	v_pk_fma_f16 v106, v160, v152, v74 op_sel:[0,1,0]
	s_waitcnt lgkmcnt(4)
	v_pk_fma_f16 v87, v56, v60, v87 op_sel_hi:[1,0,1]
	v_pk_fma_f16 v88, v56, v60, v88 op_sel:[0,1,0]
	v_pk_fma_f16 v89, v56, v61, v89 op_sel_hi:[1,0,1]
	v_pk_fma_f16 v90, v56, v61, v90 op_sel:[0,1,0]
	;; [unrolled: 2-line block ×7, first 2 shown]
	ds_load_2addr_b64 v[73:76], v64 offset0:128 offset1:160
	v_pk_fma_f16 v98, v59, v61, v98 op_sel_hi:[1,0,1]
	v_pk_fma_f16 v99, v59, v61, v99 op_sel:[0,1,0]
	ds_load_2addr_b64 v[56:59], v64 offset0:192 offset1:224
	v_pk_fma_f16 v78, v142, v150, v78 op_sel:[0,1,0]
	v_pk_fma_f16 v79, v142, v151, v79 op_sel_hi:[1,0,1]
	v_pk_fma_f16 v80, v144, v151, v80 op_sel_hi:[1,0,1]
	v_pk_fma_f16 v84, v159, v153, v84 op_sel:[0,1,0]
	v_pk_fma_f16 v86, v160, v153, v86 op_sel:[0,1,0]
	v_pk_fma_f16 v78, v158, v152, v78 op_sel:[0,1,0]
	v_pk_fma_f16 v79, v158, v153, v79 op_sel_hi:[1,0,1]
	v_pk_fma_f16 v80, v160, v153, v80 op_sel_hi:[1,0,1]
	s_waitcnt lgkmcnt(5)
	v_pk_fma_f16 v100, v65, v60, v100 op_sel_hi:[1,0,1]
	v_pk_fma_f16 v101, v65, v61, v101 op_sel:[0,1,0]
	v_pk_fma_f16 v78, v65, v60, v78 op_sel:[0,1,0]
	v_pk_fma_f16 v79, v65, v61, v79 op_sel_hi:[1,0,1]
	v_pk_fma_f16 v102, v66, v60, v102 op_sel_hi:[1,0,1]
	v_pk_fma_f16 v103, v66, v60, v103 op_sel:[0,1,0]
	v_pk_fma_f16 v104, v66, v61, v104 op_sel_hi:[1,0,1]
	v_pk_fma_f16 v84, v66, v61, v84 op_sel:[0,1,0]
	;; [unrolled: 2-line block ×6, first 2 shown]
	ds_load_2addr_b64 v[65:68], v53 offset1:32
	s_waitcnt lgkmcnt(2)
	v_pk_fma_f16 v87, v73, v62, v87 op_sel_hi:[1,0,1]
	v_pk_fma_f16 v88, v73, v62, v88 op_sel:[0,1,0]
	v_pk_fma_f16 v89, v73, v63, v89 op_sel_hi:[1,0,1]
	v_pk_fma_f16 v90, v73, v63, v90 op_sel:[0,1,0]
	;; [unrolled: 2-line block ×8, first 2 shown]
	s_waitcnt lgkmcnt(1)
	v_pk_fma_f16 v100, v56, v62, v100 op_sel_hi:[1,0,1]
	v_pk_fma_f16 v78, v56, v62, v78 op_sel:[0,1,0]
	v_pk_fma_f16 v79, v56, v63, v79 op_sel_hi:[1,0,1]
	v_pk_fma_f16 v101, v56, v63, v101 op_sel:[0,1,0]
	;; [unrolled: 2-line block ×7, first 2 shown]
	ds_load_2addr_b64 v[73:76], v53 offset0:64 offset1:96
	v_pk_fma_f16 v108, v59, v63, v108 op_sel_hi:[1,0,1]
	v_pk_fma_f16 v111, v59, v63, v61 op_sel:[0,1,0]
	ds_load_2addr_b64 v[56:59], v53 offset0:128 offset1:160
	s_waitcnt lgkmcnt(2)
	v_pk_fma_f16 v87, v65, v69, v87 op_sel_hi:[1,0,1]
	v_pk_fma_f16 v88, v65, v69, v88 op_sel:[0,1,0]
	v_pk_fma_f16 v89, v65, v70, v89 op_sel_hi:[1,0,1]
	v_pk_fma_f16 v65, v65, v70, v90 op_sel:[0,1,0]
	;; [unrolled: 2-line block ×8, first 2 shown]
	s_waitcnt lgkmcnt(1)
	v_pk_fma_f16 v99, v73, v69, v100 op_sel_hi:[1,0,1]
	v_pk_fma_f16 v78, v73, v69, v78 op_sel:[0,1,0]
	v_pk_fma_f16 v79, v73, v70, v79 op_sel_hi:[1,0,1]
	v_pk_fma_f16 v73, v73, v70, v101 op_sel:[0,1,0]
	;; [unrolled: 2-line block ×7, first 2 shown]
	ds_load_2addr_b64 v[60:63], v53 offset0:192 offset1:224
	v_pk_fma_f16 v104, v76, v70, v108 op_sel_hi:[1,0,1]
	v_pk_fma_f16 v70, v76, v70, v111 op_sel:[0,1,0]
	s_waitcnt lgkmcnt(1)
	v_pk_fma_f16 v76, v56, v71, v87 op_sel_hi:[1,0,1]
	v_pk_fma_f16 v87, v56, v71, v88 op_sel:[0,1,0]
	v_pk_fma_f16 v88, v56, v72, v89 op_sel_hi:[1,0,1]
	v_pk_fma_f16 v89, v56, v72, v65 op_sel:[0,1,0]
	v_pk_fma_f16 v105, v57, v72, v66 op_sel:[0,1,0]
	;; [unrolled: 1-line block ×3, first 2 shown]
	ds_load_2addr_b64 v[65:68], v54 offset1:32
	v_pk_fma_f16 v90, v57, v71, v90 op_sel_hi:[1,0,1]
	v_pk_fma_f16 v91, v57, v71, v91 op_sel:[0,1,0]
	v_pk_fma_f16 v92, v57, v72, v92 op_sel_hi:[1,0,1]
	v_pk_fma_f16 v93, v58, v71, v93 op_sel_hi:[1,0,1]
	v_pk_fma_f16 v94, v58, v71, v94 op_sel:[0,1,0]
	v_pk_fma_f16 v95, v58, v72, v95 op_sel_hi:[1,0,1]
	;; [unrolled: 3-line block ×3, first 2 shown]
	v_pk_fma_f16 v98, v59, v72, v98 op_sel:[0,1,0]
	ds_load_2addr_b64 v[56:59], v54 offset0:64 offset1:96
	s_or_b32 s8, s3, 32
	s_waitcnt lgkmcnt(2)
	v_pk_fma_f16 v99, v60, v71, v99 op_sel_hi:[1,0,1]
	v_pk_fma_f16 v78, v60, v71, v78 op_sel:[0,1,0]
	v_pk_fma_f16 v79, v60, v72, v79 op_sel_hi:[1,0,1]
	v_pk_fma_f16 v73, v60, v72, v73 op_sel:[0,1,0]
	;; [unrolled: 2-line block ×8, first 2 shown]
	s_waitcnt lgkmcnt(1)
	v_pk_fma_f16 v72, v65, v8, v76 op_sel_hi:[1,0,1]
	v_pk_fma_f16 v76, v65, v8, v87 op_sel:[0,1,0]
	v_pk_fma_f16 v87, v65, v9, v88 op_sel_hi:[1,0,1]
	v_pk_fma_f16 v88, v65, v9, v89 op_sel:[0,1,0]
	;; [unrolled: 2-line block ×7, first 2 shown]
	ds_load_2addr_b64 v[60:63], v54 offset0:128 offset1:160
	v_pk_fma_f16 v97, v68, v9, v97 op_sel_hi:[1,0,1]
	v_pk_fma_f16 v98, v68, v9, v98 op_sel:[0,1,0]
	ds_load_2addr_b64 v[65:68], v54 offset0:192 offset1:224
	s_mul_hi_i32 s21, s8, s10
	s_mul_i32 s20, s8, s10
	s_waitcnt lgkmcnt(2)
	v_pk_fma_f16 v99, v56, v8, v99 op_sel_hi:[1,0,1]
	s_lshl_b64 s[20:21], s[20:21], 2
	v_pk_fma_f16 v78, v56, v8, v78 op_sel:[0,1,0]
	s_add_u32 s8, s11, s20
	v_pk_fma_f16 v79, v56, v9, v79 op_sel_hi:[1,0,1]
	v_pk_fma_f16 v56, v56, v9, v73 op_sel:[0,1,0]
	v_pk_fma_f16 v73, v57, v8, v100 op_sel_hi:[1,0,1]
	v_pk_fma_f16 v178, v57, v8, v101 op_sel:[0,1,0]
	;; [unrolled: 2-line block ×4, first 2 shown]
	s_addc_u32 s20, s17, s21
	v_add_co_u32 v8, vcc_lo, s8, v27
	v_pk_fma_f16 v179, v57, v9, v102 op_sel_hi:[1,0,1]
	v_pk_fma_f16 v180, v57, v9, v74 op_sel:[0,1,0]
	v_pk_fma_f16 v182, v58, v9, v80 op_sel_hi:[1,0,1]
	v_pk_fma_f16 v183, v58, v9, v75 op_sel:[0,1,0]
	;; [unrolled: 2-line block ×3, first 2 shown]
	v_add_co_ci_u32_e32 v9, vcc_lo, s20, v28, vcc_lo
	v_add_co_u32 v162, vcc_lo, s8, v29
	v_add_co_ci_u32_e32 v163, vcc_lo, s20, v30, vcc_lo
	v_add_co_u32 v8, vcc_lo, v8, v39
	s_delay_alu instid0(VALU_DEP_4) | instskip(NEXT) | instid1(VALU_DEP_4)
	v_add_co_ci_u32_e32 v9, vcc_lo, 0, v9, vcc_lo
	v_add_co_u32 v174, vcc_lo, v162, v39
	s_delay_alu instid0(VALU_DEP_4)
	v_add_co_ci_u32_e32 v175, vcc_lo, 0, v163, vcc_lo
	s_waitcnt lgkmcnt(1)
	v_pk_fma_f16 v188, v60, v10, v72 op_sel_hi:[1,0,1]
	v_pk_fma_f16 v189, v60, v10, v76 op_sel:[0,1,0]
	v_pk_fma_f16 v190, v60, v11, v87 op_sel_hi:[1,0,1]
	v_pk_fma_f16 v191, v60, v11, v88 op_sel:[0,1,0]
	;; [unrolled: 2-line block ×8, first 2 shown]
	s_waitcnt lgkmcnt(0)
	v_pk_fma_f16 v204, v65, v10, v99 op_sel_hi:[1,0,1]
	v_pk_fma_f16 v205, v65, v10, v78 op_sel:[0,1,0]
	v_pk_fma_f16 v206, v65, v11, v79 op_sel_hi:[1,0,1]
	v_pk_fma_f16 v65, v65, v11, v56 op_sel:[0,1,0]
	v_pk_fma_f16 v207, v66, v10, v73 op_sel_hi:[1,0,1]
	ds_load_2addr_b64 v[56:59], v55 offset1:32
	ds_load_2addr_b64 v[60:63], v55 offset0:64 offset1:96
	ds_load_2addr_b64 v[69:72], v55 offset0:128 offset1:160
	ds_load_2addr_b64 v[73:76], v55 offset0:192 offset1:224
	ds_load_2addr_b64 v[77:80], v52 offset1:32
	ds_load_2addr_b64 v[86:89], v52 offset0:64 offset1:96
	ds_load_2addr_b64 v[90:93], v52 offset0:128 offset1:160
	ds_load_2addr_b64 v[94:97], v52 offset0:192 offset1:224
	ds_load_2addr_b64 v[98:101], v51 offset1:32
	ds_load_2addr_b64 v[102:105], v51 offset0:64 offset1:96
	ds_load_b128 v[106:109], v41 offset:192
	ds_load_b128 v[110:113], v41 offset:208
	ds_load_2addr_b64 v[114:117], v51 offset0:128 offset1:160
	ds_load_2addr_b64 v[118:121], v51 offset0:192 offset1:224
	ds_load_2addr_b64 v[122:125], v49 offset1:32
	ds_load_2addr_b64 v[126:129], v49 offset0:64 offset1:96
	ds_load_2addr_b64 v[130:133], v49 offset0:128 offset1:160
	;; [unrolled: 1-line block ×3, first 2 shown]
	ds_load_2addr_b64 v[138:141], v48 offset1:32
	ds_load_2addr_b64 v[142:145], v48 offset0:64 offset1:96
	ds_load_b128 v[146:149], v41 offset:224
	ds_load_b128 v[150:153], v41 offset:240
	ds_load_2addr_b64 v[154:157], v48 offset0:128 offset1:160
	ds_load_2addr_b64 v[158:161], v48 offset0:192 offset1:224
	s_waitcnt lgkmcnt(0)
	s_barrier
	buffer_gl0_inv
	s_clause 0x3
	global_load_b128 v[162:165], v[8:9], off
	global_load_b128 v[166:169], v[8:9], off offset:512
	global_load_b128 v[170:173], v[174:175], off
	global_load_b128 v[174:177], v[174:175], off offset:512
	v_pk_fma_f16 v8, v66, v10, v178 op_sel:[0,1,0]
	v_pk_fma_f16 v9, v66, v11, v179 op_sel_hi:[1,0,1]
	v_pk_fma_f16 v66, v66, v11, v180 op_sel:[0,1,0]
	v_pk_fma_f16 v84, v67, v10, v84 op_sel_hi:[1,0,1]
	;; [unrolled: 2-line block ×24, first 2 shown]
	v_pk_fma_f16 v57, v70, v7, v57 op_sel:[0,1,0]
	v_pk_fma_f16 v58, v71, v7, v58 op_sel:[0,1,0]
	;; [unrolled: 1-line block ×4, first 2 shown]
	v_pk_fma_f16 v180, v70, v7, v186 op_sel_hi:[1,0,1]
	v_pk_fma_f16 v70, v71, v6, v187 op_sel_hi:[1,0,1]
	v_pk_fma_f16 v181, v71, v6, v188 op_sel:[0,1,0]
	v_pk_fma_f16 v182, v71, v7, v189 op_sel_hi:[1,0,1]
	v_pk_fma_f16 v71, v72, v6, v190 op_sel_hi:[1,0,1]
	v_pk_fma_f16 v183, v72, v6, v191 op_sel:[0,1,0]
	;; [unrolled: 3-line block ×3, first 2 shown]
	v_pk_fma_f16 v186, v73, v7, v195 op_sel_hi:[1,0,1]
	v_pk_fma_f16 v60, v73, v7, v60 op_sel:[0,1,0]
	v_pk_fma_f16 v65, v74, v6, v65 op_sel_hi:[1,0,1]
	v_pk_fma_f16 v8, v74, v6, v8 op_sel:[0,1,0]
	v_pk_fma_f16 v61, v74, v7, v61 op_sel:[0,1,0]
	v_pk_fma_f16 v66, v75, v6, v66 op_sel_hi:[1,0,1]
	v_pk_fma_f16 v73, v75, v6, v84 op_sel:[0,1,0]
	v_pk_fma_f16 v62, v75, v7, v62 op_sel:[0,1,0]
	v_pk_fma_f16 v67, v76, v6, v67 op_sel_hi:[1,0,1]
	v_pk_fma_f16 v4, v76, v6, v4 op_sel:[0,1,0]
	v_pk_fma_f16 v6, v76, v7, v10 op_sel_hi:[1,0,1]
	v_pk_fma_f16 v10, v77, v106, v63 op_sel:[0,1,0]
	v_pk_fma_f16 v56, v77, v107, v56 op_sel:[0,1,0]
	v_pk_fma_f16 v63, v78, v106, v69 op_sel_hi:[1,0,1]
	v_pk_fma_f16 v57, v78, v107, v57 op_sel:[0,1,0]
	v_pk_fma_f16 v58, v79, v107, v58 op_sel:[0,1,0]
	;; [unrolled: 1-line block ×7, first 2 shown]
	v_pk_fma_f16 v63, v91, v108, v63 op_sel_hi:[1,0,1]
	v_pk_fma_f16 v57, v91, v109, v57 op_sel:[0,1,0]
	v_pk_fma_f16 v58, v92, v109, v58 op_sel:[0,1,0]
	;; [unrolled: 1-line block ×7, first 2 shown]
	v_pk_fma_f16 v63, v99, v110, v63 op_sel_hi:[1,0,1]
	v_pk_fma_f16 v57, v99, v111, v57 op_sel:[0,1,0]
	v_pk_fma_f16 v58, v100, v111, v58 op_sel:[0,1,0]
	;; [unrolled: 1-line block ×3, first 2 shown]
	v_pk_fma_f16 v9, v74, v7, v9 op_sel_hi:[1,0,1]
	v_pk_fma_f16 v5, v76, v7, v5 op_sel:[0,1,0]
	v_pk_fma_f16 v74, v75, v7, v178 op_sel_hi:[1,0,1]
	v_pk_fma_f16 v7, v77, v106, v11 op_sel_hi:[1,0,1]
	;; [unrolled: 1-line block ×3, first 2 shown]
	v_pk_fma_f16 v68, v78, v106, v179 op_sel:[0,1,0]
	v_pk_fma_f16 v69, v78, v107, v180 op_sel_hi:[1,0,1]
	v_pk_fma_f16 v70, v79, v106, v70 op_sel_hi:[1,0,1]
	v_pk_fma_f16 v75, v79, v106, v181 op_sel:[0,1,0]
	v_pk_fma_f16 v76, v79, v107, v182 op_sel_hi:[1,0,1]
	v_pk_fma_f16 v71, v80, v106, v71 op_sel_hi:[1,0,1]
	v_pk_fma_f16 v77, v80, v106, v183 op_sel:[0,1,0]
	v_pk_fma_f16 v78, v80, v107, v184 op_sel_hi:[1,0,1]
	v_pk_fma_f16 v60, v102, v111, v60 op_sel:[0,1,0]
	v_pk_fma_f16 v61, v103, v111, v61 op_sel:[0,1,0]
	;; [unrolled: 1-line block ×4, first 2 shown]
	v_pk_fma_f16 v63, v115, v112, v63 op_sel_hi:[1,0,1]
	v_pk_fma_f16 v57, v115, v113, v57 op_sel:[0,1,0]
	v_pk_fma_f16 v58, v116, v113, v58 op_sel:[0,1,0]
	;; [unrolled: 1-line block ×3, first 2 shown]
	v_pk_fma_f16 v72, v86, v106, v72 op_sel_hi:[1,0,1]
	v_pk_fma_f16 v65, v87, v106, v65 op_sel_hi:[1,0,1]
	v_pk_fma_f16 v8, v87, v106, v8 op_sel:[0,1,0]
	v_pk_fma_f16 v9, v87, v107, v9 op_sel_hi:[1,0,1]
	v_pk_fma_f16 v66, v88, v106, v66 op_sel_hi:[1,0,1]
	;; [unrolled: 1-line block ×3, first 2 shown]
	v_pk_fma_f16 v4, v89, v106, v4 op_sel:[0,1,0]
	v_pk_fma_f16 v6, v89, v107, v6 op_sel_hi:[1,0,1]
	v_pk_fma_f16 v5, v89, v107, v5 op_sel:[0,1,0]
	v_pk_fma_f16 v73, v88, v106, v73 op_sel:[0,1,0]
	v_pk_fma_f16 v74, v88, v107, v74 op_sel_hi:[1,0,1]
	v_pk_fma_f16 v7, v90, v108, v7 op_sel_hi:[1,0,1]
	v_pk_fma_f16 v10, v90, v108, v10 op_sel:[0,1,0]
	v_pk_fma_f16 v11, v90, v109, v11 op_sel_hi:[1,0,1]
	v_pk_fma_f16 v68, v91, v108, v68 op_sel:[0,1,0]
	v_pk_fma_f16 v69, v91, v109, v69 op_sel_hi:[1,0,1]
	v_pk_fma_f16 v70, v92, v108, v70 op_sel_hi:[1,0,1]
	v_pk_fma_f16 v75, v92, v108, v75 op_sel:[0,1,0]
	v_pk_fma_f16 v76, v92, v109, v76 op_sel_hi:[1,0,1]
	;; [unrolled: 3-line block ×3, first 2 shown]
	v_pk_fma_f16 v60, v118, v113, v60 op_sel:[0,1,0]
	v_pk_fma_f16 v61, v119, v113, v61 op_sel:[0,1,0]
	;; [unrolled: 1-line block ×4, first 2 shown]
	v_pk_fma_f16 v63, v123, v146, v63 op_sel_hi:[1,0,1]
	v_pk_fma_f16 v57, v123, v147, v57 op_sel:[0,1,0]
	v_pk_fma_f16 v58, v124, v147, v58 op_sel:[0,1,0]
	;; [unrolled: 1-line block ×3, first 2 shown]
	v_pk_fma_f16 v72, v94, v108, v72 op_sel_hi:[1,0,1]
	v_pk_fma_f16 v65, v95, v108, v65 op_sel_hi:[1,0,1]
	v_pk_fma_f16 v8, v95, v108, v8 op_sel:[0,1,0]
	v_pk_fma_f16 v9, v95, v109, v9 op_sel_hi:[1,0,1]
	v_pk_fma_f16 v66, v96, v108, v66 op_sel_hi:[1,0,1]
	;; [unrolled: 1-line block ×3, first 2 shown]
	v_pk_fma_f16 v4, v97, v108, v4 op_sel:[0,1,0]
	v_pk_fma_f16 v6, v97, v109, v6 op_sel_hi:[1,0,1]
	v_pk_fma_f16 v5, v97, v109, v5 op_sel:[0,1,0]
	v_pk_fma_f16 v73, v96, v108, v73 op_sel:[0,1,0]
	v_pk_fma_f16 v74, v96, v109, v74 op_sel_hi:[1,0,1]
	v_pk_fma_f16 v7, v98, v110, v7 op_sel_hi:[1,0,1]
	v_pk_fma_f16 v10, v98, v110, v10 op_sel:[0,1,0]
	v_pk_fma_f16 v11, v98, v111, v11 op_sel_hi:[1,0,1]
	v_pk_fma_f16 v68, v99, v110, v68 op_sel:[0,1,0]
	v_pk_fma_f16 v69, v99, v111, v69 op_sel_hi:[1,0,1]
	v_pk_fma_f16 v70, v100, v110, v70 op_sel_hi:[1,0,1]
	v_pk_fma_f16 v75, v100, v110, v75 op_sel:[0,1,0]
	v_pk_fma_f16 v76, v100, v111, v76 op_sel_hi:[1,0,1]
	;; [unrolled: 3-line block ×3, first 2 shown]
	v_pk_fma_f16 v60, v126, v147, v60 op_sel:[0,1,0]
	v_pk_fma_f16 v61, v127, v147, v61 op_sel:[0,1,0]
	;; [unrolled: 1-line block ×4, first 2 shown]
	v_pk_fma_f16 v63, v131, v148, v63 op_sel_hi:[1,0,1]
	v_pk_fma_f16 v57, v131, v149, v57 op_sel:[0,1,0]
	v_pk_fma_f16 v58, v132, v149, v58 op_sel:[0,1,0]
	;; [unrolled: 1-line block ×3, first 2 shown]
	v_pk_fma_f16 v72, v102, v110, v72 op_sel_hi:[1,0,1]
	v_pk_fma_f16 v65, v103, v110, v65 op_sel_hi:[1,0,1]
	v_pk_fma_f16 v8, v103, v110, v8 op_sel:[0,1,0]
	v_pk_fma_f16 v9, v103, v111, v9 op_sel_hi:[1,0,1]
	v_pk_fma_f16 v66, v104, v110, v66 op_sel_hi:[1,0,1]
	;; [unrolled: 1-line block ×3, first 2 shown]
	v_pk_fma_f16 v4, v105, v110, v4 op_sel:[0,1,0]
	v_pk_fma_f16 v6, v105, v111, v6 op_sel_hi:[1,0,1]
	v_pk_fma_f16 v5, v105, v111, v5 op_sel:[0,1,0]
	v_pk_fma_f16 v79, v86, v106, v185 op_sel:[0,1,0]
	v_pk_fma_f16 v80, v86, v107, v186 op_sel_hi:[1,0,1]
	v_pk_fma_f16 v73, v104, v110, v73 op_sel:[0,1,0]
	v_pk_fma_f16 v74, v104, v111, v74 op_sel_hi:[1,0,1]
	v_pk_fma_f16 v7, v114, v112, v7 op_sel_hi:[1,0,1]
	v_pk_fma_f16 v10, v114, v112, v10 op_sel:[0,1,0]
	v_pk_fma_f16 v11, v114, v113, v11 op_sel_hi:[1,0,1]
	v_pk_fma_f16 v68, v115, v112, v68 op_sel:[0,1,0]
	v_pk_fma_f16 v69, v115, v113, v69 op_sel_hi:[1,0,1]
	v_pk_fma_f16 v70, v116, v112, v70 op_sel_hi:[1,0,1]
	v_pk_fma_f16 v75, v116, v112, v75 op_sel:[0,1,0]
	v_pk_fma_f16 v76, v116, v113, v76 op_sel_hi:[1,0,1]
	;; [unrolled: 3-line block ×3, first 2 shown]
	v_pk_fma_f16 v60, v134, v149, v60 op_sel:[0,1,0]
	v_pk_fma_f16 v61, v135, v149, v61 op_sel:[0,1,0]
	;; [unrolled: 1-line block ×4, first 2 shown]
	v_pk_fma_f16 v63, v139, v150, v63 op_sel_hi:[1,0,1]
	v_pk_fma_f16 v57, v139, v151, v57 op_sel:[0,1,0]
	v_pk_fma_f16 v58, v140, v151, v58 op_sel:[0,1,0]
	;; [unrolled: 1-line block ×3, first 2 shown]
	v_pk_fma_f16 v72, v118, v112, v72 op_sel_hi:[1,0,1]
	v_pk_fma_f16 v65, v119, v112, v65 op_sel_hi:[1,0,1]
	v_pk_fma_f16 v8, v119, v112, v8 op_sel:[0,1,0]
	v_pk_fma_f16 v9, v119, v113, v9 op_sel_hi:[1,0,1]
	v_pk_fma_f16 v66, v120, v112, v66 op_sel_hi:[1,0,1]
	;; [unrolled: 1-line block ×3, first 2 shown]
	v_pk_fma_f16 v4, v121, v112, v4 op_sel:[0,1,0]
	v_pk_fma_f16 v6, v121, v113, v6 op_sel_hi:[1,0,1]
	v_pk_fma_f16 v5, v121, v113, v5 op_sel:[0,1,0]
	v_pk_fma_f16 v79, v94, v108, v79 op_sel:[0,1,0]
	v_pk_fma_f16 v80, v94, v109, v80 op_sel_hi:[1,0,1]
	v_pk_fma_f16 v73, v120, v112, v73 op_sel:[0,1,0]
	v_pk_fma_f16 v74, v120, v113, v74 op_sel_hi:[1,0,1]
	v_pk_fma_f16 v7, v122, v146, v7 op_sel_hi:[1,0,1]
	v_pk_fma_f16 v10, v122, v146, v10 op_sel:[0,1,0]
	v_pk_fma_f16 v11, v122, v147, v11 op_sel_hi:[1,0,1]
	v_pk_fma_f16 v68, v123, v146, v68 op_sel:[0,1,0]
	v_pk_fma_f16 v69, v123, v147, v69 op_sel_hi:[1,0,1]
	v_pk_fma_f16 v70, v124, v146, v70 op_sel_hi:[1,0,1]
	v_pk_fma_f16 v75, v124, v146, v75 op_sel:[0,1,0]
	v_pk_fma_f16 v76, v124, v147, v76 op_sel_hi:[1,0,1]
	;; [unrolled: 3-line block ×3, first 2 shown]
	v_pk_fma_f16 v84, v142, v151, v60 op_sel:[0,1,0]
	v_pk_fma_f16 v86, v143, v151, v61 op_sel:[0,1,0]
	;; [unrolled: 1-line block ×4, first 2 shown]
	v_pk_fma_f16 v92, v155, v152, v63 op_sel_hi:[1,0,1]
	v_pk_fma_f16 v95, v155, v153, v57 op_sel:[0,1,0]
	v_pk_fma_f16 v97, v156, v153, v58 op_sel:[0,1,0]
	;; [unrolled: 1-line block ×3, first 2 shown]
	s_waitcnt vmcnt(3)
	ds_store_b128 v43, v[162:165]
	s_waitcnt vmcnt(2)
	ds_store_b128 v44, v[166:169]
	;; [unrolled: 2-line block ×4, first 2 shown]
	s_waitcnt lgkmcnt(0)
	s_barrier
	buffer_gl0_inv
	ds_load_2addr_b64 v[56:59], v64 offset1:32
	ds_load_b128 v[60:63], v41 offset:256
	v_pk_fma_f16 v72, v126, v146, v72 op_sel_hi:[1,0,1]
	v_pk_fma_f16 v65, v127, v146, v65 op_sel_hi:[1,0,1]
	v_pk_fma_f16 v8, v127, v146, v8 op_sel:[0,1,0]
	v_pk_fma_f16 v9, v127, v147, v9 op_sel_hi:[1,0,1]
	v_pk_fma_f16 v66, v128, v146, v66 op_sel_hi:[1,0,1]
	v_pk_fma_f16 v67, v129, v146, v67 op_sel_hi:[1,0,1]
	v_pk_fma_f16 v4, v129, v146, v4 op_sel:[0,1,0]
	v_pk_fma_f16 v6, v129, v147, v6 op_sel_hi:[1,0,1]
	v_pk_fma_f16 v5, v129, v147, v5 op_sel:[0,1,0]
	v_pk_fma_f16 v79, v102, v110, v79 op_sel:[0,1,0]
	v_pk_fma_f16 v80, v102, v111, v80 op_sel_hi:[1,0,1]
	v_pk_fma_f16 v73, v128, v146, v73 op_sel:[0,1,0]
	v_pk_fma_f16 v74, v128, v147, v74 op_sel_hi:[1,0,1]
	v_pk_fma_f16 v7, v130, v148, v7 op_sel_hi:[1,0,1]
	v_pk_fma_f16 v10, v130, v148, v10 op_sel:[0,1,0]
	v_pk_fma_f16 v11, v130, v149, v11 op_sel_hi:[1,0,1]
	v_pk_fma_f16 v68, v131, v148, v68 op_sel:[0,1,0]
	v_pk_fma_f16 v69, v131, v149, v69 op_sel_hi:[1,0,1]
	v_pk_fma_f16 v70, v132, v148, v70 op_sel_hi:[1,0,1]
	v_pk_fma_f16 v75, v132, v148, v75 op_sel:[0,1,0]
	v_pk_fma_f16 v76, v132, v149, v76 op_sel_hi:[1,0,1]
	v_pk_fma_f16 v71, v133, v148, v71 op_sel_hi:[1,0,1]
	v_pk_fma_f16 v77, v133, v148, v77 op_sel:[0,1,0]
	v_pk_fma_f16 v78, v133, v149, v78 op_sel_hi:[1,0,1]
	v_pk_fma_f16 v72, v134, v148, v72 op_sel_hi:[1,0,1]
	v_pk_fma_f16 v65, v135, v148, v65 op_sel_hi:[1,0,1]
	v_pk_fma_f16 v8, v135, v148, v8 op_sel:[0,1,0]
	v_pk_fma_f16 v9, v135, v149, v9 op_sel_hi:[1,0,1]
	v_pk_fma_f16 v66, v136, v148, v66 op_sel_hi:[1,0,1]
	v_pk_fma_f16 v67, v137, v148, v67 op_sel_hi:[1,0,1]
	v_pk_fma_f16 v4, v137, v148, v4 op_sel:[0,1,0]
	v_pk_fma_f16 v6, v137, v149, v6 op_sel_hi:[1,0,1]
	v_pk_fma_f16 v5, v137, v149, v5 op_sel:[0,1,0]
	v_pk_fma_f16 v79, v118, v112, v79 op_sel:[0,1,0]
	v_pk_fma_f16 v80, v118, v113, v80 op_sel_hi:[1,0,1]
	v_pk_fma_f16 v73, v136, v148, v73 op_sel:[0,1,0]
	v_pk_fma_f16 v74, v136, v149, v74 op_sel_hi:[1,0,1]
	v_pk_fma_f16 v7, v138, v150, v7 op_sel_hi:[1,0,1]
	v_pk_fma_f16 v10, v138, v150, v10 op_sel:[0,1,0]
	v_pk_fma_f16 v11, v138, v151, v11 op_sel_hi:[1,0,1]
	v_pk_fma_f16 v68, v139, v150, v68 op_sel:[0,1,0]
	v_pk_fma_f16 v69, v139, v151, v69 op_sel_hi:[1,0,1]
	v_pk_fma_f16 v70, v140, v150, v70 op_sel_hi:[1,0,1]
	v_pk_fma_f16 v75, v140, v150, v75 op_sel:[0,1,0]
	v_pk_fma_f16 v76, v140, v151, v76 op_sel_hi:[1,0,1]
	v_pk_fma_f16 v71, v141, v150, v71 op_sel_hi:[1,0,1]
	v_pk_fma_f16 v77, v141, v150, v77 op_sel:[0,1,0]
	v_pk_fma_f16 v78, v141, v151, v78 op_sel_hi:[1,0,1]
	;; [unrolled: 24-line block ×3, first 2 shown]
	v_pk_fma_f16 v100, v158, v152, v72 op_sel_hi:[1,0,1]
	v_pk_fma_f16 v101, v159, v152, v65 op_sel_hi:[1,0,1]
	v_pk_fma_f16 v102, v159, v152, v8 op_sel:[0,1,0]
	v_pk_fma_f16 v103, v159, v153, v9 op_sel_hi:[1,0,1]
	v_pk_fma_f16 v104, v160, v152, v66 op_sel_hi:[1,0,1]
	;; [unrolled: 1-line block ×3, first 2 shown]
	v_pk_fma_f16 v108, v161, v152, v4 op_sel:[0,1,0]
	v_pk_fma_f16 v109, v161, v153, v6 op_sel_hi:[1,0,1]
	v_pk_fma_f16 v110, v161, v153, v5 op_sel:[0,1,0]
	ds_load_2addr_b64 v[65:68], v64 offset0:64 offset1:96
	ds_load_b128 v[69:72], v41 offset:272
	ds_load_b128 v[8:11], v41 offset:288
	;; [unrolled: 1-line block ×3, first 2 shown]
	v_pk_fma_f16 v79, v134, v148, v79 op_sel:[0,1,0]
	v_pk_fma_f16 v80, v134, v149, v80 op_sel_hi:[1,0,1]
	v_pk_fma_f16 v105, v160, v152, v73 op_sel:[0,1,0]
	v_pk_fma_f16 v106, v160, v153, v74 op_sel_hi:[1,0,1]
	s_waitcnt lgkmcnt(4)
	v_pk_fma_f16 v88, v56, v60, v88 op_sel_hi:[1,0,1]
	v_pk_fma_f16 v89, v56, v60, v89 op_sel:[0,1,0]
	v_pk_fma_f16 v90, v56, v61, v90 op_sel_hi:[1,0,1]
	v_pk_fma_f16 v91, v56, v61, v91 op_sel:[0,1,0]
	v_pk_fma_f16 v92, v57, v60, v92 op_sel_hi:[1,0,1]
	v_pk_fma_f16 v93, v57, v60, v93 op_sel:[0,1,0]
	v_pk_fma_f16 v94, v57, v61, v94 op_sel_hi:[1,0,1]
	v_pk_fma_f16 v95, v57, v61, v95 op_sel:[0,1,0]
	v_pk_fma_f16 v96, v58, v60, v96 op_sel_hi:[1,0,1]
	v_pk_fma_f16 v111, v58, v60, v75 op_sel:[0,1,0]
	v_pk_fma_f16 v112, v58, v61, v76 op_sel_hi:[1,0,1]
	v_pk_fma_f16 v97, v58, v61, v97 op_sel:[0,1,0]
	v_pk_fma_f16 v98, v59, v60, v98 op_sel_hi:[1,0,1]
	v_pk_fma_f16 v77, v59, v60, v77 op_sel:[0,1,0]
	ds_load_2addr_b64 v[73:76], v64 offset0:128 offset1:160
	v_pk_fma_f16 v78, v59, v61, v78 op_sel_hi:[1,0,1]
	v_pk_fma_f16 v99, v59, v61, v99 op_sel:[0,1,0]
	ds_load_2addr_b64 v[56:59], v64 offset0:192 offset1:224
	v_pk_fma_f16 v79, v142, v150, v79 op_sel:[0,1,0]
	v_pk_fma_f16 v80, v142, v151, v80 op_sel_hi:[1,0,1]
	v_pk_fma_f16 v84, v158, v153, v84 op_sel:[0,1,0]
	v_pk_fma_f16 v86, v159, v153, v86 op_sel:[0,1,0]
	;; [unrolled: 1-line block ×4, first 2 shown]
	v_pk_fma_f16 v80, v158, v153, v80 op_sel_hi:[1,0,1]
	s_waitcnt lgkmcnt(5)
	v_pk_fma_f16 v100, v65, v60, v100 op_sel_hi:[1,0,1]
	v_pk_fma_f16 v84, v65, v61, v84 op_sel:[0,1,0]
	v_pk_fma_f16 v101, v66, v60, v101 op_sel_hi:[1,0,1]
	v_pk_fma_f16 v79, v65, v60, v79 op_sel:[0,1,0]
	;; [unrolled: 2-line block ×8, first 2 shown]
	ds_load_2addr_b64 v[65:68], v53 offset1:32
	s_waitcnt lgkmcnt(2)
	v_pk_fma_f16 v88, v73, v62, v88 op_sel_hi:[1,0,1]
	v_pk_fma_f16 v89, v73, v62, v89 op_sel:[0,1,0]
	v_pk_fma_f16 v90, v73, v63, v90 op_sel_hi:[1,0,1]
	v_pk_fma_f16 v91, v73, v63, v91 op_sel:[0,1,0]
	;; [unrolled: 2-line block ×8, first 2 shown]
	s_waitcnt lgkmcnt(1)
	v_pk_fma_f16 v100, v56, v62, v100 op_sel_hi:[1,0,1]
	v_pk_fma_f16 v79, v56, v62, v79 op_sel:[0,1,0]
	v_pk_fma_f16 v80, v56, v63, v80 op_sel_hi:[1,0,1]
	v_pk_fma_f16 v84, v56, v63, v84 op_sel:[0,1,0]
	;; [unrolled: 2-line block ×7, first 2 shown]
	ds_load_2addr_b64 v[73:76], v53 offset0:64 offset1:96
	v_pk_fma_f16 v108, v59, v63, v108 op_sel_hi:[1,0,1]
	v_pk_fma_f16 v111, v59, v63, v61 op_sel:[0,1,0]
	ds_load_2addr_b64 v[56:59], v53 offset0:128 offset1:160
	s_waitcnt lgkmcnt(2)
	v_pk_fma_f16 v88, v65, v69, v88 op_sel_hi:[1,0,1]
	v_pk_fma_f16 v89, v65, v69, v89 op_sel:[0,1,0]
	v_pk_fma_f16 v90, v65, v70, v90 op_sel_hi:[1,0,1]
	v_pk_fma_f16 v65, v65, v70, v91 op_sel:[0,1,0]
	;; [unrolled: 2-line block ×8, first 2 shown]
	s_waitcnt lgkmcnt(1)
	v_pk_fma_f16 v99, v73, v69, v100 op_sel_hi:[1,0,1]
	v_pk_fma_f16 v79, v73, v69, v79 op_sel:[0,1,0]
	v_pk_fma_f16 v80, v73, v70, v80 op_sel_hi:[1,0,1]
	v_pk_fma_f16 v73, v73, v70, v84 op_sel:[0,1,0]
	;; [unrolled: 2-line block ×7, first 2 shown]
	ds_load_2addr_b64 v[60:63], v53 offset0:192 offset1:224
	v_pk_fma_f16 v104, v76, v70, v108 op_sel_hi:[1,0,1]
	v_pk_fma_f16 v70, v76, v70, v111 op_sel:[0,1,0]
	s_waitcnt lgkmcnt(1)
	v_pk_fma_f16 v76, v56, v71, v88 op_sel_hi:[1,0,1]
	v_pk_fma_f16 v88, v56, v71, v89 op_sel:[0,1,0]
	v_pk_fma_f16 v89, v56, v72, v90 op_sel_hi:[1,0,1]
	v_pk_fma_f16 v90, v56, v72, v65 op_sel:[0,1,0]
	v_pk_fma_f16 v105, v57, v72, v66 op_sel:[0,1,0]
	v_pk_fma_f16 v106, v58, v72, v67 op_sel:[0,1,0]
	ds_load_2addr_b64 v[65:68], v54 offset1:32
	v_pk_fma_f16 v91, v57, v71, v91 op_sel_hi:[1,0,1]
	v_pk_fma_f16 v92, v57, v71, v92 op_sel:[0,1,0]
	v_pk_fma_f16 v93, v57, v72, v93 op_sel_hi:[1,0,1]
	v_pk_fma_f16 v94, v58, v71, v94 op_sel_hi:[1,0,1]
	v_pk_fma_f16 v95, v58, v71, v95 op_sel:[0,1,0]
	v_pk_fma_f16 v96, v58, v72, v96 op_sel_hi:[1,0,1]
	;; [unrolled: 3-line block ×3, first 2 shown]
	v_pk_fma_f16 v98, v59, v72, v98 op_sel:[0,1,0]
	ds_load_2addr_b64 v[56:59], v54 offset0:64 offset1:96
	s_or_b32 s8, s3, 48
	s_waitcnt lgkmcnt(2)
	v_pk_fma_f16 v99, v60, v71, v99 op_sel_hi:[1,0,1]
	v_pk_fma_f16 v79, v60, v71, v79 op_sel:[0,1,0]
	v_pk_fma_f16 v80, v60, v72, v80 op_sel_hi:[1,0,1]
	v_pk_fma_f16 v73, v60, v72, v73 op_sel:[0,1,0]
	v_pk_fma_f16 v84, v61, v71, v84 op_sel_hi:[1,0,1]
	v_pk_fma_f16 v100, v61, v71, v100 op_sel:[0,1,0]
	v_pk_fma_f16 v101, v61, v72, v101 op_sel_hi:[1,0,1]
	v_pk_fma_f16 v74, v61, v72, v74 op_sel:[0,1,0]
	v_pk_fma_f16 v86, v62, v71, v86 op_sel_hi:[1,0,1]
	v_pk_fma_f16 v102, v62, v71, v102 op_sel:[0,1,0]
	v_pk_fma_f16 v103, v62, v72, v103 op_sel_hi:[1,0,1]
	v_pk_fma_f16 v75, v62, v72, v75 op_sel:[0,1,0]
	v_pk_fma_f16 v87, v63, v71, v87 op_sel_hi:[1,0,1]
	v_pk_fma_f16 v69, v63, v71, v69 op_sel:[0,1,0]
	v_pk_fma_f16 v71, v63, v72, v104 op_sel_hi:[1,0,1]
	v_pk_fma_f16 v70, v63, v72, v70 op_sel:[0,1,0]
	s_waitcnt lgkmcnt(1)
	v_pk_fma_f16 v72, v65, v8, v76 op_sel_hi:[1,0,1]
	v_pk_fma_f16 v76, v65, v8, v88 op_sel:[0,1,0]
	v_pk_fma_f16 v88, v65, v9, v89 op_sel_hi:[1,0,1]
	v_pk_fma_f16 v89, v65, v9, v90 op_sel:[0,1,0]
	;; [unrolled: 2-line block ×7, first 2 shown]
	ds_load_2addr_b64 v[60:63], v54 offset0:128 offset1:160
	v_pk_fma_f16 v78, v68, v9, v78 op_sel_hi:[1,0,1]
	v_pk_fma_f16 v98, v68, v9, v98 op_sel:[0,1,0]
	ds_load_2addr_b64 v[65:68], v54 offset0:192 offset1:224
	s_mul_hi_i32 s21, s8, s10
	s_mul_i32 s20, s8, s10
	s_waitcnt lgkmcnt(2)
	v_pk_fma_f16 v99, v56, v8, v99 op_sel_hi:[1,0,1]
	s_lshl_b64 s[20:21], s[20:21], 2
	v_pk_fma_f16 v79, v56, v8, v79 op_sel:[0,1,0]
	s_add_u32 s8, s11, s20
	v_pk_fma_f16 v80, v56, v9, v80 op_sel_hi:[1,0,1]
	v_pk_fma_f16 v56, v56, v9, v73 op_sel:[0,1,0]
	v_pk_fma_f16 v73, v57, v8, v84 op_sel_hi:[1,0,1]
	v_pk_fma_f16 v84, v57, v8, v100 op_sel:[0,1,0]
	;; [unrolled: 2-line block ×4, first 2 shown]
	s_addc_u32 s20, s17, s21
	v_add_co_u32 v8, vcc_lo, s8, v27
	v_pk_fma_f16 v178, v57, v9, v101 op_sel_hi:[1,0,1]
	v_pk_fma_f16 v179, v57, v9, v74 op_sel:[0,1,0]
	v_pk_fma_f16 v182, v58, v9, v103 op_sel_hi:[1,0,1]
	v_pk_fma_f16 v183, v58, v9, v75 op_sel:[0,1,0]
	;; [unrolled: 2-line block ×3, first 2 shown]
	v_add_co_ci_u32_e32 v9, vcc_lo, s20, v28, vcc_lo
	v_add_co_u32 v162, vcc_lo, s8, v29
	v_add_co_ci_u32_e32 v163, vcc_lo, s20, v30, vcc_lo
	v_add_co_u32 v8, vcc_lo, v8, v39
	s_delay_alu instid0(VALU_DEP_4) | instskip(NEXT) | instid1(VALU_DEP_4)
	v_add_co_ci_u32_e32 v9, vcc_lo, 0, v9, vcc_lo
	v_add_co_u32 v174, vcc_lo, v162, v39
	s_delay_alu instid0(VALU_DEP_4)
	v_add_co_ci_u32_e32 v175, vcc_lo, 0, v163, vcc_lo
	s_waitcnt lgkmcnt(1)
	v_pk_fma_f16 v188, v60, v10, v72 op_sel_hi:[1,0,1]
	v_pk_fma_f16 v189, v60, v10, v76 op_sel:[0,1,0]
	v_pk_fma_f16 v190, v60, v11, v88 op_sel_hi:[1,0,1]
	v_pk_fma_f16 v191, v60, v11, v89 op_sel:[0,1,0]
	;; [unrolled: 2-line block ×8, first 2 shown]
	s_waitcnt lgkmcnt(0)
	v_pk_fma_f16 v204, v65, v10, v99 op_sel_hi:[1,0,1]
	v_pk_fma_f16 v205, v65, v10, v79 op_sel:[0,1,0]
	v_pk_fma_f16 v206, v65, v11, v80 op_sel_hi:[1,0,1]
	v_pk_fma_f16 v65, v65, v11, v56 op_sel:[0,1,0]
	v_pk_fma_f16 v207, v66, v10, v73 op_sel_hi:[1,0,1]
	ds_load_2addr_b64 v[56:59], v55 offset1:32
	ds_load_2addr_b64 v[60:63], v55 offset0:64 offset1:96
	ds_load_2addr_b64 v[69:72], v55 offset0:128 offset1:160
	;; [unrolled: 1-line block ×3, first 2 shown]
	ds_load_2addr_b64 v[77:80], v52 offset1:32
	ds_load_2addr_b64 v[86:89], v52 offset0:64 offset1:96
	ds_load_2addr_b64 v[90:93], v52 offset0:128 offset1:160
	;; [unrolled: 1-line block ×3, first 2 shown]
	ds_load_2addr_b64 v[98:101], v51 offset1:32
	ds_load_2addr_b64 v[102:105], v51 offset0:64 offset1:96
	ds_load_b128 v[106:109], v41 offset:320
	ds_load_b128 v[110:113], v41 offset:336
	ds_load_2addr_b64 v[114:117], v51 offset0:128 offset1:160
	ds_load_2addr_b64 v[118:121], v51 offset0:192 offset1:224
	ds_load_2addr_b64 v[122:125], v49 offset1:32
	ds_load_2addr_b64 v[126:129], v49 offset0:64 offset1:96
	ds_load_2addr_b64 v[130:133], v49 offset0:128 offset1:160
	;; [unrolled: 1-line block ×3, first 2 shown]
	ds_load_2addr_b64 v[138:141], v48 offset1:32
	ds_load_2addr_b64 v[142:145], v48 offset0:64 offset1:96
	ds_load_b128 v[146:149], v41 offset:352
	ds_load_b128 v[150:153], v41 offset:368
	ds_load_2addr_b64 v[154:157], v48 offset0:128 offset1:160
	ds_load_2addr_b64 v[158:161], v48 offset0:192 offset1:224
	s_waitcnt lgkmcnt(0)
	s_barrier
	buffer_gl0_inv
	s_clause 0x3
	global_load_b128 v[162:165], v[8:9], off
	global_load_b128 v[166:169], v[8:9], off offset:512
	global_load_b128 v[170:173], v[174:175], off
	global_load_b128 v[174:177], v[174:175], off offset:512
	v_pk_fma_f16 v8, v66, v10, v84 op_sel:[0,1,0]
	v_pk_fma_f16 v9, v66, v11, v178 op_sel_hi:[1,0,1]
	v_pk_fma_f16 v66, v66, v11, v179 op_sel:[0,1,0]
	v_pk_fma_f16 v84, v67, v10, v180 op_sel_hi:[1,0,1]
	v_pk_fma_f16 v178, v67, v10, v181 op_sel:[0,1,0]
	v_pk_fma_f16 v179, v67, v11, v182 op_sel_hi:[1,0,1]
	v_pk_fma_f16 v67, v67, v11, v183 op_sel:[0,1,0]
	v_pk_fma_f16 v180, v68, v10, v184 op_sel_hi:[1,0,1]
	v_pk_fma_f16 v10, v68, v10, v185 op_sel:[0,1,0]
	v_pk_fma_f16 v181, v68, v11, v186 op_sel_hi:[1,0,1]
	v_pk_fma_f16 v11, v68, v11, v187 op_sel:[0,1,0]
	v_pk_fma_f16 v68, v56, v4, v188 op_sel_hi:[1,0,1]
	v_pk_fma_f16 v182, v56, v4, v189 op_sel:[0,1,0]
	v_pk_fma_f16 v183, v56, v5, v190 op_sel_hi:[1,0,1]
	v_pk_fma_f16 v56, v56, v5, v191 op_sel:[0,1,0]
	v_pk_fma_f16 v184, v57, v4, v192 op_sel_hi:[1,0,1]
	v_pk_fma_f16 v185, v57, v4, v193 op_sel:[0,1,0]
	v_pk_fma_f16 v186, v57, v5, v194 op_sel_hi:[1,0,1]
	v_pk_fma_f16 v57, v57, v5, v195 op_sel:[0,1,0]
	v_pk_fma_f16 v187, v58, v4, v196 op_sel_hi:[1,0,1]
	v_pk_fma_f16 v188, v58, v4, v197 op_sel:[0,1,0]
	v_pk_fma_f16 v189, v58, v5, v198 op_sel_hi:[1,0,1]
	v_pk_fma_f16 v58, v58, v5, v199 op_sel:[0,1,0]
	v_pk_fma_f16 v190, v59, v4, v200 op_sel_hi:[1,0,1]
	v_pk_fma_f16 v191, v59, v4, v201 op_sel:[0,1,0]
	v_pk_fma_f16 v192, v59, v5, v202 op_sel_hi:[1,0,1]
	v_pk_fma_f16 v59, v59, v5, v203 op_sel:[0,1,0]
	v_pk_fma_f16 v193, v60, v4, v204 op_sel_hi:[1,0,1]
	v_pk_fma_f16 v194, v60, v4, v205 op_sel:[0,1,0]
	v_pk_fma_f16 v195, v60, v5, v206 op_sel_hi:[1,0,1]
	v_pk_fma_f16 v60, v60, v5, v65 op_sel:[0,1,0]
	v_pk_fma_f16 v65, v61, v4, v207 op_sel_hi:[1,0,1]
	v_pk_fma_f16 v8, v61, v4, v8 op_sel:[0,1,0]
	v_pk_fma_f16 v9, v61, v5, v9 op_sel_hi:[1,0,1]
	v_pk_fma_f16 v61, v61, v5, v66 op_sel:[0,1,0]
	v_pk_fma_f16 v66, v62, v4, v84 op_sel_hi:[1,0,1]
	v_pk_fma_f16 v84, v62, v4, v178 op_sel:[0,1,0]
	v_pk_fma_f16 v178, v62, v5, v179 op_sel_hi:[1,0,1]
	v_pk_fma_f16 v62, v62, v5, v67 op_sel:[0,1,0]
	v_pk_fma_f16 v67, v63, v4, v180 op_sel_hi:[1,0,1]
	v_pk_fma_f16 v4, v63, v4, v10 op_sel:[0,1,0]
	v_pk_fma_f16 v10, v63, v5, v181 op_sel_hi:[1,0,1]
	v_pk_fma_f16 v5, v63, v5, v11 op_sel:[0,1,0]
	v_pk_fma_f16 v11, v69, v6, v68 op_sel_hi:[1,0,1]
	v_pk_fma_f16 v63, v69, v6, v182 op_sel:[0,1,0]
	v_pk_fma_f16 v68, v69, v7, v183 op_sel_hi:[1,0,1]
	v_pk_fma_f16 v56, v69, v7, v56 op_sel:[0,1,0]
	v_pk_fma_f16 v69, v70, v6, v184 op_sel_hi:[1,0,1]
	v_pk_fma_f16 v57, v70, v7, v57 op_sel:[0,1,0]
	v_pk_fma_f16 v58, v71, v7, v58 op_sel:[0,1,0]
	;; [unrolled: 1-line block ×4, first 2 shown]
	v_pk_fma_f16 v180, v70, v7, v186 op_sel_hi:[1,0,1]
	v_pk_fma_f16 v70, v71, v6, v187 op_sel_hi:[1,0,1]
	v_pk_fma_f16 v181, v71, v6, v188 op_sel:[0,1,0]
	v_pk_fma_f16 v182, v71, v7, v189 op_sel_hi:[1,0,1]
	v_pk_fma_f16 v71, v72, v6, v190 op_sel_hi:[1,0,1]
	v_pk_fma_f16 v183, v72, v6, v191 op_sel:[0,1,0]
	;; [unrolled: 3-line block ×3, first 2 shown]
	v_pk_fma_f16 v186, v73, v7, v195 op_sel_hi:[1,0,1]
	v_pk_fma_f16 v60, v73, v7, v60 op_sel:[0,1,0]
	v_pk_fma_f16 v65, v74, v6, v65 op_sel_hi:[1,0,1]
	v_pk_fma_f16 v8, v74, v6, v8 op_sel:[0,1,0]
	v_pk_fma_f16 v61, v74, v7, v61 op_sel:[0,1,0]
	v_pk_fma_f16 v66, v75, v6, v66 op_sel_hi:[1,0,1]
	v_pk_fma_f16 v73, v75, v6, v84 op_sel:[0,1,0]
	;; [unrolled: 3-line block ×3, first 2 shown]
	v_pk_fma_f16 v6, v76, v7, v10 op_sel_hi:[1,0,1]
	v_pk_fma_f16 v10, v77, v106, v63 op_sel:[0,1,0]
	v_pk_fma_f16 v56, v77, v107, v56 op_sel:[0,1,0]
	v_pk_fma_f16 v63, v78, v106, v69 op_sel_hi:[1,0,1]
	v_pk_fma_f16 v57, v78, v107, v57 op_sel:[0,1,0]
	v_pk_fma_f16 v58, v79, v107, v58 op_sel:[0,1,0]
	;; [unrolled: 1-line block ×7, first 2 shown]
	v_pk_fma_f16 v63, v91, v108, v63 op_sel_hi:[1,0,1]
	v_pk_fma_f16 v57, v91, v109, v57 op_sel:[0,1,0]
	v_pk_fma_f16 v58, v92, v109, v58 op_sel:[0,1,0]
	;; [unrolled: 1-line block ×7, first 2 shown]
	v_pk_fma_f16 v63, v99, v110, v63 op_sel_hi:[1,0,1]
	v_pk_fma_f16 v57, v99, v111, v57 op_sel:[0,1,0]
	v_pk_fma_f16 v58, v100, v111, v58 op_sel:[0,1,0]
	v_pk_fma_f16 v59, v101, v111, v59 op_sel:[0,1,0]
	v_pk_fma_f16 v9, v74, v7, v9 op_sel_hi:[1,0,1]
	v_pk_fma_f16 v5, v76, v7, v5 op_sel:[0,1,0]
	v_pk_fma_f16 v74, v75, v7, v178 op_sel_hi:[1,0,1]
	v_pk_fma_f16 v7, v77, v106, v11 op_sel_hi:[1,0,1]
	;; [unrolled: 1-line block ×3, first 2 shown]
	v_pk_fma_f16 v68, v78, v106, v179 op_sel:[0,1,0]
	v_pk_fma_f16 v69, v78, v107, v180 op_sel_hi:[1,0,1]
	v_pk_fma_f16 v70, v79, v106, v70 op_sel_hi:[1,0,1]
	v_pk_fma_f16 v75, v79, v106, v181 op_sel:[0,1,0]
	v_pk_fma_f16 v76, v79, v107, v182 op_sel_hi:[1,0,1]
	v_pk_fma_f16 v71, v80, v106, v71 op_sel_hi:[1,0,1]
	v_pk_fma_f16 v77, v80, v106, v183 op_sel:[0,1,0]
	v_pk_fma_f16 v78, v80, v107, v184 op_sel_hi:[1,0,1]
	v_pk_fma_f16 v60, v102, v111, v60 op_sel:[0,1,0]
	v_pk_fma_f16 v61, v103, v111, v61 op_sel:[0,1,0]
	;; [unrolled: 1-line block ×4, first 2 shown]
	v_pk_fma_f16 v63, v115, v112, v63 op_sel_hi:[1,0,1]
	v_pk_fma_f16 v57, v115, v113, v57 op_sel:[0,1,0]
	v_pk_fma_f16 v58, v116, v113, v58 op_sel:[0,1,0]
	;; [unrolled: 1-line block ×3, first 2 shown]
	v_pk_fma_f16 v72, v86, v106, v72 op_sel_hi:[1,0,1]
	v_pk_fma_f16 v65, v87, v106, v65 op_sel_hi:[1,0,1]
	v_pk_fma_f16 v8, v87, v106, v8 op_sel:[0,1,0]
	v_pk_fma_f16 v9, v87, v107, v9 op_sel_hi:[1,0,1]
	v_pk_fma_f16 v66, v88, v106, v66 op_sel_hi:[1,0,1]
	;; [unrolled: 1-line block ×3, first 2 shown]
	v_pk_fma_f16 v4, v89, v106, v4 op_sel:[0,1,0]
	v_pk_fma_f16 v6, v89, v107, v6 op_sel_hi:[1,0,1]
	v_pk_fma_f16 v5, v89, v107, v5 op_sel:[0,1,0]
	v_pk_fma_f16 v73, v88, v106, v73 op_sel:[0,1,0]
	v_pk_fma_f16 v74, v88, v107, v74 op_sel_hi:[1,0,1]
	v_pk_fma_f16 v7, v90, v108, v7 op_sel_hi:[1,0,1]
	v_pk_fma_f16 v10, v90, v108, v10 op_sel:[0,1,0]
	v_pk_fma_f16 v11, v90, v109, v11 op_sel_hi:[1,0,1]
	v_pk_fma_f16 v68, v91, v108, v68 op_sel:[0,1,0]
	v_pk_fma_f16 v69, v91, v109, v69 op_sel_hi:[1,0,1]
	v_pk_fma_f16 v70, v92, v108, v70 op_sel_hi:[1,0,1]
	v_pk_fma_f16 v75, v92, v108, v75 op_sel:[0,1,0]
	v_pk_fma_f16 v76, v92, v109, v76 op_sel_hi:[1,0,1]
	;; [unrolled: 3-line block ×3, first 2 shown]
	v_pk_fma_f16 v60, v118, v113, v60 op_sel:[0,1,0]
	v_pk_fma_f16 v61, v119, v113, v61 op_sel:[0,1,0]
	;; [unrolled: 1-line block ×4, first 2 shown]
	v_pk_fma_f16 v63, v123, v146, v63 op_sel_hi:[1,0,1]
	v_pk_fma_f16 v57, v123, v147, v57 op_sel:[0,1,0]
	v_pk_fma_f16 v58, v124, v147, v58 op_sel:[0,1,0]
	v_pk_fma_f16 v59, v125, v147, v59 op_sel:[0,1,0]
	v_pk_fma_f16 v72, v94, v108, v72 op_sel_hi:[1,0,1]
	v_pk_fma_f16 v65, v95, v108, v65 op_sel_hi:[1,0,1]
	v_pk_fma_f16 v8, v95, v108, v8 op_sel:[0,1,0]
	v_pk_fma_f16 v9, v95, v109, v9 op_sel_hi:[1,0,1]
	v_pk_fma_f16 v66, v96, v108, v66 op_sel_hi:[1,0,1]
	v_pk_fma_f16 v67, v97, v108, v67 op_sel_hi:[1,0,1]
	v_pk_fma_f16 v4, v97, v108, v4 op_sel:[0,1,0]
	v_pk_fma_f16 v6, v97, v109, v6 op_sel_hi:[1,0,1]
	v_pk_fma_f16 v5, v97, v109, v5 op_sel:[0,1,0]
	v_pk_fma_f16 v73, v96, v108, v73 op_sel:[0,1,0]
	v_pk_fma_f16 v74, v96, v109, v74 op_sel_hi:[1,0,1]
	v_pk_fma_f16 v7, v98, v110, v7 op_sel_hi:[1,0,1]
	v_pk_fma_f16 v10, v98, v110, v10 op_sel:[0,1,0]
	v_pk_fma_f16 v11, v98, v111, v11 op_sel_hi:[1,0,1]
	v_pk_fma_f16 v68, v99, v110, v68 op_sel:[0,1,0]
	v_pk_fma_f16 v69, v99, v111, v69 op_sel_hi:[1,0,1]
	v_pk_fma_f16 v70, v100, v110, v70 op_sel_hi:[1,0,1]
	v_pk_fma_f16 v75, v100, v110, v75 op_sel:[0,1,0]
	v_pk_fma_f16 v76, v100, v111, v76 op_sel_hi:[1,0,1]
	;; [unrolled: 3-line block ×3, first 2 shown]
	v_pk_fma_f16 v60, v126, v147, v60 op_sel:[0,1,0]
	v_pk_fma_f16 v61, v127, v147, v61 op_sel:[0,1,0]
	;; [unrolled: 1-line block ×4, first 2 shown]
	v_pk_fma_f16 v63, v131, v148, v63 op_sel_hi:[1,0,1]
	v_pk_fma_f16 v57, v131, v149, v57 op_sel:[0,1,0]
	v_pk_fma_f16 v58, v132, v149, v58 op_sel:[0,1,0]
	;; [unrolled: 1-line block ×3, first 2 shown]
	v_pk_fma_f16 v72, v102, v110, v72 op_sel_hi:[1,0,1]
	v_pk_fma_f16 v65, v103, v110, v65 op_sel_hi:[1,0,1]
	v_pk_fma_f16 v8, v103, v110, v8 op_sel:[0,1,0]
	v_pk_fma_f16 v9, v103, v111, v9 op_sel_hi:[1,0,1]
	v_pk_fma_f16 v66, v104, v110, v66 op_sel_hi:[1,0,1]
	;; [unrolled: 1-line block ×3, first 2 shown]
	v_pk_fma_f16 v4, v105, v110, v4 op_sel:[0,1,0]
	v_pk_fma_f16 v6, v105, v111, v6 op_sel_hi:[1,0,1]
	v_pk_fma_f16 v5, v105, v111, v5 op_sel:[0,1,0]
	v_pk_fma_f16 v79, v86, v106, v185 op_sel:[0,1,0]
	v_pk_fma_f16 v80, v86, v107, v186 op_sel_hi:[1,0,1]
	v_pk_fma_f16 v73, v104, v110, v73 op_sel:[0,1,0]
	v_pk_fma_f16 v74, v104, v111, v74 op_sel_hi:[1,0,1]
	v_pk_fma_f16 v7, v114, v112, v7 op_sel_hi:[1,0,1]
	v_pk_fma_f16 v10, v114, v112, v10 op_sel:[0,1,0]
	v_pk_fma_f16 v11, v114, v113, v11 op_sel_hi:[1,0,1]
	v_pk_fma_f16 v68, v115, v112, v68 op_sel:[0,1,0]
	v_pk_fma_f16 v69, v115, v113, v69 op_sel_hi:[1,0,1]
	v_pk_fma_f16 v70, v116, v112, v70 op_sel_hi:[1,0,1]
	v_pk_fma_f16 v75, v116, v112, v75 op_sel:[0,1,0]
	v_pk_fma_f16 v76, v116, v113, v76 op_sel_hi:[1,0,1]
	;; [unrolled: 3-line block ×3, first 2 shown]
	v_pk_fma_f16 v60, v134, v149, v60 op_sel:[0,1,0]
	v_pk_fma_f16 v61, v135, v149, v61 op_sel:[0,1,0]
	;; [unrolled: 1-line block ×4, first 2 shown]
	v_pk_fma_f16 v63, v139, v150, v63 op_sel_hi:[1,0,1]
	v_pk_fma_f16 v57, v139, v151, v57 op_sel:[0,1,0]
	v_pk_fma_f16 v58, v140, v151, v58 op_sel:[0,1,0]
	;; [unrolled: 1-line block ×3, first 2 shown]
	v_pk_fma_f16 v72, v118, v112, v72 op_sel_hi:[1,0,1]
	v_pk_fma_f16 v65, v119, v112, v65 op_sel_hi:[1,0,1]
	v_pk_fma_f16 v8, v119, v112, v8 op_sel:[0,1,0]
	v_pk_fma_f16 v9, v119, v113, v9 op_sel_hi:[1,0,1]
	v_pk_fma_f16 v66, v120, v112, v66 op_sel_hi:[1,0,1]
	v_pk_fma_f16 v67, v121, v112, v67 op_sel_hi:[1,0,1]
	v_pk_fma_f16 v4, v121, v112, v4 op_sel:[0,1,0]
	v_pk_fma_f16 v6, v121, v113, v6 op_sel_hi:[1,0,1]
	v_pk_fma_f16 v5, v121, v113, v5 op_sel:[0,1,0]
	v_pk_fma_f16 v79, v94, v108, v79 op_sel:[0,1,0]
	v_pk_fma_f16 v80, v94, v109, v80 op_sel_hi:[1,0,1]
	v_pk_fma_f16 v73, v120, v112, v73 op_sel:[0,1,0]
	v_pk_fma_f16 v74, v120, v113, v74 op_sel_hi:[1,0,1]
	v_pk_fma_f16 v7, v122, v146, v7 op_sel_hi:[1,0,1]
	v_pk_fma_f16 v10, v122, v146, v10 op_sel:[0,1,0]
	v_pk_fma_f16 v11, v122, v147, v11 op_sel_hi:[1,0,1]
	v_pk_fma_f16 v68, v123, v146, v68 op_sel:[0,1,0]
	v_pk_fma_f16 v69, v123, v147, v69 op_sel_hi:[1,0,1]
	v_pk_fma_f16 v70, v124, v146, v70 op_sel_hi:[1,0,1]
	v_pk_fma_f16 v75, v124, v146, v75 op_sel:[0,1,0]
	v_pk_fma_f16 v76, v124, v147, v76 op_sel_hi:[1,0,1]
	;; [unrolled: 3-line block ×3, first 2 shown]
	v_pk_fma_f16 v84, v142, v151, v60 op_sel:[0,1,0]
	v_pk_fma_f16 v86, v143, v151, v61 op_sel:[0,1,0]
	;; [unrolled: 1-line block ×4, first 2 shown]
	v_pk_fma_f16 v92, v155, v152, v63 op_sel_hi:[1,0,1]
	v_pk_fma_f16 v95, v155, v153, v57 op_sel:[0,1,0]
	v_pk_fma_f16 v97, v156, v153, v58 op_sel:[0,1,0]
	;; [unrolled: 1-line block ×3, first 2 shown]
	s_waitcnt vmcnt(3)
	ds_store_b128 v43, v[162:165]
	s_waitcnt vmcnt(2)
	ds_store_b128 v44, v[166:169]
	;; [unrolled: 2-line block ×4, first 2 shown]
	s_waitcnt lgkmcnt(0)
	s_barrier
	buffer_gl0_inv
	ds_load_2addr_b64 v[56:59], v64 offset1:32
	ds_load_b128 v[60:63], v41 offset:384
	v_pk_fma_f16 v72, v126, v146, v72 op_sel_hi:[1,0,1]
	v_pk_fma_f16 v65, v127, v146, v65 op_sel_hi:[1,0,1]
	v_pk_fma_f16 v8, v127, v146, v8 op_sel:[0,1,0]
	v_pk_fma_f16 v9, v127, v147, v9 op_sel_hi:[1,0,1]
	v_pk_fma_f16 v66, v128, v146, v66 op_sel_hi:[1,0,1]
	v_pk_fma_f16 v67, v129, v146, v67 op_sel_hi:[1,0,1]
	v_pk_fma_f16 v4, v129, v146, v4 op_sel:[0,1,0]
	v_pk_fma_f16 v6, v129, v147, v6 op_sel_hi:[1,0,1]
	v_pk_fma_f16 v5, v129, v147, v5 op_sel:[0,1,0]
	v_pk_fma_f16 v79, v102, v110, v79 op_sel:[0,1,0]
	v_pk_fma_f16 v80, v102, v111, v80 op_sel_hi:[1,0,1]
	v_pk_fma_f16 v73, v128, v146, v73 op_sel:[0,1,0]
	v_pk_fma_f16 v74, v128, v147, v74 op_sel_hi:[1,0,1]
	v_pk_fma_f16 v7, v130, v148, v7 op_sel_hi:[1,0,1]
	v_pk_fma_f16 v10, v130, v148, v10 op_sel:[0,1,0]
	v_pk_fma_f16 v11, v130, v149, v11 op_sel_hi:[1,0,1]
	v_pk_fma_f16 v68, v131, v148, v68 op_sel:[0,1,0]
	v_pk_fma_f16 v69, v131, v149, v69 op_sel_hi:[1,0,1]
	v_pk_fma_f16 v70, v132, v148, v70 op_sel_hi:[1,0,1]
	v_pk_fma_f16 v75, v132, v148, v75 op_sel:[0,1,0]
	v_pk_fma_f16 v76, v132, v149, v76 op_sel_hi:[1,0,1]
	v_pk_fma_f16 v71, v133, v148, v71 op_sel_hi:[1,0,1]
	v_pk_fma_f16 v77, v133, v148, v77 op_sel:[0,1,0]
	v_pk_fma_f16 v78, v133, v149, v78 op_sel_hi:[1,0,1]
	v_pk_fma_f16 v72, v134, v148, v72 op_sel_hi:[1,0,1]
	v_pk_fma_f16 v65, v135, v148, v65 op_sel_hi:[1,0,1]
	v_pk_fma_f16 v8, v135, v148, v8 op_sel:[0,1,0]
	v_pk_fma_f16 v9, v135, v149, v9 op_sel_hi:[1,0,1]
	v_pk_fma_f16 v66, v136, v148, v66 op_sel_hi:[1,0,1]
	v_pk_fma_f16 v67, v137, v148, v67 op_sel_hi:[1,0,1]
	v_pk_fma_f16 v4, v137, v148, v4 op_sel:[0,1,0]
	v_pk_fma_f16 v6, v137, v149, v6 op_sel_hi:[1,0,1]
	v_pk_fma_f16 v5, v137, v149, v5 op_sel:[0,1,0]
	v_pk_fma_f16 v79, v118, v112, v79 op_sel:[0,1,0]
	v_pk_fma_f16 v80, v118, v113, v80 op_sel_hi:[1,0,1]
	v_pk_fma_f16 v73, v136, v148, v73 op_sel:[0,1,0]
	v_pk_fma_f16 v74, v136, v149, v74 op_sel_hi:[1,0,1]
	v_pk_fma_f16 v7, v138, v150, v7 op_sel_hi:[1,0,1]
	v_pk_fma_f16 v10, v138, v150, v10 op_sel:[0,1,0]
	v_pk_fma_f16 v11, v138, v151, v11 op_sel_hi:[1,0,1]
	v_pk_fma_f16 v68, v139, v150, v68 op_sel:[0,1,0]
	v_pk_fma_f16 v69, v139, v151, v69 op_sel_hi:[1,0,1]
	v_pk_fma_f16 v70, v140, v150, v70 op_sel_hi:[1,0,1]
	v_pk_fma_f16 v75, v140, v150, v75 op_sel:[0,1,0]
	v_pk_fma_f16 v76, v140, v151, v76 op_sel_hi:[1,0,1]
	v_pk_fma_f16 v71, v141, v150, v71 op_sel_hi:[1,0,1]
	v_pk_fma_f16 v77, v141, v150, v77 op_sel:[0,1,0]
	v_pk_fma_f16 v78, v141, v151, v78 op_sel_hi:[1,0,1]
	;; [unrolled: 24-line block ×3, first 2 shown]
	v_pk_fma_f16 v100, v158, v152, v72 op_sel_hi:[1,0,1]
	v_pk_fma_f16 v101, v159, v152, v65 op_sel_hi:[1,0,1]
	v_pk_fma_f16 v102, v159, v152, v8 op_sel:[0,1,0]
	v_pk_fma_f16 v103, v159, v153, v9 op_sel_hi:[1,0,1]
	v_pk_fma_f16 v104, v160, v152, v66 op_sel_hi:[1,0,1]
	;; [unrolled: 1-line block ×3, first 2 shown]
	v_pk_fma_f16 v108, v161, v152, v4 op_sel:[0,1,0]
	v_pk_fma_f16 v109, v161, v153, v6 op_sel_hi:[1,0,1]
	v_pk_fma_f16 v110, v161, v153, v5 op_sel:[0,1,0]
	ds_load_2addr_b64 v[65:68], v64 offset0:64 offset1:96
	ds_load_b128 v[69:72], v41 offset:400
	ds_load_b128 v[8:11], v41 offset:416
	;; [unrolled: 1-line block ×3, first 2 shown]
	v_pk_fma_f16 v79, v134, v148, v79 op_sel:[0,1,0]
	v_pk_fma_f16 v80, v134, v149, v80 op_sel_hi:[1,0,1]
	v_pk_fma_f16 v105, v160, v152, v73 op_sel:[0,1,0]
	v_pk_fma_f16 v106, v160, v153, v74 op_sel_hi:[1,0,1]
	s_waitcnt lgkmcnt(4)
	v_pk_fma_f16 v88, v56, v60, v88 op_sel_hi:[1,0,1]
	v_pk_fma_f16 v89, v56, v60, v89 op_sel:[0,1,0]
	v_pk_fma_f16 v90, v56, v61, v90 op_sel_hi:[1,0,1]
	v_pk_fma_f16 v91, v56, v61, v91 op_sel:[0,1,0]
	;; [unrolled: 2-line block ×7, first 2 shown]
	ds_load_2addr_b64 v[73:76], v64 offset0:128 offset1:160
	v_pk_fma_f16 v78, v59, v61, v78 op_sel_hi:[1,0,1]
	v_pk_fma_f16 v99, v59, v61, v99 op_sel:[0,1,0]
	ds_load_2addr_b64 v[56:59], v64 offset0:192 offset1:224
	v_pk_fma_f16 v79, v142, v150, v79 op_sel:[0,1,0]
	v_pk_fma_f16 v80, v142, v151, v80 op_sel_hi:[1,0,1]
	v_pk_fma_f16 v84, v158, v153, v84 op_sel:[0,1,0]
	v_pk_fma_f16 v86, v159, v153, v86 op_sel:[0,1,0]
	;; [unrolled: 1-line block ×4, first 2 shown]
	v_pk_fma_f16 v80, v158, v153, v80 op_sel_hi:[1,0,1]
	s_waitcnt lgkmcnt(5)
	v_pk_fma_f16 v100, v65, v60, v100 op_sel_hi:[1,0,1]
	v_pk_fma_f16 v84, v65, v61, v84 op_sel:[0,1,0]
	v_pk_fma_f16 v101, v66, v60, v101 op_sel_hi:[1,0,1]
	v_pk_fma_f16 v79, v65, v60, v79 op_sel:[0,1,0]
	;; [unrolled: 2-line block ×8, first 2 shown]
	ds_load_2addr_b64 v[65:68], v53 offset1:32
	s_waitcnt lgkmcnt(2)
	v_pk_fma_f16 v88, v73, v62, v88 op_sel_hi:[1,0,1]
	v_pk_fma_f16 v89, v73, v62, v89 op_sel:[0,1,0]
	v_pk_fma_f16 v90, v73, v63, v90 op_sel_hi:[1,0,1]
	v_pk_fma_f16 v91, v73, v63, v91 op_sel:[0,1,0]
	;; [unrolled: 2-line block ×8, first 2 shown]
	s_waitcnt lgkmcnt(1)
	v_pk_fma_f16 v100, v56, v62, v100 op_sel_hi:[1,0,1]
	v_pk_fma_f16 v79, v56, v62, v79 op_sel:[0,1,0]
	v_pk_fma_f16 v80, v56, v63, v80 op_sel_hi:[1,0,1]
	v_pk_fma_f16 v84, v56, v63, v84 op_sel:[0,1,0]
	;; [unrolled: 2-line block ×7, first 2 shown]
	ds_load_2addr_b64 v[73:76], v53 offset0:64 offset1:96
	v_pk_fma_f16 v108, v59, v63, v108 op_sel_hi:[1,0,1]
	v_pk_fma_f16 v111, v59, v63, v61 op_sel:[0,1,0]
	ds_load_2addr_b64 v[56:59], v53 offset0:128 offset1:160
	s_waitcnt lgkmcnt(2)
	v_pk_fma_f16 v88, v65, v69, v88 op_sel_hi:[1,0,1]
	v_pk_fma_f16 v89, v65, v69, v89 op_sel:[0,1,0]
	v_pk_fma_f16 v90, v65, v70, v90 op_sel_hi:[1,0,1]
	v_pk_fma_f16 v65, v65, v70, v91 op_sel:[0,1,0]
	;; [unrolled: 2-line block ×8, first 2 shown]
	s_waitcnt lgkmcnt(1)
	v_pk_fma_f16 v99, v73, v69, v100 op_sel_hi:[1,0,1]
	v_pk_fma_f16 v79, v73, v69, v79 op_sel:[0,1,0]
	v_pk_fma_f16 v80, v73, v70, v80 op_sel_hi:[1,0,1]
	v_pk_fma_f16 v73, v73, v70, v84 op_sel:[0,1,0]
	;; [unrolled: 2-line block ×7, first 2 shown]
	ds_load_2addr_b64 v[60:63], v53 offset0:192 offset1:224
	v_pk_fma_f16 v104, v76, v70, v108 op_sel_hi:[1,0,1]
	v_pk_fma_f16 v70, v76, v70, v111 op_sel:[0,1,0]
	s_waitcnt lgkmcnt(1)
	v_pk_fma_f16 v76, v56, v71, v88 op_sel_hi:[1,0,1]
	v_pk_fma_f16 v88, v56, v71, v89 op_sel:[0,1,0]
	v_pk_fma_f16 v89, v56, v72, v90 op_sel_hi:[1,0,1]
	v_pk_fma_f16 v90, v56, v72, v65 op_sel:[0,1,0]
	v_pk_fma_f16 v105, v57, v72, v66 op_sel:[0,1,0]
	;; [unrolled: 1-line block ×3, first 2 shown]
	ds_load_2addr_b64 v[65:68], v54 offset1:32
	v_pk_fma_f16 v91, v57, v71, v91 op_sel_hi:[1,0,1]
	v_pk_fma_f16 v92, v57, v71, v92 op_sel:[0,1,0]
	v_pk_fma_f16 v93, v57, v72, v93 op_sel_hi:[1,0,1]
	v_pk_fma_f16 v94, v58, v71, v94 op_sel_hi:[1,0,1]
	v_pk_fma_f16 v95, v58, v71, v95 op_sel:[0,1,0]
	v_pk_fma_f16 v96, v58, v72, v96 op_sel_hi:[1,0,1]
	;; [unrolled: 3-line block ×3, first 2 shown]
	v_pk_fma_f16 v98, v59, v72, v98 op_sel:[0,1,0]
	ds_load_2addr_b64 v[56:59], v54 offset0:64 offset1:96
	s_or_b32 s8, s3, 64
	s_waitcnt lgkmcnt(2)
	v_pk_fma_f16 v99, v60, v71, v99 op_sel_hi:[1,0,1]
	v_pk_fma_f16 v79, v60, v71, v79 op_sel:[0,1,0]
	v_pk_fma_f16 v80, v60, v72, v80 op_sel_hi:[1,0,1]
	v_pk_fma_f16 v73, v60, v72, v73 op_sel:[0,1,0]
	;; [unrolled: 2-line block ×8, first 2 shown]
	s_waitcnt lgkmcnt(1)
	v_pk_fma_f16 v72, v65, v8, v76 op_sel_hi:[1,0,1]
	v_pk_fma_f16 v76, v65, v8, v88 op_sel:[0,1,0]
	v_pk_fma_f16 v88, v65, v9, v89 op_sel_hi:[1,0,1]
	v_pk_fma_f16 v89, v65, v9, v90 op_sel:[0,1,0]
	;; [unrolled: 2-line block ×7, first 2 shown]
	ds_load_2addr_b64 v[60:63], v54 offset0:128 offset1:160
	v_pk_fma_f16 v78, v68, v9, v78 op_sel_hi:[1,0,1]
	v_pk_fma_f16 v98, v68, v9, v98 op_sel:[0,1,0]
	ds_load_2addr_b64 v[65:68], v54 offset0:192 offset1:224
	s_mul_hi_i32 s21, s8, s10
	s_mul_i32 s20, s8, s10
	s_waitcnt lgkmcnt(2)
	v_pk_fma_f16 v99, v56, v8, v99 op_sel_hi:[1,0,1]
	s_lshl_b64 s[20:21], s[20:21], 2
	v_pk_fma_f16 v79, v56, v8, v79 op_sel:[0,1,0]
	s_add_u32 s8, s11, s20
	v_pk_fma_f16 v80, v56, v9, v80 op_sel_hi:[1,0,1]
	v_pk_fma_f16 v56, v56, v9, v73 op_sel:[0,1,0]
	v_pk_fma_f16 v73, v57, v8, v84 op_sel_hi:[1,0,1]
	v_pk_fma_f16 v84, v57, v8, v100 op_sel:[0,1,0]
	;; [unrolled: 2-line block ×4, first 2 shown]
	s_addc_u32 s20, s17, s21
	v_add_co_u32 v8, vcc_lo, s8, v27
	v_pk_fma_f16 v178, v57, v9, v101 op_sel_hi:[1,0,1]
	v_pk_fma_f16 v179, v57, v9, v74 op_sel:[0,1,0]
	v_pk_fma_f16 v182, v58, v9, v103 op_sel_hi:[1,0,1]
	v_pk_fma_f16 v183, v58, v9, v75 op_sel:[0,1,0]
	;; [unrolled: 2-line block ×3, first 2 shown]
	v_add_co_ci_u32_e32 v9, vcc_lo, s20, v28, vcc_lo
	v_add_co_u32 v162, vcc_lo, s8, v29
	v_add_co_ci_u32_e32 v163, vcc_lo, s20, v30, vcc_lo
	v_add_co_u32 v8, vcc_lo, v8, v39
	s_delay_alu instid0(VALU_DEP_4) | instskip(NEXT) | instid1(VALU_DEP_4)
	v_add_co_ci_u32_e32 v9, vcc_lo, 0, v9, vcc_lo
	v_add_co_u32 v174, vcc_lo, v162, v39
	s_delay_alu instid0(VALU_DEP_4)
	v_add_co_ci_u32_e32 v175, vcc_lo, 0, v163, vcc_lo
	s_waitcnt lgkmcnt(1)
	v_pk_fma_f16 v188, v60, v10, v72 op_sel_hi:[1,0,1]
	v_pk_fma_f16 v189, v60, v10, v76 op_sel:[0,1,0]
	v_pk_fma_f16 v190, v60, v11, v88 op_sel_hi:[1,0,1]
	v_pk_fma_f16 v191, v60, v11, v89 op_sel:[0,1,0]
	;; [unrolled: 2-line block ×8, first 2 shown]
	s_waitcnt lgkmcnt(0)
	v_pk_fma_f16 v204, v65, v10, v99 op_sel_hi:[1,0,1]
	v_pk_fma_f16 v205, v65, v10, v79 op_sel:[0,1,0]
	v_pk_fma_f16 v206, v65, v11, v80 op_sel_hi:[1,0,1]
	v_pk_fma_f16 v65, v65, v11, v56 op_sel:[0,1,0]
	v_pk_fma_f16 v207, v66, v10, v73 op_sel_hi:[1,0,1]
	ds_load_2addr_b64 v[56:59], v55 offset1:32
	ds_load_2addr_b64 v[60:63], v55 offset0:64 offset1:96
	ds_load_2addr_b64 v[69:72], v55 offset0:128 offset1:160
	;; [unrolled: 1-line block ×3, first 2 shown]
	ds_load_2addr_b64 v[77:80], v52 offset1:32
	ds_load_2addr_b64 v[86:89], v52 offset0:64 offset1:96
	ds_load_2addr_b64 v[90:93], v52 offset0:128 offset1:160
	;; [unrolled: 1-line block ×3, first 2 shown]
	ds_load_2addr_b64 v[98:101], v51 offset1:32
	ds_load_2addr_b64 v[102:105], v51 offset0:64 offset1:96
	ds_load_b128 v[106:109], v41 offset:448
	ds_load_b128 v[110:113], v41 offset:464
	ds_load_2addr_b64 v[114:117], v51 offset0:128 offset1:160
	ds_load_2addr_b64 v[118:121], v51 offset0:192 offset1:224
	ds_load_2addr_b64 v[122:125], v49 offset1:32
	ds_load_2addr_b64 v[126:129], v49 offset0:64 offset1:96
	ds_load_2addr_b64 v[130:133], v49 offset0:128 offset1:160
	;; [unrolled: 1-line block ×3, first 2 shown]
	ds_load_2addr_b64 v[138:141], v48 offset1:32
	ds_load_2addr_b64 v[142:145], v48 offset0:64 offset1:96
	ds_load_b128 v[146:149], v41 offset:480
	ds_load_b128 v[150:153], v41 offset:496
	ds_load_2addr_b64 v[154:157], v48 offset0:128 offset1:160
	ds_load_2addr_b64 v[158:161], v48 offset0:192 offset1:224
	s_waitcnt lgkmcnt(0)
	s_barrier
	buffer_gl0_inv
	s_clause 0x3
	global_load_b128 v[162:165], v[8:9], off
	global_load_b128 v[166:169], v[8:9], off offset:512
	global_load_b128 v[170:173], v[174:175], off
	global_load_b128 v[174:177], v[174:175], off offset:512
	v_pk_fma_f16 v8, v66, v10, v84 op_sel:[0,1,0]
	v_pk_fma_f16 v9, v66, v11, v178 op_sel_hi:[1,0,1]
	v_pk_fma_f16 v66, v66, v11, v179 op_sel:[0,1,0]
	v_pk_fma_f16 v84, v67, v10, v180 op_sel_hi:[1,0,1]
	;; [unrolled: 2-line block ×24, first 2 shown]
	v_pk_fma_f16 v57, v70, v7, v57 op_sel:[0,1,0]
	v_pk_fma_f16 v58, v71, v7, v58 op_sel:[0,1,0]
	v_pk_fma_f16 v59, v72, v7, v59 op_sel:[0,1,0]
	v_pk_fma_f16 v179, v70, v6, v185 op_sel:[0,1,0]
	v_pk_fma_f16 v180, v70, v7, v186 op_sel_hi:[1,0,1]
	v_pk_fma_f16 v70, v71, v6, v187 op_sel_hi:[1,0,1]
	v_pk_fma_f16 v181, v71, v6, v188 op_sel:[0,1,0]
	v_pk_fma_f16 v182, v71, v7, v189 op_sel_hi:[1,0,1]
	v_pk_fma_f16 v71, v72, v6, v190 op_sel_hi:[1,0,1]
	v_pk_fma_f16 v183, v72, v6, v191 op_sel:[0,1,0]
	;; [unrolled: 3-line block ×3, first 2 shown]
	v_pk_fma_f16 v186, v73, v7, v195 op_sel_hi:[1,0,1]
	v_pk_fma_f16 v60, v73, v7, v60 op_sel:[0,1,0]
	v_pk_fma_f16 v65, v74, v6, v65 op_sel_hi:[1,0,1]
	v_pk_fma_f16 v8, v74, v6, v8 op_sel:[0,1,0]
	v_pk_fma_f16 v61, v74, v7, v61 op_sel:[0,1,0]
	v_pk_fma_f16 v66, v75, v6, v66 op_sel_hi:[1,0,1]
	v_pk_fma_f16 v73, v75, v6, v84 op_sel:[0,1,0]
	;; [unrolled: 3-line block ×3, first 2 shown]
	v_pk_fma_f16 v6, v76, v7, v10 op_sel_hi:[1,0,1]
	v_pk_fma_f16 v10, v77, v106, v63 op_sel:[0,1,0]
	v_pk_fma_f16 v56, v77, v107, v56 op_sel:[0,1,0]
	v_pk_fma_f16 v63, v78, v106, v69 op_sel_hi:[1,0,1]
	v_pk_fma_f16 v57, v78, v107, v57 op_sel:[0,1,0]
	v_pk_fma_f16 v58, v79, v107, v58 op_sel:[0,1,0]
	;; [unrolled: 1-line block ×7, first 2 shown]
	v_pk_fma_f16 v63, v91, v108, v63 op_sel_hi:[1,0,1]
	v_pk_fma_f16 v57, v91, v109, v57 op_sel:[0,1,0]
	v_pk_fma_f16 v58, v92, v109, v58 op_sel:[0,1,0]
	v_pk_fma_f16 v59, v93, v109, v59 op_sel:[0,1,0]
	v_pk_fma_f16 v60, v94, v109, v60 op_sel:[0,1,0]
	v_pk_fma_f16 v61, v95, v109, v61 op_sel:[0,1,0]
	v_pk_fma_f16 v62, v96, v109, v62 op_sel:[0,1,0]
	v_pk_fma_f16 v56, v98, v111, v56 op_sel:[0,1,0]
	v_pk_fma_f16 v63, v99, v110, v63 op_sel_hi:[1,0,1]
	v_pk_fma_f16 v57, v99, v111, v57 op_sel:[0,1,0]
	v_pk_fma_f16 v58, v100, v111, v58 op_sel:[0,1,0]
	;; [unrolled: 1-line block ×3, first 2 shown]
	v_pk_fma_f16 v9, v74, v7, v9 op_sel_hi:[1,0,1]
	v_pk_fma_f16 v5, v76, v7, v5 op_sel:[0,1,0]
	v_pk_fma_f16 v74, v75, v7, v178 op_sel_hi:[1,0,1]
	v_pk_fma_f16 v7, v77, v106, v11 op_sel_hi:[1,0,1]
	;; [unrolled: 1-line block ×3, first 2 shown]
	v_pk_fma_f16 v68, v78, v106, v179 op_sel:[0,1,0]
	v_pk_fma_f16 v69, v78, v107, v180 op_sel_hi:[1,0,1]
	v_pk_fma_f16 v70, v79, v106, v70 op_sel_hi:[1,0,1]
	v_pk_fma_f16 v75, v79, v106, v181 op_sel:[0,1,0]
	v_pk_fma_f16 v76, v79, v107, v182 op_sel_hi:[1,0,1]
	v_pk_fma_f16 v71, v80, v106, v71 op_sel_hi:[1,0,1]
	v_pk_fma_f16 v77, v80, v106, v183 op_sel:[0,1,0]
	v_pk_fma_f16 v78, v80, v107, v184 op_sel_hi:[1,0,1]
	v_pk_fma_f16 v60, v102, v111, v60 op_sel:[0,1,0]
	v_pk_fma_f16 v61, v103, v111, v61 op_sel:[0,1,0]
	;; [unrolled: 1-line block ×4, first 2 shown]
	v_pk_fma_f16 v63, v115, v112, v63 op_sel_hi:[1,0,1]
	v_pk_fma_f16 v57, v115, v113, v57 op_sel:[0,1,0]
	v_pk_fma_f16 v58, v116, v113, v58 op_sel:[0,1,0]
	;; [unrolled: 1-line block ×3, first 2 shown]
	v_pk_fma_f16 v72, v86, v106, v72 op_sel_hi:[1,0,1]
	v_pk_fma_f16 v65, v87, v106, v65 op_sel_hi:[1,0,1]
	v_pk_fma_f16 v8, v87, v106, v8 op_sel:[0,1,0]
	v_pk_fma_f16 v9, v87, v107, v9 op_sel_hi:[1,0,1]
	v_pk_fma_f16 v66, v88, v106, v66 op_sel_hi:[1,0,1]
	;; [unrolled: 1-line block ×3, first 2 shown]
	v_pk_fma_f16 v4, v89, v106, v4 op_sel:[0,1,0]
	v_pk_fma_f16 v6, v89, v107, v6 op_sel_hi:[1,0,1]
	v_pk_fma_f16 v5, v89, v107, v5 op_sel:[0,1,0]
	v_pk_fma_f16 v73, v88, v106, v73 op_sel:[0,1,0]
	v_pk_fma_f16 v74, v88, v107, v74 op_sel_hi:[1,0,1]
	v_pk_fma_f16 v7, v90, v108, v7 op_sel_hi:[1,0,1]
	v_pk_fma_f16 v10, v90, v108, v10 op_sel:[0,1,0]
	v_pk_fma_f16 v11, v90, v109, v11 op_sel_hi:[1,0,1]
	v_pk_fma_f16 v68, v91, v108, v68 op_sel:[0,1,0]
	v_pk_fma_f16 v69, v91, v109, v69 op_sel_hi:[1,0,1]
	v_pk_fma_f16 v70, v92, v108, v70 op_sel_hi:[1,0,1]
	v_pk_fma_f16 v75, v92, v108, v75 op_sel:[0,1,0]
	v_pk_fma_f16 v76, v92, v109, v76 op_sel_hi:[1,0,1]
	;; [unrolled: 3-line block ×3, first 2 shown]
	v_pk_fma_f16 v60, v118, v113, v60 op_sel:[0,1,0]
	v_pk_fma_f16 v61, v119, v113, v61 op_sel:[0,1,0]
	;; [unrolled: 1-line block ×4, first 2 shown]
	v_pk_fma_f16 v63, v123, v146, v63 op_sel_hi:[1,0,1]
	v_pk_fma_f16 v57, v123, v147, v57 op_sel:[0,1,0]
	v_pk_fma_f16 v58, v124, v147, v58 op_sel:[0,1,0]
	;; [unrolled: 1-line block ×3, first 2 shown]
	v_pk_fma_f16 v72, v94, v108, v72 op_sel_hi:[1,0,1]
	v_pk_fma_f16 v65, v95, v108, v65 op_sel_hi:[1,0,1]
	v_pk_fma_f16 v8, v95, v108, v8 op_sel:[0,1,0]
	v_pk_fma_f16 v9, v95, v109, v9 op_sel_hi:[1,0,1]
	v_pk_fma_f16 v66, v96, v108, v66 op_sel_hi:[1,0,1]
	v_pk_fma_f16 v67, v97, v108, v67 op_sel_hi:[1,0,1]
	v_pk_fma_f16 v4, v97, v108, v4 op_sel:[0,1,0]
	v_pk_fma_f16 v6, v97, v109, v6 op_sel_hi:[1,0,1]
	v_pk_fma_f16 v5, v97, v109, v5 op_sel:[0,1,0]
	v_pk_fma_f16 v73, v96, v108, v73 op_sel:[0,1,0]
	v_pk_fma_f16 v74, v96, v109, v74 op_sel_hi:[1,0,1]
	v_pk_fma_f16 v7, v98, v110, v7 op_sel_hi:[1,0,1]
	v_pk_fma_f16 v10, v98, v110, v10 op_sel:[0,1,0]
	v_pk_fma_f16 v11, v98, v111, v11 op_sel_hi:[1,0,1]
	v_pk_fma_f16 v68, v99, v110, v68 op_sel:[0,1,0]
	v_pk_fma_f16 v69, v99, v111, v69 op_sel_hi:[1,0,1]
	v_pk_fma_f16 v70, v100, v110, v70 op_sel_hi:[1,0,1]
	v_pk_fma_f16 v75, v100, v110, v75 op_sel:[0,1,0]
	v_pk_fma_f16 v76, v100, v111, v76 op_sel_hi:[1,0,1]
	;; [unrolled: 3-line block ×3, first 2 shown]
	v_pk_fma_f16 v60, v126, v147, v60 op_sel:[0,1,0]
	v_pk_fma_f16 v61, v127, v147, v61 op_sel:[0,1,0]
	;; [unrolled: 1-line block ×4, first 2 shown]
	v_pk_fma_f16 v63, v131, v148, v63 op_sel_hi:[1,0,1]
	v_pk_fma_f16 v57, v131, v149, v57 op_sel:[0,1,0]
	v_pk_fma_f16 v58, v132, v149, v58 op_sel:[0,1,0]
	;; [unrolled: 1-line block ×3, first 2 shown]
	v_pk_fma_f16 v72, v102, v110, v72 op_sel_hi:[1,0,1]
	v_pk_fma_f16 v65, v103, v110, v65 op_sel_hi:[1,0,1]
	v_pk_fma_f16 v8, v103, v110, v8 op_sel:[0,1,0]
	v_pk_fma_f16 v9, v103, v111, v9 op_sel_hi:[1,0,1]
	v_pk_fma_f16 v66, v104, v110, v66 op_sel_hi:[1,0,1]
	;; [unrolled: 1-line block ×3, first 2 shown]
	v_pk_fma_f16 v4, v105, v110, v4 op_sel:[0,1,0]
	v_pk_fma_f16 v6, v105, v111, v6 op_sel_hi:[1,0,1]
	v_pk_fma_f16 v5, v105, v111, v5 op_sel:[0,1,0]
	v_pk_fma_f16 v79, v86, v106, v185 op_sel:[0,1,0]
	v_pk_fma_f16 v80, v86, v107, v186 op_sel_hi:[1,0,1]
	v_pk_fma_f16 v73, v104, v110, v73 op_sel:[0,1,0]
	v_pk_fma_f16 v74, v104, v111, v74 op_sel_hi:[1,0,1]
	v_pk_fma_f16 v7, v114, v112, v7 op_sel_hi:[1,0,1]
	v_pk_fma_f16 v10, v114, v112, v10 op_sel:[0,1,0]
	v_pk_fma_f16 v11, v114, v113, v11 op_sel_hi:[1,0,1]
	v_pk_fma_f16 v68, v115, v112, v68 op_sel:[0,1,0]
	v_pk_fma_f16 v69, v115, v113, v69 op_sel_hi:[1,0,1]
	v_pk_fma_f16 v70, v116, v112, v70 op_sel_hi:[1,0,1]
	v_pk_fma_f16 v75, v116, v112, v75 op_sel:[0,1,0]
	v_pk_fma_f16 v76, v116, v113, v76 op_sel_hi:[1,0,1]
	;; [unrolled: 3-line block ×3, first 2 shown]
	v_pk_fma_f16 v60, v134, v149, v60 op_sel:[0,1,0]
	v_pk_fma_f16 v61, v135, v149, v61 op_sel:[0,1,0]
	v_pk_fma_f16 v62, v136, v149, v62 op_sel:[0,1,0]
	v_pk_fma_f16 v56, v138, v151, v56 op_sel:[0,1,0]
	v_pk_fma_f16 v63, v139, v150, v63 op_sel_hi:[1,0,1]
	v_pk_fma_f16 v57, v139, v151, v57 op_sel:[0,1,0]
	v_pk_fma_f16 v58, v140, v151, v58 op_sel:[0,1,0]
	;; [unrolled: 1-line block ×3, first 2 shown]
	v_pk_fma_f16 v72, v118, v112, v72 op_sel_hi:[1,0,1]
	v_pk_fma_f16 v65, v119, v112, v65 op_sel_hi:[1,0,1]
	v_pk_fma_f16 v8, v119, v112, v8 op_sel:[0,1,0]
	v_pk_fma_f16 v9, v119, v113, v9 op_sel_hi:[1,0,1]
	v_pk_fma_f16 v66, v120, v112, v66 op_sel_hi:[1,0,1]
	;; [unrolled: 1-line block ×3, first 2 shown]
	v_pk_fma_f16 v4, v121, v112, v4 op_sel:[0,1,0]
	v_pk_fma_f16 v6, v121, v113, v6 op_sel_hi:[1,0,1]
	v_pk_fma_f16 v5, v121, v113, v5 op_sel:[0,1,0]
	v_pk_fma_f16 v79, v94, v108, v79 op_sel:[0,1,0]
	v_pk_fma_f16 v80, v94, v109, v80 op_sel_hi:[1,0,1]
	v_pk_fma_f16 v73, v120, v112, v73 op_sel:[0,1,0]
	v_pk_fma_f16 v74, v120, v113, v74 op_sel_hi:[1,0,1]
	v_pk_fma_f16 v7, v122, v146, v7 op_sel_hi:[1,0,1]
	v_pk_fma_f16 v10, v122, v146, v10 op_sel:[0,1,0]
	v_pk_fma_f16 v11, v122, v147, v11 op_sel_hi:[1,0,1]
	v_pk_fma_f16 v68, v123, v146, v68 op_sel:[0,1,0]
	v_pk_fma_f16 v69, v123, v147, v69 op_sel_hi:[1,0,1]
	v_pk_fma_f16 v70, v124, v146, v70 op_sel_hi:[1,0,1]
	v_pk_fma_f16 v75, v124, v146, v75 op_sel:[0,1,0]
	v_pk_fma_f16 v76, v124, v147, v76 op_sel_hi:[1,0,1]
	v_pk_fma_f16 v71, v125, v146, v71 op_sel_hi:[1,0,1]
	v_pk_fma_f16 v77, v125, v146, v77 op_sel:[0,1,0]
	v_pk_fma_f16 v78, v125, v147, v78 op_sel_hi:[1,0,1]
	v_pk_fma_f16 v84, v142, v151, v60 op_sel:[0,1,0]
	v_pk_fma_f16 v86, v143, v151, v61 op_sel:[0,1,0]
	;; [unrolled: 1-line block ×4, first 2 shown]
	v_pk_fma_f16 v92, v155, v152, v63 op_sel_hi:[1,0,1]
	v_pk_fma_f16 v95, v155, v153, v57 op_sel:[0,1,0]
	v_pk_fma_f16 v97, v156, v153, v58 op_sel:[0,1,0]
	;; [unrolled: 1-line block ×3, first 2 shown]
	s_waitcnt vmcnt(3)
	ds_store_b128 v43, v[162:165]
	s_waitcnt vmcnt(2)
	ds_store_b128 v44, v[166:169]
	;; [unrolled: 2-line block ×4, first 2 shown]
	s_waitcnt lgkmcnt(0)
	s_barrier
	buffer_gl0_inv
	ds_load_2addr_b64 v[56:59], v64 offset1:32
	ds_load_b128 v[60:63], v41 offset:512
	v_pk_fma_f16 v72, v126, v146, v72 op_sel_hi:[1,0,1]
	v_pk_fma_f16 v65, v127, v146, v65 op_sel_hi:[1,0,1]
	v_pk_fma_f16 v8, v127, v146, v8 op_sel:[0,1,0]
	v_pk_fma_f16 v9, v127, v147, v9 op_sel_hi:[1,0,1]
	v_pk_fma_f16 v66, v128, v146, v66 op_sel_hi:[1,0,1]
	v_pk_fma_f16 v67, v129, v146, v67 op_sel_hi:[1,0,1]
	v_pk_fma_f16 v4, v129, v146, v4 op_sel:[0,1,0]
	v_pk_fma_f16 v6, v129, v147, v6 op_sel_hi:[1,0,1]
	v_pk_fma_f16 v5, v129, v147, v5 op_sel:[0,1,0]
	v_pk_fma_f16 v79, v102, v110, v79 op_sel:[0,1,0]
	v_pk_fma_f16 v80, v102, v111, v80 op_sel_hi:[1,0,1]
	v_pk_fma_f16 v73, v128, v146, v73 op_sel:[0,1,0]
	v_pk_fma_f16 v74, v128, v147, v74 op_sel_hi:[1,0,1]
	v_pk_fma_f16 v7, v130, v148, v7 op_sel_hi:[1,0,1]
	v_pk_fma_f16 v10, v130, v148, v10 op_sel:[0,1,0]
	v_pk_fma_f16 v11, v130, v149, v11 op_sel_hi:[1,0,1]
	v_pk_fma_f16 v68, v131, v148, v68 op_sel:[0,1,0]
	v_pk_fma_f16 v69, v131, v149, v69 op_sel_hi:[1,0,1]
	v_pk_fma_f16 v70, v132, v148, v70 op_sel_hi:[1,0,1]
	v_pk_fma_f16 v75, v132, v148, v75 op_sel:[0,1,0]
	v_pk_fma_f16 v76, v132, v149, v76 op_sel_hi:[1,0,1]
	v_pk_fma_f16 v71, v133, v148, v71 op_sel_hi:[1,0,1]
	v_pk_fma_f16 v77, v133, v148, v77 op_sel:[0,1,0]
	v_pk_fma_f16 v78, v133, v149, v78 op_sel_hi:[1,0,1]
	v_pk_fma_f16 v72, v134, v148, v72 op_sel_hi:[1,0,1]
	v_pk_fma_f16 v65, v135, v148, v65 op_sel_hi:[1,0,1]
	v_pk_fma_f16 v8, v135, v148, v8 op_sel:[0,1,0]
	v_pk_fma_f16 v9, v135, v149, v9 op_sel_hi:[1,0,1]
	v_pk_fma_f16 v66, v136, v148, v66 op_sel_hi:[1,0,1]
	v_pk_fma_f16 v67, v137, v148, v67 op_sel_hi:[1,0,1]
	v_pk_fma_f16 v4, v137, v148, v4 op_sel:[0,1,0]
	v_pk_fma_f16 v6, v137, v149, v6 op_sel_hi:[1,0,1]
	v_pk_fma_f16 v5, v137, v149, v5 op_sel:[0,1,0]
	v_pk_fma_f16 v79, v118, v112, v79 op_sel:[0,1,0]
	v_pk_fma_f16 v80, v118, v113, v80 op_sel_hi:[1,0,1]
	v_pk_fma_f16 v73, v136, v148, v73 op_sel:[0,1,0]
	v_pk_fma_f16 v74, v136, v149, v74 op_sel_hi:[1,0,1]
	v_pk_fma_f16 v7, v138, v150, v7 op_sel_hi:[1,0,1]
	v_pk_fma_f16 v10, v138, v150, v10 op_sel:[0,1,0]
	v_pk_fma_f16 v11, v138, v151, v11 op_sel_hi:[1,0,1]
	v_pk_fma_f16 v68, v139, v150, v68 op_sel:[0,1,0]
	v_pk_fma_f16 v69, v139, v151, v69 op_sel_hi:[1,0,1]
	v_pk_fma_f16 v70, v140, v150, v70 op_sel_hi:[1,0,1]
	v_pk_fma_f16 v75, v140, v150, v75 op_sel:[0,1,0]
	v_pk_fma_f16 v76, v140, v151, v76 op_sel_hi:[1,0,1]
	v_pk_fma_f16 v71, v141, v150, v71 op_sel_hi:[1,0,1]
	v_pk_fma_f16 v77, v141, v150, v77 op_sel:[0,1,0]
	v_pk_fma_f16 v78, v141, v151, v78 op_sel_hi:[1,0,1]
	;; [unrolled: 24-line block ×3, first 2 shown]
	v_pk_fma_f16 v100, v158, v152, v72 op_sel_hi:[1,0,1]
	v_pk_fma_f16 v101, v159, v152, v65 op_sel_hi:[1,0,1]
	v_pk_fma_f16 v102, v159, v152, v8 op_sel:[0,1,0]
	v_pk_fma_f16 v103, v159, v153, v9 op_sel_hi:[1,0,1]
	v_pk_fma_f16 v104, v160, v152, v66 op_sel_hi:[1,0,1]
	;; [unrolled: 1-line block ×3, first 2 shown]
	v_pk_fma_f16 v108, v161, v152, v4 op_sel:[0,1,0]
	v_pk_fma_f16 v109, v161, v153, v6 op_sel_hi:[1,0,1]
	v_pk_fma_f16 v110, v161, v153, v5 op_sel:[0,1,0]
	ds_load_2addr_b64 v[65:68], v64 offset0:64 offset1:96
	ds_load_b128 v[69:72], v41 offset:528
	ds_load_b128 v[8:11], v41 offset:544
	;; [unrolled: 1-line block ×3, first 2 shown]
	v_pk_fma_f16 v79, v134, v148, v79 op_sel:[0,1,0]
	v_pk_fma_f16 v80, v134, v149, v80 op_sel_hi:[1,0,1]
	v_pk_fma_f16 v105, v160, v152, v73 op_sel:[0,1,0]
	v_pk_fma_f16 v106, v160, v153, v74 op_sel_hi:[1,0,1]
	s_waitcnt lgkmcnt(4)
	v_pk_fma_f16 v88, v56, v60, v88 op_sel_hi:[1,0,1]
	v_pk_fma_f16 v89, v56, v60, v89 op_sel:[0,1,0]
	v_pk_fma_f16 v90, v56, v61, v90 op_sel_hi:[1,0,1]
	v_pk_fma_f16 v91, v56, v61, v91 op_sel:[0,1,0]
	;; [unrolled: 2-line block ×7, first 2 shown]
	ds_load_2addr_b64 v[73:76], v64 offset0:128 offset1:160
	v_pk_fma_f16 v78, v59, v61, v78 op_sel_hi:[1,0,1]
	v_pk_fma_f16 v99, v59, v61, v99 op_sel:[0,1,0]
	ds_load_2addr_b64 v[56:59], v64 offset0:192 offset1:224
	v_pk_fma_f16 v79, v142, v150, v79 op_sel:[0,1,0]
	v_pk_fma_f16 v80, v142, v151, v80 op_sel_hi:[1,0,1]
	v_pk_fma_f16 v84, v158, v153, v84 op_sel:[0,1,0]
	v_pk_fma_f16 v86, v159, v153, v86 op_sel:[0,1,0]
	;; [unrolled: 1-line block ×4, first 2 shown]
	v_pk_fma_f16 v80, v158, v153, v80 op_sel_hi:[1,0,1]
	s_waitcnt lgkmcnt(5)
	v_pk_fma_f16 v100, v65, v60, v100 op_sel_hi:[1,0,1]
	v_pk_fma_f16 v84, v65, v61, v84 op_sel:[0,1,0]
	v_pk_fma_f16 v101, v66, v60, v101 op_sel_hi:[1,0,1]
	v_pk_fma_f16 v79, v65, v60, v79 op_sel:[0,1,0]
	v_pk_fma_f16 v80, v65, v61, v80 op_sel_hi:[1,0,1]
	v_pk_fma_f16 v102, v66, v60, v102 op_sel:[0,1,0]
	v_pk_fma_f16 v103, v66, v61, v103 op_sel_hi:[1,0,1]
	v_pk_fma_f16 v86, v66, v61, v86 op_sel:[0,1,0]
	v_pk_fma_f16 v104, v67, v60, v104 op_sel_hi:[1,0,1]
	v_pk_fma_f16 v105, v67, v60, v105 op_sel:[0,1,0]
	v_pk_fma_f16 v106, v67, v61, v106 op_sel_hi:[1,0,1]
	v_pk_fma_f16 v87, v67, v61, v87 op_sel:[0,1,0]
	v_pk_fma_f16 v107, v68, v60, v107 op_sel_hi:[1,0,1]
	v_pk_fma_f16 v60, v68, v60, v108 op_sel:[0,1,0]
	v_pk_fma_f16 v108, v68, v61, v109 op_sel_hi:[1,0,1]
	v_pk_fma_f16 v61, v68, v61, v110 op_sel:[0,1,0]
	ds_load_2addr_b64 v[65:68], v53 offset1:32
	s_waitcnt lgkmcnt(2)
	v_pk_fma_f16 v88, v73, v62, v88 op_sel_hi:[1,0,1]
	v_pk_fma_f16 v89, v73, v62, v89 op_sel:[0,1,0]
	v_pk_fma_f16 v90, v73, v63, v90 op_sel_hi:[1,0,1]
	v_pk_fma_f16 v91, v73, v63, v91 op_sel:[0,1,0]
	;; [unrolled: 2-line block ×8, first 2 shown]
	s_waitcnt lgkmcnt(1)
	v_pk_fma_f16 v100, v56, v62, v100 op_sel_hi:[1,0,1]
	v_pk_fma_f16 v79, v56, v62, v79 op_sel:[0,1,0]
	v_pk_fma_f16 v80, v56, v63, v80 op_sel_hi:[1,0,1]
	v_pk_fma_f16 v84, v56, v63, v84 op_sel:[0,1,0]
	;; [unrolled: 2-line block ×7, first 2 shown]
	ds_load_2addr_b64 v[73:76], v53 offset0:64 offset1:96
	v_pk_fma_f16 v108, v59, v63, v108 op_sel_hi:[1,0,1]
	v_pk_fma_f16 v111, v59, v63, v61 op_sel:[0,1,0]
	ds_load_2addr_b64 v[56:59], v53 offset0:128 offset1:160
	s_waitcnt lgkmcnt(2)
	v_pk_fma_f16 v88, v65, v69, v88 op_sel_hi:[1,0,1]
	v_pk_fma_f16 v89, v65, v69, v89 op_sel:[0,1,0]
	v_pk_fma_f16 v90, v65, v70, v90 op_sel_hi:[1,0,1]
	v_pk_fma_f16 v65, v65, v70, v91 op_sel:[0,1,0]
	;; [unrolled: 2-line block ×8, first 2 shown]
	s_waitcnt lgkmcnt(1)
	v_pk_fma_f16 v99, v73, v69, v100 op_sel_hi:[1,0,1]
	v_pk_fma_f16 v79, v73, v69, v79 op_sel:[0,1,0]
	v_pk_fma_f16 v80, v73, v70, v80 op_sel_hi:[1,0,1]
	v_pk_fma_f16 v73, v73, v70, v84 op_sel:[0,1,0]
	;; [unrolled: 2-line block ×7, first 2 shown]
	ds_load_2addr_b64 v[60:63], v53 offset0:192 offset1:224
	v_pk_fma_f16 v104, v76, v70, v108 op_sel_hi:[1,0,1]
	v_pk_fma_f16 v70, v76, v70, v111 op_sel:[0,1,0]
	s_waitcnt lgkmcnt(1)
	v_pk_fma_f16 v76, v56, v71, v88 op_sel_hi:[1,0,1]
	v_pk_fma_f16 v88, v56, v71, v89 op_sel:[0,1,0]
	v_pk_fma_f16 v89, v56, v72, v90 op_sel_hi:[1,0,1]
	v_pk_fma_f16 v90, v56, v72, v65 op_sel:[0,1,0]
	v_pk_fma_f16 v105, v57, v72, v66 op_sel:[0,1,0]
	;; [unrolled: 1-line block ×3, first 2 shown]
	ds_load_2addr_b64 v[65:68], v54 offset1:32
	v_pk_fma_f16 v91, v57, v71, v91 op_sel_hi:[1,0,1]
	v_pk_fma_f16 v92, v57, v71, v92 op_sel:[0,1,0]
	v_pk_fma_f16 v93, v57, v72, v93 op_sel_hi:[1,0,1]
	v_pk_fma_f16 v94, v58, v71, v94 op_sel_hi:[1,0,1]
	v_pk_fma_f16 v95, v58, v71, v95 op_sel:[0,1,0]
	v_pk_fma_f16 v96, v58, v72, v96 op_sel_hi:[1,0,1]
	;; [unrolled: 3-line block ×3, first 2 shown]
	v_pk_fma_f16 v98, v59, v72, v98 op_sel:[0,1,0]
	ds_load_2addr_b64 v[56:59], v54 offset0:64 offset1:96
	s_or_b32 s8, s3, 0x50
	s_waitcnt lgkmcnt(2)
	v_pk_fma_f16 v99, v60, v71, v99 op_sel_hi:[1,0,1]
	v_pk_fma_f16 v79, v60, v71, v79 op_sel:[0,1,0]
	v_pk_fma_f16 v80, v60, v72, v80 op_sel_hi:[1,0,1]
	v_pk_fma_f16 v73, v60, v72, v73 op_sel:[0,1,0]
	;; [unrolled: 2-line block ×8, first 2 shown]
	s_waitcnt lgkmcnt(1)
	v_pk_fma_f16 v72, v65, v8, v76 op_sel_hi:[1,0,1]
	v_pk_fma_f16 v76, v65, v8, v88 op_sel:[0,1,0]
	v_pk_fma_f16 v88, v65, v9, v89 op_sel_hi:[1,0,1]
	v_pk_fma_f16 v89, v65, v9, v90 op_sel:[0,1,0]
	;; [unrolled: 2-line block ×7, first 2 shown]
	ds_load_2addr_b64 v[60:63], v54 offset0:128 offset1:160
	v_pk_fma_f16 v78, v68, v9, v78 op_sel_hi:[1,0,1]
	v_pk_fma_f16 v98, v68, v9, v98 op_sel:[0,1,0]
	ds_load_2addr_b64 v[65:68], v54 offset0:192 offset1:224
	s_mul_hi_i32 s21, s8, s10
	s_mul_i32 s20, s8, s10
	s_waitcnt lgkmcnt(2)
	v_pk_fma_f16 v99, v56, v8, v99 op_sel_hi:[1,0,1]
	s_lshl_b64 s[20:21], s[20:21], 2
	v_pk_fma_f16 v79, v56, v8, v79 op_sel:[0,1,0]
	s_add_u32 s8, s11, s20
	v_pk_fma_f16 v80, v56, v9, v80 op_sel_hi:[1,0,1]
	v_pk_fma_f16 v56, v56, v9, v73 op_sel:[0,1,0]
	v_pk_fma_f16 v73, v57, v8, v84 op_sel_hi:[1,0,1]
	v_pk_fma_f16 v84, v57, v8, v100 op_sel:[0,1,0]
	;; [unrolled: 2-line block ×4, first 2 shown]
	s_addc_u32 s20, s17, s21
	v_add_co_u32 v8, vcc_lo, s8, v27
	v_pk_fma_f16 v178, v57, v9, v101 op_sel_hi:[1,0,1]
	v_pk_fma_f16 v179, v57, v9, v74 op_sel:[0,1,0]
	v_pk_fma_f16 v182, v58, v9, v103 op_sel_hi:[1,0,1]
	v_pk_fma_f16 v183, v58, v9, v75 op_sel:[0,1,0]
	;; [unrolled: 2-line block ×3, first 2 shown]
	v_add_co_ci_u32_e32 v9, vcc_lo, s20, v28, vcc_lo
	v_add_co_u32 v162, vcc_lo, s8, v29
	v_add_co_ci_u32_e32 v163, vcc_lo, s20, v30, vcc_lo
	v_add_co_u32 v8, vcc_lo, v8, v39
	s_delay_alu instid0(VALU_DEP_4) | instskip(NEXT) | instid1(VALU_DEP_4)
	v_add_co_ci_u32_e32 v9, vcc_lo, 0, v9, vcc_lo
	v_add_co_u32 v174, vcc_lo, v162, v39
	s_delay_alu instid0(VALU_DEP_4)
	v_add_co_ci_u32_e32 v175, vcc_lo, 0, v163, vcc_lo
	s_waitcnt lgkmcnt(1)
	v_pk_fma_f16 v188, v60, v10, v72 op_sel_hi:[1,0,1]
	v_pk_fma_f16 v189, v60, v10, v76 op_sel:[0,1,0]
	v_pk_fma_f16 v190, v60, v11, v88 op_sel_hi:[1,0,1]
	v_pk_fma_f16 v191, v60, v11, v89 op_sel:[0,1,0]
	;; [unrolled: 2-line block ×8, first 2 shown]
	s_waitcnt lgkmcnt(0)
	v_pk_fma_f16 v204, v65, v10, v99 op_sel_hi:[1,0,1]
	v_pk_fma_f16 v205, v65, v10, v79 op_sel:[0,1,0]
	v_pk_fma_f16 v206, v65, v11, v80 op_sel_hi:[1,0,1]
	v_pk_fma_f16 v65, v65, v11, v56 op_sel:[0,1,0]
	v_pk_fma_f16 v207, v66, v10, v73 op_sel_hi:[1,0,1]
	ds_load_2addr_b64 v[56:59], v55 offset1:32
	ds_load_2addr_b64 v[60:63], v55 offset0:64 offset1:96
	ds_load_2addr_b64 v[69:72], v55 offset0:128 offset1:160
	;; [unrolled: 1-line block ×3, first 2 shown]
	ds_load_2addr_b64 v[77:80], v52 offset1:32
	ds_load_2addr_b64 v[86:89], v52 offset0:64 offset1:96
	ds_load_2addr_b64 v[90:93], v52 offset0:128 offset1:160
	;; [unrolled: 1-line block ×3, first 2 shown]
	ds_load_2addr_b64 v[98:101], v51 offset1:32
	ds_load_2addr_b64 v[102:105], v51 offset0:64 offset1:96
	ds_load_b128 v[106:109], v41 offset:576
	ds_load_b128 v[110:113], v41 offset:592
	ds_load_2addr_b64 v[114:117], v51 offset0:128 offset1:160
	ds_load_2addr_b64 v[118:121], v51 offset0:192 offset1:224
	ds_load_2addr_b64 v[122:125], v49 offset1:32
	ds_load_2addr_b64 v[126:129], v49 offset0:64 offset1:96
	ds_load_2addr_b64 v[130:133], v49 offset0:128 offset1:160
	ds_load_2addr_b64 v[134:137], v49 offset0:192 offset1:224
	ds_load_2addr_b64 v[138:141], v48 offset1:32
	ds_load_2addr_b64 v[142:145], v48 offset0:64 offset1:96
	ds_load_b128 v[146:149], v41 offset:608
	ds_load_b128 v[150:153], v41 offset:624
	ds_load_2addr_b64 v[154:157], v48 offset0:128 offset1:160
	ds_load_2addr_b64 v[158:161], v48 offset0:192 offset1:224
	s_waitcnt lgkmcnt(0)
	s_barrier
	buffer_gl0_inv
	s_clause 0x3
	global_load_b128 v[162:165], v[8:9], off
	global_load_b128 v[166:169], v[8:9], off offset:512
	global_load_b128 v[170:173], v[174:175], off
	global_load_b128 v[174:177], v[174:175], off offset:512
	v_pk_fma_f16 v8, v66, v10, v84 op_sel:[0,1,0]
	v_pk_fma_f16 v9, v66, v11, v178 op_sel_hi:[1,0,1]
	v_pk_fma_f16 v66, v66, v11, v179 op_sel:[0,1,0]
	v_pk_fma_f16 v84, v67, v10, v180 op_sel_hi:[1,0,1]
	;; [unrolled: 2-line block ×24, first 2 shown]
	v_pk_fma_f16 v57, v70, v7, v57 op_sel:[0,1,0]
	v_pk_fma_f16 v58, v71, v7, v58 op_sel:[0,1,0]
	;; [unrolled: 1-line block ×4, first 2 shown]
	v_pk_fma_f16 v180, v70, v7, v186 op_sel_hi:[1,0,1]
	v_pk_fma_f16 v70, v71, v6, v187 op_sel_hi:[1,0,1]
	v_pk_fma_f16 v181, v71, v6, v188 op_sel:[0,1,0]
	v_pk_fma_f16 v182, v71, v7, v189 op_sel_hi:[1,0,1]
	v_pk_fma_f16 v71, v72, v6, v190 op_sel_hi:[1,0,1]
	v_pk_fma_f16 v183, v72, v6, v191 op_sel:[0,1,0]
	;; [unrolled: 3-line block ×3, first 2 shown]
	v_pk_fma_f16 v186, v73, v7, v195 op_sel_hi:[1,0,1]
	v_pk_fma_f16 v60, v73, v7, v60 op_sel:[0,1,0]
	v_pk_fma_f16 v65, v74, v6, v65 op_sel_hi:[1,0,1]
	v_pk_fma_f16 v8, v74, v6, v8 op_sel:[0,1,0]
	v_pk_fma_f16 v61, v74, v7, v61 op_sel:[0,1,0]
	v_pk_fma_f16 v66, v75, v6, v66 op_sel_hi:[1,0,1]
	v_pk_fma_f16 v73, v75, v6, v84 op_sel:[0,1,0]
	v_pk_fma_f16 v62, v75, v7, v62 op_sel:[0,1,0]
	v_pk_fma_f16 v67, v76, v6, v67 op_sel_hi:[1,0,1]
	v_pk_fma_f16 v4, v76, v6, v4 op_sel:[0,1,0]
	v_pk_fma_f16 v6, v76, v7, v10 op_sel_hi:[1,0,1]
	v_pk_fma_f16 v10, v77, v106, v63 op_sel:[0,1,0]
	v_pk_fma_f16 v56, v77, v107, v56 op_sel:[0,1,0]
	v_pk_fma_f16 v63, v78, v106, v69 op_sel_hi:[1,0,1]
	v_pk_fma_f16 v57, v78, v107, v57 op_sel:[0,1,0]
	v_pk_fma_f16 v58, v79, v107, v58 op_sel:[0,1,0]
	;; [unrolled: 1-line block ×7, first 2 shown]
	v_pk_fma_f16 v63, v91, v108, v63 op_sel_hi:[1,0,1]
	v_pk_fma_f16 v57, v91, v109, v57 op_sel:[0,1,0]
	v_pk_fma_f16 v58, v92, v109, v58 op_sel:[0,1,0]
	v_pk_fma_f16 v59, v93, v109, v59 op_sel:[0,1,0]
	v_pk_fma_f16 v60, v94, v109, v60 op_sel:[0,1,0]
	v_pk_fma_f16 v61, v95, v109, v61 op_sel:[0,1,0]
	v_pk_fma_f16 v62, v96, v109, v62 op_sel:[0,1,0]
	v_pk_fma_f16 v56, v98, v111, v56 op_sel:[0,1,0]
	v_pk_fma_f16 v63, v99, v110, v63 op_sel_hi:[1,0,1]
	v_pk_fma_f16 v57, v99, v111, v57 op_sel:[0,1,0]
	v_pk_fma_f16 v58, v100, v111, v58 op_sel:[0,1,0]
	;; [unrolled: 1-line block ×3, first 2 shown]
	v_pk_fma_f16 v9, v74, v7, v9 op_sel_hi:[1,0,1]
	v_pk_fma_f16 v5, v76, v7, v5 op_sel:[0,1,0]
	v_pk_fma_f16 v74, v75, v7, v178 op_sel_hi:[1,0,1]
	v_pk_fma_f16 v7, v77, v106, v11 op_sel_hi:[1,0,1]
	;; [unrolled: 1-line block ×3, first 2 shown]
	v_pk_fma_f16 v68, v78, v106, v179 op_sel:[0,1,0]
	v_pk_fma_f16 v69, v78, v107, v180 op_sel_hi:[1,0,1]
	v_pk_fma_f16 v70, v79, v106, v70 op_sel_hi:[1,0,1]
	v_pk_fma_f16 v75, v79, v106, v181 op_sel:[0,1,0]
	v_pk_fma_f16 v76, v79, v107, v182 op_sel_hi:[1,0,1]
	v_pk_fma_f16 v71, v80, v106, v71 op_sel_hi:[1,0,1]
	v_pk_fma_f16 v77, v80, v106, v183 op_sel:[0,1,0]
	v_pk_fma_f16 v78, v80, v107, v184 op_sel_hi:[1,0,1]
	v_pk_fma_f16 v60, v102, v111, v60 op_sel:[0,1,0]
	v_pk_fma_f16 v61, v103, v111, v61 op_sel:[0,1,0]
	;; [unrolled: 1-line block ×4, first 2 shown]
	v_pk_fma_f16 v63, v115, v112, v63 op_sel_hi:[1,0,1]
	v_pk_fma_f16 v57, v115, v113, v57 op_sel:[0,1,0]
	v_pk_fma_f16 v58, v116, v113, v58 op_sel:[0,1,0]
	;; [unrolled: 1-line block ×3, first 2 shown]
	v_pk_fma_f16 v72, v86, v106, v72 op_sel_hi:[1,0,1]
	v_pk_fma_f16 v65, v87, v106, v65 op_sel_hi:[1,0,1]
	v_pk_fma_f16 v8, v87, v106, v8 op_sel:[0,1,0]
	v_pk_fma_f16 v9, v87, v107, v9 op_sel_hi:[1,0,1]
	v_pk_fma_f16 v66, v88, v106, v66 op_sel_hi:[1,0,1]
	;; [unrolled: 1-line block ×3, first 2 shown]
	v_pk_fma_f16 v4, v89, v106, v4 op_sel:[0,1,0]
	v_pk_fma_f16 v6, v89, v107, v6 op_sel_hi:[1,0,1]
	v_pk_fma_f16 v5, v89, v107, v5 op_sel:[0,1,0]
	v_pk_fma_f16 v73, v88, v106, v73 op_sel:[0,1,0]
	v_pk_fma_f16 v74, v88, v107, v74 op_sel_hi:[1,0,1]
	v_pk_fma_f16 v7, v90, v108, v7 op_sel_hi:[1,0,1]
	v_pk_fma_f16 v10, v90, v108, v10 op_sel:[0,1,0]
	v_pk_fma_f16 v11, v90, v109, v11 op_sel_hi:[1,0,1]
	v_pk_fma_f16 v68, v91, v108, v68 op_sel:[0,1,0]
	v_pk_fma_f16 v69, v91, v109, v69 op_sel_hi:[1,0,1]
	v_pk_fma_f16 v70, v92, v108, v70 op_sel_hi:[1,0,1]
	v_pk_fma_f16 v75, v92, v108, v75 op_sel:[0,1,0]
	v_pk_fma_f16 v76, v92, v109, v76 op_sel_hi:[1,0,1]
	;; [unrolled: 3-line block ×3, first 2 shown]
	v_pk_fma_f16 v60, v118, v113, v60 op_sel:[0,1,0]
	v_pk_fma_f16 v61, v119, v113, v61 op_sel:[0,1,0]
	;; [unrolled: 1-line block ×4, first 2 shown]
	v_pk_fma_f16 v63, v123, v146, v63 op_sel_hi:[1,0,1]
	v_pk_fma_f16 v57, v123, v147, v57 op_sel:[0,1,0]
	v_pk_fma_f16 v58, v124, v147, v58 op_sel:[0,1,0]
	;; [unrolled: 1-line block ×3, first 2 shown]
	v_pk_fma_f16 v72, v94, v108, v72 op_sel_hi:[1,0,1]
	v_pk_fma_f16 v65, v95, v108, v65 op_sel_hi:[1,0,1]
	v_pk_fma_f16 v8, v95, v108, v8 op_sel:[0,1,0]
	v_pk_fma_f16 v9, v95, v109, v9 op_sel_hi:[1,0,1]
	v_pk_fma_f16 v66, v96, v108, v66 op_sel_hi:[1,0,1]
	v_pk_fma_f16 v67, v97, v108, v67 op_sel_hi:[1,0,1]
	v_pk_fma_f16 v4, v97, v108, v4 op_sel:[0,1,0]
	v_pk_fma_f16 v6, v97, v109, v6 op_sel_hi:[1,0,1]
	v_pk_fma_f16 v5, v97, v109, v5 op_sel:[0,1,0]
	v_pk_fma_f16 v73, v96, v108, v73 op_sel:[0,1,0]
	v_pk_fma_f16 v74, v96, v109, v74 op_sel_hi:[1,0,1]
	v_pk_fma_f16 v7, v98, v110, v7 op_sel_hi:[1,0,1]
	v_pk_fma_f16 v10, v98, v110, v10 op_sel:[0,1,0]
	v_pk_fma_f16 v11, v98, v111, v11 op_sel_hi:[1,0,1]
	v_pk_fma_f16 v68, v99, v110, v68 op_sel:[0,1,0]
	v_pk_fma_f16 v69, v99, v111, v69 op_sel_hi:[1,0,1]
	v_pk_fma_f16 v70, v100, v110, v70 op_sel_hi:[1,0,1]
	v_pk_fma_f16 v75, v100, v110, v75 op_sel:[0,1,0]
	v_pk_fma_f16 v76, v100, v111, v76 op_sel_hi:[1,0,1]
	;; [unrolled: 3-line block ×3, first 2 shown]
	v_pk_fma_f16 v60, v126, v147, v60 op_sel:[0,1,0]
	v_pk_fma_f16 v61, v127, v147, v61 op_sel:[0,1,0]
	;; [unrolled: 1-line block ×4, first 2 shown]
	v_pk_fma_f16 v63, v131, v148, v63 op_sel_hi:[1,0,1]
	v_pk_fma_f16 v57, v131, v149, v57 op_sel:[0,1,0]
	v_pk_fma_f16 v58, v132, v149, v58 op_sel:[0,1,0]
	;; [unrolled: 1-line block ×3, first 2 shown]
	v_pk_fma_f16 v72, v102, v110, v72 op_sel_hi:[1,0,1]
	v_pk_fma_f16 v65, v103, v110, v65 op_sel_hi:[1,0,1]
	v_pk_fma_f16 v8, v103, v110, v8 op_sel:[0,1,0]
	v_pk_fma_f16 v9, v103, v111, v9 op_sel_hi:[1,0,1]
	v_pk_fma_f16 v66, v104, v110, v66 op_sel_hi:[1,0,1]
	;; [unrolled: 1-line block ×3, first 2 shown]
	v_pk_fma_f16 v4, v105, v110, v4 op_sel:[0,1,0]
	v_pk_fma_f16 v6, v105, v111, v6 op_sel_hi:[1,0,1]
	v_pk_fma_f16 v5, v105, v111, v5 op_sel:[0,1,0]
	v_pk_fma_f16 v79, v86, v106, v185 op_sel:[0,1,0]
	v_pk_fma_f16 v80, v86, v107, v186 op_sel_hi:[1,0,1]
	v_pk_fma_f16 v73, v104, v110, v73 op_sel:[0,1,0]
	v_pk_fma_f16 v74, v104, v111, v74 op_sel_hi:[1,0,1]
	v_pk_fma_f16 v7, v114, v112, v7 op_sel_hi:[1,0,1]
	v_pk_fma_f16 v10, v114, v112, v10 op_sel:[0,1,0]
	v_pk_fma_f16 v11, v114, v113, v11 op_sel_hi:[1,0,1]
	v_pk_fma_f16 v68, v115, v112, v68 op_sel:[0,1,0]
	v_pk_fma_f16 v69, v115, v113, v69 op_sel_hi:[1,0,1]
	v_pk_fma_f16 v70, v116, v112, v70 op_sel_hi:[1,0,1]
	v_pk_fma_f16 v75, v116, v112, v75 op_sel:[0,1,0]
	v_pk_fma_f16 v76, v116, v113, v76 op_sel_hi:[1,0,1]
	v_pk_fma_f16 v71, v117, v112, v71 op_sel_hi:[1,0,1]
	v_pk_fma_f16 v77, v117, v112, v77 op_sel:[0,1,0]
	v_pk_fma_f16 v78, v117, v113, v78 op_sel_hi:[1,0,1]
	v_pk_fma_f16 v60, v134, v149, v60 op_sel:[0,1,0]
	v_pk_fma_f16 v61, v135, v149, v61 op_sel:[0,1,0]
	;; [unrolled: 1-line block ×4, first 2 shown]
	v_pk_fma_f16 v63, v139, v150, v63 op_sel_hi:[1,0,1]
	v_pk_fma_f16 v57, v139, v151, v57 op_sel:[0,1,0]
	v_pk_fma_f16 v58, v140, v151, v58 op_sel:[0,1,0]
	;; [unrolled: 1-line block ×3, first 2 shown]
	v_pk_fma_f16 v72, v118, v112, v72 op_sel_hi:[1,0,1]
	v_pk_fma_f16 v65, v119, v112, v65 op_sel_hi:[1,0,1]
	v_pk_fma_f16 v8, v119, v112, v8 op_sel:[0,1,0]
	v_pk_fma_f16 v9, v119, v113, v9 op_sel_hi:[1,0,1]
	v_pk_fma_f16 v66, v120, v112, v66 op_sel_hi:[1,0,1]
	;; [unrolled: 1-line block ×3, first 2 shown]
	v_pk_fma_f16 v4, v121, v112, v4 op_sel:[0,1,0]
	v_pk_fma_f16 v6, v121, v113, v6 op_sel_hi:[1,0,1]
	v_pk_fma_f16 v5, v121, v113, v5 op_sel:[0,1,0]
	v_pk_fma_f16 v79, v94, v108, v79 op_sel:[0,1,0]
	v_pk_fma_f16 v80, v94, v109, v80 op_sel_hi:[1,0,1]
	v_pk_fma_f16 v73, v120, v112, v73 op_sel:[0,1,0]
	v_pk_fma_f16 v74, v120, v113, v74 op_sel_hi:[1,0,1]
	v_pk_fma_f16 v7, v122, v146, v7 op_sel_hi:[1,0,1]
	v_pk_fma_f16 v10, v122, v146, v10 op_sel:[0,1,0]
	v_pk_fma_f16 v11, v122, v147, v11 op_sel_hi:[1,0,1]
	v_pk_fma_f16 v68, v123, v146, v68 op_sel:[0,1,0]
	v_pk_fma_f16 v69, v123, v147, v69 op_sel_hi:[1,0,1]
	v_pk_fma_f16 v70, v124, v146, v70 op_sel_hi:[1,0,1]
	v_pk_fma_f16 v75, v124, v146, v75 op_sel:[0,1,0]
	v_pk_fma_f16 v76, v124, v147, v76 op_sel_hi:[1,0,1]
	v_pk_fma_f16 v71, v125, v146, v71 op_sel_hi:[1,0,1]
	v_pk_fma_f16 v77, v125, v146, v77 op_sel:[0,1,0]
	v_pk_fma_f16 v78, v125, v147, v78 op_sel_hi:[1,0,1]
	v_pk_fma_f16 v84, v142, v151, v60 op_sel:[0,1,0]
	v_pk_fma_f16 v86, v143, v151, v61 op_sel:[0,1,0]
	v_pk_fma_f16 v87, v144, v151, v62 op_sel:[0,1,0]
	v_pk_fma_f16 v91, v154, v153, v56 op_sel:[0,1,0]
	v_pk_fma_f16 v92, v155, v152, v63 op_sel_hi:[1,0,1]
	v_pk_fma_f16 v95, v155, v153, v57 op_sel:[0,1,0]
	v_pk_fma_f16 v97, v156, v153, v58 op_sel:[0,1,0]
	;; [unrolled: 1-line block ×3, first 2 shown]
	s_waitcnt vmcnt(3)
	ds_store_b128 v43, v[162:165]
	s_waitcnt vmcnt(2)
	ds_store_b128 v44, v[166:169]
	s_waitcnt vmcnt(1)
	ds_store_b128 v45, v[170:173]
	s_waitcnt vmcnt(0)
	ds_store_b128 v46, v[174:177]
	s_waitcnt lgkmcnt(0)
	s_barrier
	buffer_gl0_inv
	ds_load_2addr_b64 v[56:59], v64 offset1:32
	ds_load_b128 v[60:63], v41 offset:640
	v_pk_fma_f16 v72, v126, v146, v72 op_sel_hi:[1,0,1]
	v_pk_fma_f16 v65, v127, v146, v65 op_sel_hi:[1,0,1]
	v_pk_fma_f16 v8, v127, v146, v8 op_sel:[0,1,0]
	v_pk_fma_f16 v9, v127, v147, v9 op_sel_hi:[1,0,1]
	v_pk_fma_f16 v66, v128, v146, v66 op_sel_hi:[1,0,1]
	v_pk_fma_f16 v67, v129, v146, v67 op_sel_hi:[1,0,1]
	v_pk_fma_f16 v4, v129, v146, v4 op_sel:[0,1,0]
	v_pk_fma_f16 v6, v129, v147, v6 op_sel_hi:[1,0,1]
	v_pk_fma_f16 v5, v129, v147, v5 op_sel:[0,1,0]
	v_pk_fma_f16 v79, v102, v110, v79 op_sel:[0,1,0]
	v_pk_fma_f16 v80, v102, v111, v80 op_sel_hi:[1,0,1]
	v_pk_fma_f16 v73, v128, v146, v73 op_sel:[0,1,0]
	v_pk_fma_f16 v74, v128, v147, v74 op_sel_hi:[1,0,1]
	v_pk_fma_f16 v7, v130, v148, v7 op_sel_hi:[1,0,1]
	v_pk_fma_f16 v10, v130, v148, v10 op_sel:[0,1,0]
	v_pk_fma_f16 v11, v130, v149, v11 op_sel_hi:[1,0,1]
	v_pk_fma_f16 v68, v131, v148, v68 op_sel:[0,1,0]
	v_pk_fma_f16 v69, v131, v149, v69 op_sel_hi:[1,0,1]
	v_pk_fma_f16 v70, v132, v148, v70 op_sel_hi:[1,0,1]
	v_pk_fma_f16 v75, v132, v148, v75 op_sel:[0,1,0]
	v_pk_fma_f16 v76, v132, v149, v76 op_sel_hi:[1,0,1]
	v_pk_fma_f16 v71, v133, v148, v71 op_sel_hi:[1,0,1]
	v_pk_fma_f16 v77, v133, v148, v77 op_sel:[0,1,0]
	v_pk_fma_f16 v78, v133, v149, v78 op_sel_hi:[1,0,1]
	v_pk_fma_f16 v72, v134, v148, v72 op_sel_hi:[1,0,1]
	v_pk_fma_f16 v65, v135, v148, v65 op_sel_hi:[1,0,1]
	v_pk_fma_f16 v8, v135, v148, v8 op_sel:[0,1,0]
	v_pk_fma_f16 v9, v135, v149, v9 op_sel_hi:[1,0,1]
	v_pk_fma_f16 v66, v136, v148, v66 op_sel_hi:[1,0,1]
	v_pk_fma_f16 v67, v137, v148, v67 op_sel_hi:[1,0,1]
	v_pk_fma_f16 v4, v137, v148, v4 op_sel:[0,1,0]
	v_pk_fma_f16 v6, v137, v149, v6 op_sel_hi:[1,0,1]
	v_pk_fma_f16 v5, v137, v149, v5 op_sel:[0,1,0]
	v_pk_fma_f16 v79, v118, v112, v79 op_sel:[0,1,0]
	v_pk_fma_f16 v80, v118, v113, v80 op_sel_hi:[1,0,1]
	v_pk_fma_f16 v73, v136, v148, v73 op_sel:[0,1,0]
	v_pk_fma_f16 v74, v136, v149, v74 op_sel_hi:[1,0,1]
	v_pk_fma_f16 v7, v138, v150, v7 op_sel_hi:[1,0,1]
	v_pk_fma_f16 v10, v138, v150, v10 op_sel:[0,1,0]
	v_pk_fma_f16 v11, v138, v151, v11 op_sel_hi:[1,0,1]
	v_pk_fma_f16 v68, v139, v150, v68 op_sel:[0,1,0]
	v_pk_fma_f16 v69, v139, v151, v69 op_sel_hi:[1,0,1]
	v_pk_fma_f16 v70, v140, v150, v70 op_sel_hi:[1,0,1]
	v_pk_fma_f16 v75, v140, v150, v75 op_sel:[0,1,0]
	v_pk_fma_f16 v76, v140, v151, v76 op_sel_hi:[1,0,1]
	v_pk_fma_f16 v71, v141, v150, v71 op_sel_hi:[1,0,1]
	v_pk_fma_f16 v77, v141, v150, v77 op_sel:[0,1,0]
	v_pk_fma_f16 v78, v141, v151, v78 op_sel_hi:[1,0,1]
	;; [unrolled: 24-line block ×3, first 2 shown]
	v_pk_fma_f16 v100, v158, v152, v72 op_sel_hi:[1,0,1]
	v_pk_fma_f16 v101, v159, v152, v65 op_sel_hi:[1,0,1]
	v_pk_fma_f16 v102, v159, v152, v8 op_sel:[0,1,0]
	v_pk_fma_f16 v103, v159, v153, v9 op_sel_hi:[1,0,1]
	v_pk_fma_f16 v104, v160, v152, v66 op_sel_hi:[1,0,1]
	;; [unrolled: 1-line block ×3, first 2 shown]
	v_pk_fma_f16 v108, v161, v152, v4 op_sel:[0,1,0]
	v_pk_fma_f16 v109, v161, v153, v6 op_sel_hi:[1,0,1]
	v_pk_fma_f16 v110, v161, v153, v5 op_sel:[0,1,0]
	ds_load_2addr_b64 v[65:68], v64 offset0:64 offset1:96
	ds_load_b128 v[69:72], v41 offset:656
	ds_load_b128 v[8:11], v41 offset:672
	;; [unrolled: 1-line block ×3, first 2 shown]
	v_pk_fma_f16 v79, v134, v148, v79 op_sel:[0,1,0]
	v_pk_fma_f16 v80, v134, v149, v80 op_sel_hi:[1,0,1]
	v_pk_fma_f16 v105, v160, v152, v73 op_sel:[0,1,0]
	v_pk_fma_f16 v106, v160, v153, v74 op_sel_hi:[1,0,1]
	s_waitcnt lgkmcnt(4)
	v_pk_fma_f16 v88, v56, v60, v88 op_sel_hi:[1,0,1]
	v_pk_fma_f16 v89, v56, v60, v89 op_sel:[0,1,0]
	v_pk_fma_f16 v90, v56, v61, v90 op_sel_hi:[1,0,1]
	v_pk_fma_f16 v91, v56, v61, v91 op_sel:[0,1,0]
	;; [unrolled: 2-line block ×7, first 2 shown]
	ds_load_2addr_b64 v[73:76], v64 offset0:128 offset1:160
	v_pk_fma_f16 v78, v59, v61, v78 op_sel_hi:[1,0,1]
	v_pk_fma_f16 v99, v59, v61, v99 op_sel:[0,1,0]
	ds_load_2addr_b64 v[56:59], v64 offset0:192 offset1:224
	v_pk_fma_f16 v79, v142, v150, v79 op_sel:[0,1,0]
	v_pk_fma_f16 v80, v142, v151, v80 op_sel_hi:[1,0,1]
	v_pk_fma_f16 v84, v158, v153, v84 op_sel:[0,1,0]
	v_pk_fma_f16 v86, v159, v153, v86 op_sel:[0,1,0]
	;; [unrolled: 1-line block ×4, first 2 shown]
	v_pk_fma_f16 v80, v158, v153, v80 op_sel_hi:[1,0,1]
	s_waitcnt lgkmcnt(5)
	v_pk_fma_f16 v100, v65, v60, v100 op_sel_hi:[1,0,1]
	v_pk_fma_f16 v84, v65, v61, v84 op_sel:[0,1,0]
	v_pk_fma_f16 v101, v66, v60, v101 op_sel_hi:[1,0,1]
	v_pk_fma_f16 v79, v65, v60, v79 op_sel:[0,1,0]
	;; [unrolled: 2-line block ×8, first 2 shown]
	ds_load_2addr_b64 v[65:68], v53 offset1:32
	s_waitcnt lgkmcnt(2)
	v_pk_fma_f16 v88, v73, v62, v88 op_sel_hi:[1,0,1]
	v_pk_fma_f16 v89, v73, v62, v89 op_sel:[0,1,0]
	v_pk_fma_f16 v90, v73, v63, v90 op_sel_hi:[1,0,1]
	v_pk_fma_f16 v91, v73, v63, v91 op_sel:[0,1,0]
	;; [unrolled: 2-line block ×8, first 2 shown]
	s_waitcnt lgkmcnt(1)
	v_pk_fma_f16 v100, v56, v62, v100 op_sel_hi:[1,0,1]
	v_pk_fma_f16 v79, v56, v62, v79 op_sel:[0,1,0]
	v_pk_fma_f16 v80, v56, v63, v80 op_sel_hi:[1,0,1]
	v_pk_fma_f16 v84, v56, v63, v84 op_sel:[0,1,0]
	;; [unrolled: 2-line block ×7, first 2 shown]
	ds_load_2addr_b64 v[73:76], v53 offset0:64 offset1:96
	v_pk_fma_f16 v108, v59, v63, v108 op_sel_hi:[1,0,1]
	v_pk_fma_f16 v111, v59, v63, v61 op_sel:[0,1,0]
	ds_load_2addr_b64 v[56:59], v53 offset0:128 offset1:160
	s_waitcnt lgkmcnt(2)
	v_pk_fma_f16 v88, v65, v69, v88 op_sel_hi:[1,0,1]
	v_pk_fma_f16 v89, v65, v69, v89 op_sel:[0,1,0]
	v_pk_fma_f16 v90, v65, v70, v90 op_sel_hi:[1,0,1]
	v_pk_fma_f16 v65, v65, v70, v91 op_sel:[0,1,0]
	;; [unrolled: 2-line block ×8, first 2 shown]
	s_waitcnt lgkmcnt(1)
	v_pk_fma_f16 v99, v73, v69, v100 op_sel_hi:[1,0,1]
	v_pk_fma_f16 v79, v73, v69, v79 op_sel:[0,1,0]
	v_pk_fma_f16 v80, v73, v70, v80 op_sel_hi:[1,0,1]
	v_pk_fma_f16 v73, v73, v70, v84 op_sel:[0,1,0]
	;; [unrolled: 2-line block ×7, first 2 shown]
	ds_load_2addr_b64 v[60:63], v53 offset0:192 offset1:224
	v_pk_fma_f16 v104, v76, v70, v108 op_sel_hi:[1,0,1]
	v_pk_fma_f16 v70, v76, v70, v111 op_sel:[0,1,0]
	s_waitcnt lgkmcnt(1)
	v_pk_fma_f16 v76, v56, v71, v88 op_sel_hi:[1,0,1]
	v_pk_fma_f16 v88, v56, v71, v89 op_sel:[0,1,0]
	v_pk_fma_f16 v89, v56, v72, v90 op_sel_hi:[1,0,1]
	v_pk_fma_f16 v90, v56, v72, v65 op_sel:[0,1,0]
	v_pk_fma_f16 v105, v57, v72, v66 op_sel:[0,1,0]
	;; [unrolled: 1-line block ×3, first 2 shown]
	ds_load_2addr_b64 v[65:68], v54 offset1:32
	v_pk_fma_f16 v91, v57, v71, v91 op_sel_hi:[1,0,1]
	v_pk_fma_f16 v92, v57, v71, v92 op_sel:[0,1,0]
	v_pk_fma_f16 v93, v57, v72, v93 op_sel_hi:[1,0,1]
	v_pk_fma_f16 v94, v58, v71, v94 op_sel_hi:[1,0,1]
	v_pk_fma_f16 v95, v58, v71, v95 op_sel:[0,1,0]
	v_pk_fma_f16 v96, v58, v72, v96 op_sel_hi:[1,0,1]
	;; [unrolled: 3-line block ×3, first 2 shown]
	v_pk_fma_f16 v98, v59, v72, v98 op_sel:[0,1,0]
	ds_load_2addr_b64 v[56:59], v54 offset0:64 offset1:96
	s_or_b32 s8, s3, 0x60
	s_waitcnt lgkmcnt(2)
	v_pk_fma_f16 v99, v60, v71, v99 op_sel_hi:[1,0,1]
	v_pk_fma_f16 v79, v60, v71, v79 op_sel:[0,1,0]
	v_pk_fma_f16 v80, v60, v72, v80 op_sel_hi:[1,0,1]
	v_pk_fma_f16 v73, v60, v72, v73 op_sel:[0,1,0]
	;; [unrolled: 2-line block ×8, first 2 shown]
	s_waitcnt lgkmcnt(1)
	v_pk_fma_f16 v72, v65, v8, v76 op_sel_hi:[1,0,1]
	v_pk_fma_f16 v76, v65, v8, v88 op_sel:[0,1,0]
	v_pk_fma_f16 v88, v65, v9, v89 op_sel_hi:[1,0,1]
	v_pk_fma_f16 v89, v65, v9, v90 op_sel:[0,1,0]
	v_pk_fma_f16 v90, v66, v8, v91 op_sel_hi:[1,0,1]
	v_pk_fma_f16 v91, v66, v8, v92 op_sel:[0,1,0]
	v_pk_fma_f16 v92, v66, v9, v93 op_sel_hi:[1,0,1]
	v_pk_fma_f16 v93, v66, v9, v105 op_sel:[0,1,0]
	v_pk_fma_f16 v94, v67, v8, v94 op_sel_hi:[1,0,1]
	v_pk_fma_f16 v95, v67, v8, v95 op_sel:[0,1,0]
	v_pk_fma_f16 v96, v67, v9, v96 op_sel_hi:[1,0,1]
	v_pk_fma_f16 v104, v67, v9, v106 op_sel:[0,1,0]
	v_pk_fma_f16 v97, v68, v8, v97 op_sel_hi:[1,0,1]
	v_pk_fma_f16 v77, v68, v8, v77 op_sel:[0,1,0]
	ds_load_2addr_b64 v[60:63], v54 offset0:128 offset1:160
	v_pk_fma_f16 v78, v68, v9, v78 op_sel_hi:[1,0,1]
	v_pk_fma_f16 v98, v68, v9, v98 op_sel:[0,1,0]
	ds_load_2addr_b64 v[65:68], v54 offset0:192 offset1:224
	s_mul_hi_i32 s21, s8, s10
	s_mul_i32 s20, s8, s10
	s_waitcnt lgkmcnt(2)
	v_pk_fma_f16 v99, v56, v8, v99 op_sel_hi:[1,0,1]
	s_lshl_b64 s[20:21], s[20:21], 2
	v_pk_fma_f16 v79, v56, v8, v79 op_sel:[0,1,0]
	s_add_u32 s8, s11, s20
	v_pk_fma_f16 v80, v56, v9, v80 op_sel_hi:[1,0,1]
	v_pk_fma_f16 v56, v56, v9, v73 op_sel:[0,1,0]
	v_pk_fma_f16 v73, v57, v8, v84 op_sel_hi:[1,0,1]
	v_pk_fma_f16 v84, v57, v8, v100 op_sel:[0,1,0]
	;; [unrolled: 2-line block ×4, first 2 shown]
	s_addc_u32 s20, s17, s21
	v_add_co_u32 v8, vcc_lo, s8, v27
	v_pk_fma_f16 v178, v57, v9, v101 op_sel_hi:[1,0,1]
	v_pk_fma_f16 v179, v57, v9, v74 op_sel:[0,1,0]
	v_pk_fma_f16 v182, v58, v9, v103 op_sel_hi:[1,0,1]
	v_pk_fma_f16 v183, v58, v9, v75 op_sel:[0,1,0]
	;; [unrolled: 2-line block ×3, first 2 shown]
	v_add_co_ci_u32_e32 v9, vcc_lo, s20, v28, vcc_lo
	v_add_co_u32 v162, vcc_lo, s8, v29
	v_add_co_ci_u32_e32 v163, vcc_lo, s20, v30, vcc_lo
	v_add_co_u32 v8, vcc_lo, v8, v39
	s_delay_alu instid0(VALU_DEP_4) | instskip(NEXT) | instid1(VALU_DEP_4)
	v_add_co_ci_u32_e32 v9, vcc_lo, 0, v9, vcc_lo
	v_add_co_u32 v174, vcc_lo, v162, v39
	s_delay_alu instid0(VALU_DEP_4)
	v_add_co_ci_u32_e32 v175, vcc_lo, 0, v163, vcc_lo
	s_waitcnt lgkmcnt(1)
	v_pk_fma_f16 v188, v60, v10, v72 op_sel_hi:[1,0,1]
	v_pk_fma_f16 v189, v60, v10, v76 op_sel:[0,1,0]
	v_pk_fma_f16 v190, v60, v11, v88 op_sel_hi:[1,0,1]
	v_pk_fma_f16 v191, v60, v11, v89 op_sel:[0,1,0]
	;; [unrolled: 2-line block ×8, first 2 shown]
	s_waitcnt lgkmcnt(0)
	v_pk_fma_f16 v204, v65, v10, v99 op_sel_hi:[1,0,1]
	v_pk_fma_f16 v205, v65, v10, v79 op_sel:[0,1,0]
	v_pk_fma_f16 v206, v65, v11, v80 op_sel_hi:[1,0,1]
	v_pk_fma_f16 v65, v65, v11, v56 op_sel:[0,1,0]
	v_pk_fma_f16 v207, v66, v10, v73 op_sel_hi:[1,0,1]
	ds_load_2addr_b64 v[56:59], v55 offset1:32
	ds_load_2addr_b64 v[60:63], v55 offset0:64 offset1:96
	ds_load_2addr_b64 v[69:72], v55 offset0:128 offset1:160
	;; [unrolled: 1-line block ×3, first 2 shown]
	ds_load_2addr_b64 v[77:80], v52 offset1:32
	ds_load_2addr_b64 v[86:89], v52 offset0:64 offset1:96
	ds_load_2addr_b64 v[90:93], v52 offset0:128 offset1:160
	ds_load_2addr_b64 v[94:97], v52 offset0:192 offset1:224
	ds_load_2addr_b64 v[98:101], v51 offset1:32
	ds_load_2addr_b64 v[102:105], v51 offset0:64 offset1:96
	ds_load_b128 v[106:109], v41 offset:704
	ds_load_b128 v[110:113], v41 offset:720
	ds_load_2addr_b64 v[114:117], v51 offset0:128 offset1:160
	ds_load_2addr_b64 v[118:121], v51 offset0:192 offset1:224
	ds_load_2addr_b64 v[122:125], v49 offset1:32
	ds_load_2addr_b64 v[126:129], v49 offset0:64 offset1:96
	ds_load_2addr_b64 v[130:133], v49 offset0:128 offset1:160
	;; [unrolled: 1-line block ×3, first 2 shown]
	ds_load_2addr_b64 v[138:141], v48 offset1:32
	ds_load_2addr_b64 v[142:145], v48 offset0:64 offset1:96
	ds_load_b128 v[146:149], v41 offset:736
	ds_load_b128 v[150:153], v41 offset:752
	ds_load_2addr_b64 v[154:157], v48 offset0:128 offset1:160
	ds_load_2addr_b64 v[158:161], v48 offset0:192 offset1:224
	s_waitcnt lgkmcnt(0)
	s_barrier
	buffer_gl0_inv
	s_clause 0x3
	global_load_b128 v[162:165], v[8:9], off
	global_load_b128 v[166:169], v[8:9], off offset:512
	global_load_b128 v[170:173], v[174:175], off
	global_load_b128 v[174:177], v[174:175], off offset:512
	v_pk_fma_f16 v8, v66, v10, v84 op_sel:[0,1,0]
	v_pk_fma_f16 v9, v66, v11, v178 op_sel_hi:[1,0,1]
	v_pk_fma_f16 v66, v66, v11, v179 op_sel:[0,1,0]
	v_pk_fma_f16 v84, v67, v10, v180 op_sel_hi:[1,0,1]
	;; [unrolled: 2-line block ×24, first 2 shown]
	v_pk_fma_f16 v57, v70, v7, v57 op_sel:[0,1,0]
	v_pk_fma_f16 v58, v71, v7, v58 op_sel:[0,1,0]
	;; [unrolled: 1-line block ×4, first 2 shown]
	v_pk_fma_f16 v180, v70, v7, v186 op_sel_hi:[1,0,1]
	v_pk_fma_f16 v70, v71, v6, v187 op_sel_hi:[1,0,1]
	v_pk_fma_f16 v181, v71, v6, v188 op_sel:[0,1,0]
	v_pk_fma_f16 v182, v71, v7, v189 op_sel_hi:[1,0,1]
	v_pk_fma_f16 v71, v72, v6, v190 op_sel_hi:[1,0,1]
	v_pk_fma_f16 v183, v72, v6, v191 op_sel:[0,1,0]
	;; [unrolled: 3-line block ×3, first 2 shown]
	v_pk_fma_f16 v186, v73, v7, v195 op_sel_hi:[1,0,1]
	v_pk_fma_f16 v60, v73, v7, v60 op_sel:[0,1,0]
	v_pk_fma_f16 v65, v74, v6, v65 op_sel_hi:[1,0,1]
	v_pk_fma_f16 v8, v74, v6, v8 op_sel:[0,1,0]
	v_pk_fma_f16 v61, v74, v7, v61 op_sel:[0,1,0]
	v_pk_fma_f16 v66, v75, v6, v66 op_sel_hi:[1,0,1]
	v_pk_fma_f16 v73, v75, v6, v84 op_sel:[0,1,0]
	;; [unrolled: 3-line block ×3, first 2 shown]
	v_pk_fma_f16 v6, v76, v7, v10 op_sel_hi:[1,0,1]
	v_pk_fma_f16 v10, v77, v106, v63 op_sel:[0,1,0]
	v_pk_fma_f16 v56, v77, v107, v56 op_sel:[0,1,0]
	v_pk_fma_f16 v63, v78, v106, v69 op_sel_hi:[1,0,1]
	v_pk_fma_f16 v57, v78, v107, v57 op_sel:[0,1,0]
	v_pk_fma_f16 v58, v79, v107, v58 op_sel:[0,1,0]
	;; [unrolled: 1-line block ×7, first 2 shown]
	v_pk_fma_f16 v63, v91, v108, v63 op_sel_hi:[1,0,1]
	v_pk_fma_f16 v57, v91, v109, v57 op_sel:[0,1,0]
	v_pk_fma_f16 v58, v92, v109, v58 op_sel:[0,1,0]
	;; [unrolled: 1-line block ×7, first 2 shown]
	v_pk_fma_f16 v63, v99, v110, v63 op_sel_hi:[1,0,1]
	v_pk_fma_f16 v57, v99, v111, v57 op_sel:[0,1,0]
	v_pk_fma_f16 v58, v100, v111, v58 op_sel:[0,1,0]
	v_pk_fma_f16 v59, v101, v111, v59 op_sel:[0,1,0]
	v_pk_fma_f16 v9, v74, v7, v9 op_sel_hi:[1,0,1]
	v_pk_fma_f16 v5, v76, v7, v5 op_sel:[0,1,0]
	v_pk_fma_f16 v74, v75, v7, v178 op_sel_hi:[1,0,1]
	v_pk_fma_f16 v7, v77, v106, v11 op_sel_hi:[1,0,1]
	;; [unrolled: 1-line block ×3, first 2 shown]
	v_pk_fma_f16 v68, v78, v106, v179 op_sel:[0,1,0]
	v_pk_fma_f16 v69, v78, v107, v180 op_sel_hi:[1,0,1]
	v_pk_fma_f16 v70, v79, v106, v70 op_sel_hi:[1,0,1]
	v_pk_fma_f16 v75, v79, v106, v181 op_sel:[0,1,0]
	v_pk_fma_f16 v76, v79, v107, v182 op_sel_hi:[1,0,1]
	v_pk_fma_f16 v71, v80, v106, v71 op_sel_hi:[1,0,1]
	v_pk_fma_f16 v77, v80, v106, v183 op_sel:[0,1,0]
	v_pk_fma_f16 v78, v80, v107, v184 op_sel_hi:[1,0,1]
	v_pk_fma_f16 v60, v102, v111, v60 op_sel:[0,1,0]
	v_pk_fma_f16 v61, v103, v111, v61 op_sel:[0,1,0]
	;; [unrolled: 1-line block ×4, first 2 shown]
	v_pk_fma_f16 v63, v115, v112, v63 op_sel_hi:[1,0,1]
	v_pk_fma_f16 v57, v115, v113, v57 op_sel:[0,1,0]
	v_pk_fma_f16 v58, v116, v113, v58 op_sel:[0,1,0]
	;; [unrolled: 1-line block ×3, first 2 shown]
	v_pk_fma_f16 v72, v86, v106, v72 op_sel_hi:[1,0,1]
	v_pk_fma_f16 v65, v87, v106, v65 op_sel_hi:[1,0,1]
	v_pk_fma_f16 v8, v87, v106, v8 op_sel:[0,1,0]
	v_pk_fma_f16 v9, v87, v107, v9 op_sel_hi:[1,0,1]
	v_pk_fma_f16 v66, v88, v106, v66 op_sel_hi:[1,0,1]
	;; [unrolled: 1-line block ×3, first 2 shown]
	v_pk_fma_f16 v4, v89, v106, v4 op_sel:[0,1,0]
	v_pk_fma_f16 v6, v89, v107, v6 op_sel_hi:[1,0,1]
	v_pk_fma_f16 v5, v89, v107, v5 op_sel:[0,1,0]
	v_pk_fma_f16 v73, v88, v106, v73 op_sel:[0,1,0]
	v_pk_fma_f16 v74, v88, v107, v74 op_sel_hi:[1,0,1]
	v_pk_fma_f16 v7, v90, v108, v7 op_sel_hi:[1,0,1]
	v_pk_fma_f16 v10, v90, v108, v10 op_sel:[0,1,0]
	v_pk_fma_f16 v11, v90, v109, v11 op_sel_hi:[1,0,1]
	v_pk_fma_f16 v68, v91, v108, v68 op_sel:[0,1,0]
	v_pk_fma_f16 v69, v91, v109, v69 op_sel_hi:[1,0,1]
	v_pk_fma_f16 v70, v92, v108, v70 op_sel_hi:[1,0,1]
	v_pk_fma_f16 v75, v92, v108, v75 op_sel:[0,1,0]
	v_pk_fma_f16 v76, v92, v109, v76 op_sel_hi:[1,0,1]
	;; [unrolled: 3-line block ×3, first 2 shown]
	v_pk_fma_f16 v60, v118, v113, v60 op_sel:[0,1,0]
	v_pk_fma_f16 v61, v119, v113, v61 op_sel:[0,1,0]
	;; [unrolled: 1-line block ×4, first 2 shown]
	v_pk_fma_f16 v63, v123, v146, v63 op_sel_hi:[1,0,1]
	v_pk_fma_f16 v57, v123, v147, v57 op_sel:[0,1,0]
	v_pk_fma_f16 v58, v124, v147, v58 op_sel:[0,1,0]
	;; [unrolled: 1-line block ×3, first 2 shown]
	v_pk_fma_f16 v72, v94, v108, v72 op_sel_hi:[1,0,1]
	v_pk_fma_f16 v65, v95, v108, v65 op_sel_hi:[1,0,1]
	v_pk_fma_f16 v8, v95, v108, v8 op_sel:[0,1,0]
	v_pk_fma_f16 v9, v95, v109, v9 op_sel_hi:[1,0,1]
	v_pk_fma_f16 v66, v96, v108, v66 op_sel_hi:[1,0,1]
	;; [unrolled: 1-line block ×3, first 2 shown]
	v_pk_fma_f16 v4, v97, v108, v4 op_sel:[0,1,0]
	v_pk_fma_f16 v6, v97, v109, v6 op_sel_hi:[1,0,1]
	v_pk_fma_f16 v5, v97, v109, v5 op_sel:[0,1,0]
	v_pk_fma_f16 v73, v96, v108, v73 op_sel:[0,1,0]
	v_pk_fma_f16 v74, v96, v109, v74 op_sel_hi:[1,0,1]
	v_pk_fma_f16 v7, v98, v110, v7 op_sel_hi:[1,0,1]
	v_pk_fma_f16 v10, v98, v110, v10 op_sel:[0,1,0]
	v_pk_fma_f16 v11, v98, v111, v11 op_sel_hi:[1,0,1]
	v_pk_fma_f16 v68, v99, v110, v68 op_sel:[0,1,0]
	v_pk_fma_f16 v69, v99, v111, v69 op_sel_hi:[1,0,1]
	v_pk_fma_f16 v70, v100, v110, v70 op_sel_hi:[1,0,1]
	v_pk_fma_f16 v75, v100, v110, v75 op_sel:[0,1,0]
	v_pk_fma_f16 v76, v100, v111, v76 op_sel_hi:[1,0,1]
	;; [unrolled: 3-line block ×3, first 2 shown]
	v_pk_fma_f16 v60, v126, v147, v60 op_sel:[0,1,0]
	v_pk_fma_f16 v61, v127, v147, v61 op_sel:[0,1,0]
	;; [unrolled: 1-line block ×4, first 2 shown]
	v_pk_fma_f16 v63, v131, v148, v63 op_sel_hi:[1,0,1]
	v_pk_fma_f16 v57, v131, v149, v57 op_sel:[0,1,0]
	v_pk_fma_f16 v58, v132, v149, v58 op_sel:[0,1,0]
	;; [unrolled: 1-line block ×3, first 2 shown]
	v_pk_fma_f16 v72, v102, v110, v72 op_sel_hi:[1,0,1]
	v_pk_fma_f16 v65, v103, v110, v65 op_sel_hi:[1,0,1]
	v_pk_fma_f16 v8, v103, v110, v8 op_sel:[0,1,0]
	v_pk_fma_f16 v9, v103, v111, v9 op_sel_hi:[1,0,1]
	v_pk_fma_f16 v66, v104, v110, v66 op_sel_hi:[1,0,1]
	;; [unrolled: 1-line block ×3, first 2 shown]
	v_pk_fma_f16 v4, v105, v110, v4 op_sel:[0,1,0]
	v_pk_fma_f16 v6, v105, v111, v6 op_sel_hi:[1,0,1]
	v_pk_fma_f16 v5, v105, v111, v5 op_sel:[0,1,0]
	v_pk_fma_f16 v79, v86, v106, v185 op_sel:[0,1,0]
	v_pk_fma_f16 v80, v86, v107, v186 op_sel_hi:[1,0,1]
	v_pk_fma_f16 v73, v104, v110, v73 op_sel:[0,1,0]
	v_pk_fma_f16 v74, v104, v111, v74 op_sel_hi:[1,0,1]
	v_pk_fma_f16 v7, v114, v112, v7 op_sel_hi:[1,0,1]
	v_pk_fma_f16 v10, v114, v112, v10 op_sel:[0,1,0]
	v_pk_fma_f16 v11, v114, v113, v11 op_sel_hi:[1,0,1]
	v_pk_fma_f16 v68, v115, v112, v68 op_sel:[0,1,0]
	v_pk_fma_f16 v69, v115, v113, v69 op_sel_hi:[1,0,1]
	v_pk_fma_f16 v70, v116, v112, v70 op_sel_hi:[1,0,1]
	v_pk_fma_f16 v75, v116, v112, v75 op_sel:[0,1,0]
	v_pk_fma_f16 v76, v116, v113, v76 op_sel_hi:[1,0,1]
	;; [unrolled: 3-line block ×3, first 2 shown]
	v_pk_fma_f16 v60, v134, v149, v60 op_sel:[0,1,0]
	v_pk_fma_f16 v61, v135, v149, v61 op_sel:[0,1,0]
	;; [unrolled: 1-line block ×4, first 2 shown]
	v_pk_fma_f16 v63, v139, v150, v63 op_sel_hi:[1,0,1]
	v_pk_fma_f16 v57, v139, v151, v57 op_sel:[0,1,0]
	v_pk_fma_f16 v58, v140, v151, v58 op_sel:[0,1,0]
	;; [unrolled: 1-line block ×3, first 2 shown]
	v_pk_fma_f16 v72, v118, v112, v72 op_sel_hi:[1,0,1]
	v_pk_fma_f16 v65, v119, v112, v65 op_sel_hi:[1,0,1]
	v_pk_fma_f16 v8, v119, v112, v8 op_sel:[0,1,0]
	v_pk_fma_f16 v9, v119, v113, v9 op_sel_hi:[1,0,1]
	v_pk_fma_f16 v66, v120, v112, v66 op_sel_hi:[1,0,1]
	v_pk_fma_f16 v67, v121, v112, v67 op_sel_hi:[1,0,1]
	v_pk_fma_f16 v4, v121, v112, v4 op_sel:[0,1,0]
	v_pk_fma_f16 v6, v121, v113, v6 op_sel_hi:[1,0,1]
	v_pk_fma_f16 v5, v121, v113, v5 op_sel:[0,1,0]
	v_pk_fma_f16 v79, v94, v108, v79 op_sel:[0,1,0]
	v_pk_fma_f16 v80, v94, v109, v80 op_sel_hi:[1,0,1]
	v_pk_fma_f16 v73, v120, v112, v73 op_sel:[0,1,0]
	v_pk_fma_f16 v74, v120, v113, v74 op_sel_hi:[1,0,1]
	v_pk_fma_f16 v7, v122, v146, v7 op_sel_hi:[1,0,1]
	v_pk_fma_f16 v10, v122, v146, v10 op_sel:[0,1,0]
	v_pk_fma_f16 v11, v122, v147, v11 op_sel_hi:[1,0,1]
	v_pk_fma_f16 v68, v123, v146, v68 op_sel:[0,1,0]
	v_pk_fma_f16 v69, v123, v147, v69 op_sel_hi:[1,0,1]
	v_pk_fma_f16 v70, v124, v146, v70 op_sel_hi:[1,0,1]
	v_pk_fma_f16 v75, v124, v146, v75 op_sel:[0,1,0]
	v_pk_fma_f16 v76, v124, v147, v76 op_sel_hi:[1,0,1]
	;; [unrolled: 3-line block ×3, first 2 shown]
	v_pk_fma_f16 v84, v142, v151, v60 op_sel:[0,1,0]
	v_pk_fma_f16 v86, v143, v151, v61 op_sel:[0,1,0]
	;; [unrolled: 1-line block ×4, first 2 shown]
	v_pk_fma_f16 v92, v155, v152, v63 op_sel_hi:[1,0,1]
	v_pk_fma_f16 v95, v155, v153, v57 op_sel:[0,1,0]
	v_pk_fma_f16 v97, v156, v153, v58 op_sel:[0,1,0]
	;; [unrolled: 1-line block ×3, first 2 shown]
	s_waitcnt vmcnt(3)
	ds_store_b128 v43, v[162:165]
	s_waitcnt vmcnt(2)
	ds_store_b128 v44, v[166:169]
	;; [unrolled: 2-line block ×4, first 2 shown]
	s_waitcnt lgkmcnt(0)
	s_barrier
	buffer_gl0_inv
	ds_load_2addr_b64 v[56:59], v64 offset1:32
	ds_load_b128 v[60:63], v41 offset:768
	v_pk_fma_f16 v72, v126, v146, v72 op_sel_hi:[1,0,1]
	v_pk_fma_f16 v65, v127, v146, v65 op_sel_hi:[1,0,1]
	v_pk_fma_f16 v8, v127, v146, v8 op_sel:[0,1,0]
	v_pk_fma_f16 v9, v127, v147, v9 op_sel_hi:[1,0,1]
	v_pk_fma_f16 v66, v128, v146, v66 op_sel_hi:[1,0,1]
	v_pk_fma_f16 v67, v129, v146, v67 op_sel_hi:[1,0,1]
	v_pk_fma_f16 v4, v129, v146, v4 op_sel:[0,1,0]
	v_pk_fma_f16 v6, v129, v147, v6 op_sel_hi:[1,0,1]
	v_pk_fma_f16 v5, v129, v147, v5 op_sel:[0,1,0]
	v_pk_fma_f16 v79, v102, v110, v79 op_sel:[0,1,0]
	v_pk_fma_f16 v80, v102, v111, v80 op_sel_hi:[1,0,1]
	v_pk_fma_f16 v73, v128, v146, v73 op_sel:[0,1,0]
	v_pk_fma_f16 v74, v128, v147, v74 op_sel_hi:[1,0,1]
	v_pk_fma_f16 v7, v130, v148, v7 op_sel_hi:[1,0,1]
	v_pk_fma_f16 v10, v130, v148, v10 op_sel:[0,1,0]
	v_pk_fma_f16 v11, v130, v149, v11 op_sel_hi:[1,0,1]
	v_pk_fma_f16 v68, v131, v148, v68 op_sel:[0,1,0]
	v_pk_fma_f16 v69, v131, v149, v69 op_sel_hi:[1,0,1]
	v_pk_fma_f16 v70, v132, v148, v70 op_sel_hi:[1,0,1]
	v_pk_fma_f16 v75, v132, v148, v75 op_sel:[0,1,0]
	v_pk_fma_f16 v76, v132, v149, v76 op_sel_hi:[1,0,1]
	v_pk_fma_f16 v71, v133, v148, v71 op_sel_hi:[1,0,1]
	v_pk_fma_f16 v77, v133, v148, v77 op_sel:[0,1,0]
	v_pk_fma_f16 v78, v133, v149, v78 op_sel_hi:[1,0,1]
	v_pk_fma_f16 v72, v134, v148, v72 op_sel_hi:[1,0,1]
	v_pk_fma_f16 v65, v135, v148, v65 op_sel_hi:[1,0,1]
	v_pk_fma_f16 v8, v135, v148, v8 op_sel:[0,1,0]
	v_pk_fma_f16 v9, v135, v149, v9 op_sel_hi:[1,0,1]
	v_pk_fma_f16 v66, v136, v148, v66 op_sel_hi:[1,0,1]
	v_pk_fma_f16 v67, v137, v148, v67 op_sel_hi:[1,0,1]
	v_pk_fma_f16 v4, v137, v148, v4 op_sel:[0,1,0]
	v_pk_fma_f16 v6, v137, v149, v6 op_sel_hi:[1,0,1]
	v_pk_fma_f16 v5, v137, v149, v5 op_sel:[0,1,0]
	v_pk_fma_f16 v79, v118, v112, v79 op_sel:[0,1,0]
	v_pk_fma_f16 v80, v118, v113, v80 op_sel_hi:[1,0,1]
	v_pk_fma_f16 v73, v136, v148, v73 op_sel:[0,1,0]
	v_pk_fma_f16 v74, v136, v149, v74 op_sel_hi:[1,0,1]
	v_pk_fma_f16 v7, v138, v150, v7 op_sel_hi:[1,0,1]
	v_pk_fma_f16 v10, v138, v150, v10 op_sel:[0,1,0]
	v_pk_fma_f16 v11, v138, v151, v11 op_sel_hi:[1,0,1]
	v_pk_fma_f16 v68, v139, v150, v68 op_sel:[0,1,0]
	v_pk_fma_f16 v69, v139, v151, v69 op_sel_hi:[1,0,1]
	v_pk_fma_f16 v70, v140, v150, v70 op_sel_hi:[1,0,1]
	v_pk_fma_f16 v75, v140, v150, v75 op_sel:[0,1,0]
	v_pk_fma_f16 v76, v140, v151, v76 op_sel_hi:[1,0,1]
	v_pk_fma_f16 v71, v141, v150, v71 op_sel_hi:[1,0,1]
	v_pk_fma_f16 v77, v141, v150, v77 op_sel:[0,1,0]
	v_pk_fma_f16 v78, v141, v151, v78 op_sel_hi:[1,0,1]
	;; [unrolled: 24-line block ×3, first 2 shown]
	v_pk_fma_f16 v100, v158, v152, v72 op_sel_hi:[1,0,1]
	v_pk_fma_f16 v101, v159, v152, v65 op_sel_hi:[1,0,1]
	v_pk_fma_f16 v102, v159, v152, v8 op_sel:[0,1,0]
	v_pk_fma_f16 v103, v159, v153, v9 op_sel_hi:[1,0,1]
	v_pk_fma_f16 v104, v160, v152, v66 op_sel_hi:[1,0,1]
	;; [unrolled: 1-line block ×3, first 2 shown]
	v_pk_fma_f16 v108, v161, v152, v4 op_sel:[0,1,0]
	v_pk_fma_f16 v109, v161, v153, v6 op_sel_hi:[1,0,1]
	v_pk_fma_f16 v110, v161, v153, v5 op_sel:[0,1,0]
	ds_load_2addr_b64 v[65:68], v64 offset0:64 offset1:96
	ds_load_b128 v[69:72], v41 offset:784
	ds_load_b128 v[8:11], v41 offset:800
	;; [unrolled: 1-line block ×3, first 2 shown]
	v_pk_fma_f16 v79, v134, v148, v79 op_sel:[0,1,0]
	v_pk_fma_f16 v80, v134, v149, v80 op_sel_hi:[1,0,1]
	v_pk_fma_f16 v105, v160, v152, v73 op_sel:[0,1,0]
	v_pk_fma_f16 v106, v160, v153, v74 op_sel_hi:[1,0,1]
	s_waitcnt lgkmcnt(4)
	v_pk_fma_f16 v88, v56, v60, v88 op_sel_hi:[1,0,1]
	v_pk_fma_f16 v89, v56, v60, v89 op_sel:[0,1,0]
	v_pk_fma_f16 v90, v56, v61, v90 op_sel_hi:[1,0,1]
	v_pk_fma_f16 v91, v56, v61, v91 op_sel:[0,1,0]
	;; [unrolled: 2-line block ×7, first 2 shown]
	ds_load_2addr_b64 v[73:76], v64 offset0:128 offset1:160
	v_pk_fma_f16 v78, v59, v61, v78 op_sel_hi:[1,0,1]
	v_pk_fma_f16 v99, v59, v61, v99 op_sel:[0,1,0]
	ds_load_2addr_b64 v[56:59], v64 offset0:192 offset1:224
	v_pk_fma_f16 v79, v142, v150, v79 op_sel:[0,1,0]
	v_pk_fma_f16 v80, v142, v151, v80 op_sel_hi:[1,0,1]
	v_pk_fma_f16 v84, v158, v153, v84 op_sel:[0,1,0]
	v_pk_fma_f16 v86, v159, v153, v86 op_sel:[0,1,0]
	;; [unrolled: 1-line block ×4, first 2 shown]
	v_pk_fma_f16 v80, v158, v153, v80 op_sel_hi:[1,0,1]
	s_waitcnt lgkmcnt(5)
	v_pk_fma_f16 v100, v65, v60, v100 op_sel_hi:[1,0,1]
	v_pk_fma_f16 v84, v65, v61, v84 op_sel:[0,1,0]
	v_pk_fma_f16 v101, v66, v60, v101 op_sel_hi:[1,0,1]
	v_pk_fma_f16 v79, v65, v60, v79 op_sel:[0,1,0]
	;; [unrolled: 2-line block ×8, first 2 shown]
	ds_load_2addr_b64 v[65:68], v53 offset1:32
	s_waitcnt lgkmcnt(2)
	v_pk_fma_f16 v88, v73, v62, v88 op_sel_hi:[1,0,1]
	v_pk_fma_f16 v89, v73, v62, v89 op_sel:[0,1,0]
	v_pk_fma_f16 v90, v73, v63, v90 op_sel_hi:[1,0,1]
	v_pk_fma_f16 v91, v73, v63, v91 op_sel:[0,1,0]
	;; [unrolled: 2-line block ×8, first 2 shown]
	s_waitcnt lgkmcnt(1)
	v_pk_fma_f16 v100, v56, v62, v100 op_sel_hi:[1,0,1]
	v_pk_fma_f16 v79, v56, v62, v79 op_sel:[0,1,0]
	v_pk_fma_f16 v80, v56, v63, v80 op_sel_hi:[1,0,1]
	v_pk_fma_f16 v84, v56, v63, v84 op_sel:[0,1,0]
	;; [unrolled: 2-line block ×7, first 2 shown]
	ds_load_2addr_b64 v[73:76], v53 offset0:64 offset1:96
	v_pk_fma_f16 v108, v59, v63, v108 op_sel_hi:[1,0,1]
	v_pk_fma_f16 v111, v59, v63, v61 op_sel:[0,1,0]
	ds_load_2addr_b64 v[56:59], v53 offset0:128 offset1:160
	s_waitcnt lgkmcnt(2)
	v_pk_fma_f16 v88, v65, v69, v88 op_sel_hi:[1,0,1]
	v_pk_fma_f16 v89, v65, v69, v89 op_sel:[0,1,0]
	v_pk_fma_f16 v90, v65, v70, v90 op_sel_hi:[1,0,1]
	v_pk_fma_f16 v65, v65, v70, v91 op_sel:[0,1,0]
	;; [unrolled: 2-line block ×8, first 2 shown]
	s_waitcnt lgkmcnt(1)
	v_pk_fma_f16 v99, v73, v69, v100 op_sel_hi:[1,0,1]
	v_pk_fma_f16 v79, v73, v69, v79 op_sel:[0,1,0]
	v_pk_fma_f16 v80, v73, v70, v80 op_sel_hi:[1,0,1]
	v_pk_fma_f16 v73, v73, v70, v84 op_sel:[0,1,0]
	;; [unrolled: 2-line block ×7, first 2 shown]
	ds_load_2addr_b64 v[60:63], v53 offset0:192 offset1:224
	v_pk_fma_f16 v104, v76, v70, v108 op_sel_hi:[1,0,1]
	v_pk_fma_f16 v70, v76, v70, v111 op_sel:[0,1,0]
	s_waitcnt lgkmcnt(1)
	v_pk_fma_f16 v76, v56, v71, v88 op_sel_hi:[1,0,1]
	v_pk_fma_f16 v88, v56, v71, v89 op_sel:[0,1,0]
	v_pk_fma_f16 v89, v56, v72, v90 op_sel_hi:[1,0,1]
	v_pk_fma_f16 v90, v56, v72, v65 op_sel:[0,1,0]
	v_pk_fma_f16 v105, v57, v72, v66 op_sel:[0,1,0]
	;; [unrolled: 1-line block ×3, first 2 shown]
	ds_load_2addr_b64 v[65:68], v54 offset1:32
	v_pk_fma_f16 v91, v57, v71, v91 op_sel_hi:[1,0,1]
	v_pk_fma_f16 v92, v57, v71, v92 op_sel:[0,1,0]
	v_pk_fma_f16 v93, v57, v72, v93 op_sel_hi:[1,0,1]
	v_pk_fma_f16 v94, v58, v71, v94 op_sel_hi:[1,0,1]
	v_pk_fma_f16 v95, v58, v71, v95 op_sel:[0,1,0]
	v_pk_fma_f16 v96, v58, v72, v96 op_sel_hi:[1,0,1]
	;; [unrolled: 3-line block ×3, first 2 shown]
	v_pk_fma_f16 v98, v59, v72, v98 op_sel:[0,1,0]
	ds_load_2addr_b64 v[56:59], v54 offset0:64 offset1:96
	s_or_b32 s8, s3, 0x70
	s_waitcnt lgkmcnt(2)
	v_pk_fma_f16 v99, v60, v71, v99 op_sel_hi:[1,0,1]
	v_pk_fma_f16 v79, v60, v71, v79 op_sel:[0,1,0]
	v_pk_fma_f16 v80, v60, v72, v80 op_sel_hi:[1,0,1]
	v_pk_fma_f16 v73, v60, v72, v73 op_sel:[0,1,0]
	;; [unrolled: 2-line block ×8, first 2 shown]
	s_waitcnt lgkmcnt(1)
	v_pk_fma_f16 v72, v65, v8, v76 op_sel_hi:[1,0,1]
	v_pk_fma_f16 v76, v65, v8, v88 op_sel:[0,1,0]
	v_pk_fma_f16 v88, v65, v9, v89 op_sel_hi:[1,0,1]
	v_pk_fma_f16 v89, v65, v9, v90 op_sel:[0,1,0]
	;; [unrolled: 2-line block ×7, first 2 shown]
	ds_load_2addr_b64 v[60:63], v54 offset0:128 offset1:160
	v_pk_fma_f16 v78, v68, v9, v78 op_sel_hi:[1,0,1]
	v_pk_fma_f16 v98, v68, v9, v98 op_sel:[0,1,0]
	ds_load_2addr_b64 v[65:68], v54 offset0:192 offset1:224
	s_mul_hi_i32 s21, s8, s10
	s_mul_i32 s20, s8, s10
	s_waitcnt lgkmcnt(2)
	v_pk_fma_f16 v99, v56, v8, v99 op_sel_hi:[1,0,1]
	s_lshl_b64 s[20:21], s[20:21], 2
	v_pk_fma_f16 v79, v56, v8, v79 op_sel:[0,1,0]
	s_add_u32 s8, s11, s20
	v_pk_fma_f16 v80, v56, v9, v80 op_sel_hi:[1,0,1]
	v_pk_fma_f16 v56, v56, v9, v73 op_sel:[0,1,0]
	v_pk_fma_f16 v73, v57, v8, v84 op_sel_hi:[1,0,1]
	v_pk_fma_f16 v84, v57, v8, v100 op_sel:[0,1,0]
	;; [unrolled: 2-line block ×4, first 2 shown]
	s_addc_u32 s20, s17, s21
	v_add_co_u32 v8, vcc_lo, s8, v27
	v_pk_fma_f16 v178, v57, v9, v101 op_sel_hi:[1,0,1]
	v_pk_fma_f16 v179, v57, v9, v74 op_sel:[0,1,0]
	v_pk_fma_f16 v182, v58, v9, v103 op_sel_hi:[1,0,1]
	v_pk_fma_f16 v183, v58, v9, v75 op_sel:[0,1,0]
	;; [unrolled: 2-line block ×3, first 2 shown]
	v_add_co_ci_u32_e32 v9, vcc_lo, s20, v28, vcc_lo
	v_add_co_u32 v162, vcc_lo, s8, v29
	v_add_co_ci_u32_e32 v163, vcc_lo, s20, v30, vcc_lo
	v_add_co_u32 v8, vcc_lo, v8, v39
	s_delay_alu instid0(VALU_DEP_4) | instskip(NEXT) | instid1(VALU_DEP_4)
	v_add_co_ci_u32_e32 v9, vcc_lo, 0, v9, vcc_lo
	v_add_co_u32 v174, vcc_lo, v162, v39
	s_delay_alu instid0(VALU_DEP_4)
	v_add_co_ci_u32_e32 v175, vcc_lo, 0, v163, vcc_lo
	s_waitcnt lgkmcnt(1)
	v_pk_fma_f16 v188, v60, v10, v72 op_sel_hi:[1,0,1]
	v_pk_fma_f16 v189, v60, v10, v76 op_sel:[0,1,0]
	v_pk_fma_f16 v190, v60, v11, v88 op_sel_hi:[1,0,1]
	v_pk_fma_f16 v191, v60, v11, v89 op_sel:[0,1,0]
	v_pk_fma_f16 v192, v61, v10, v90 op_sel_hi:[1,0,1]
	v_pk_fma_f16 v193, v61, v10, v91 op_sel:[0,1,0]
	v_pk_fma_f16 v194, v61, v11, v92 op_sel_hi:[1,0,1]
	v_pk_fma_f16 v195, v61, v11, v93 op_sel:[0,1,0]
	v_pk_fma_f16 v196, v62, v10, v94 op_sel_hi:[1,0,1]
	v_pk_fma_f16 v197, v62, v10, v95 op_sel:[0,1,0]
	v_pk_fma_f16 v198, v62, v11, v96 op_sel_hi:[1,0,1]
	v_pk_fma_f16 v199, v62, v11, v104 op_sel:[0,1,0]
	v_pk_fma_f16 v200, v63, v10, v97 op_sel_hi:[1,0,1]
	v_pk_fma_f16 v201, v63, v10, v77 op_sel:[0,1,0]
	v_pk_fma_f16 v202, v63, v11, v78 op_sel_hi:[1,0,1]
	v_pk_fma_f16 v203, v63, v11, v98 op_sel:[0,1,0]
	s_waitcnt lgkmcnt(0)
	v_pk_fma_f16 v204, v65, v10, v99 op_sel_hi:[1,0,1]
	v_pk_fma_f16 v205, v65, v10, v79 op_sel:[0,1,0]
	v_pk_fma_f16 v206, v65, v11, v80 op_sel_hi:[1,0,1]
	v_pk_fma_f16 v65, v65, v11, v56 op_sel:[0,1,0]
	v_pk_fma_f16 v207, v66, v10, v73 op_sel_hi:[1,0,1]
	ds_load_2addr_b64 v[56:59], v55 offset1:32
	ds_load_2addr_b64 v[60:63], v55 offset0:64 offset1:96
	ds_load_2addr_b64 v[69:72], v55 offset0:128 offset1:160
	;; [unrolled: 1-line block ×3, first 2 shown]
	ds_load_2addr_b64 v[77:80], v52 offset1:32
	ds_load_2addr_b64 v[86:89], v52 offset0:64 offset1:96
	ds_load_2addr_b64 v[90:93], v52 offset0:128 offset1:160
	;; [unrolled: 1-line block ×3, first 2 shown]
	ds_load_2addr_b64 v[98:101], v51 offset1:32
	ds_load_2addr_b64 v[102:105], v51 offset0:64 offset1:96
	ds_load_b128 v[106:109], v41 offset:832
	ds_load_b128 v[110:113], v41 offset:848
	ds_load_2addr_b64 v[114:117], v51 offset0:128 offset1:160
	ds_load_2addr_b64 v[118:121], v51 offset0:192 offset1:224
	ds_load_2addr_b64 v[122:125], v49 offset1:32
	ds_load_2addr_b64 v[126:129], v49 offset0:64 offset1:96
	ds_load_2addr_b64 v[130:133], v49 offset0:128 offset1:160
	;; [unrolled: 1-line block ×3, first 2 shown]
	ds_load_2addr_b64 v[138:141], v48 offset1:32
	ds_load_2addr_b64 v[142:145], v48 offset0:64 offset1:96
	ds_load_b128 v[146:149], v41 offset:864
	ds_load_b128 v[150:153], v41 offset:880
	ds_load_2addr_b64 v[154:157], v48 offset0:128 offset1:160
	ds_load_2addr_b64 v[158:161], v48 offset0:192 offset1:224
	s_waitcnt lgkmcnt(0)
	s_barrier
	buffer_gl0_inv
	s_clause 0x3
	global_load_b128 v[162:165], v[8:9], off
	global_load_b128 v[166:169], v[8:9], off offset:512
	global_load_b128 v[170:173], v[174:175], off
	global_load_b128 v[174:177], v[174:175], off offset:512
	v_pk_fma_f16 v8, v66, v10, v84 op_sel:[0,1,0]
	v_pk_fma_f16 v9, v66, v11, v178 op_sel_hi:[1,0,1]
	v_pk_fma_f16 v66, v66, v11, v179 op_sel:[0,1,0]
	v_pk_fma_f16 v84, v67, v10, v180 op_sel_hi:[1,0,1]
	v_pk_fma_f16 v178, v67, v10, v181 op_sel:[0,1,0]
	v_pk_fma_f16 v179, v67, v11, v182 op_sel_hi:[1,0,1]
	v_pk_fma_f16 v67, v67, v11, v183 op_sel:[0,1,0]
	v_pk_fma_f16 v180, v68, v10, v184 op_sel_hi:[1,0,1]
	v_pk_fma_f16 v10, v68, v10, v185 op_sel:[0,1,0]
	v_pk_fma_f16 v181, v68, v11, v186 op_sel_hi:[1,0,1]
	v_pk_fma_f16 v11, v68, v11, v187 op_sel:[0,1,0]
	v_pk_fma_f16 v68, v56, v4, v188 op_sel_hi:[1,0,1]
	v_pk_fma_f16 v182, v56, v4, v189 op_sel:[0,1,0]
	v_pk_fma_f16 v183, v56, v5, v190 op_sel_hi:[1,0,1]
	v_pk_fma_f16 v56, v56, v5, v191 op_sel:[0,1,0]
	v_pk_fma_f16 v184, v57, v4, v192 op_sel_hi:[1,0,1]
	v_pk_fma_f16 v185, v57, v4, v193 op_sel:[0,1,0]
	v_pk_fma_f16 v186, v57, v5, v194 op_sel_hi:[1,0,1]
	v_pk_fma_f16 v57, v57, v5, v195 op_sel:[0,1,0]
	v_pk_fma_f16 v187, v58, v4, v196 op_sel_hi:[1,0,1]
	v_pk_fma_f16 v188, v58, v4, v197 op_sel:[0,1,0]
	v_pk_fma_f16 v189, v58, v5, v198 op_sel_hi:[1,0,1]
	v_pk_fma_f16 v58, v58, v5, v199 op_sel:[0,1,0]
	v_pk_fma_f16 v190, v59, v4, v200 op_sel_hi:[1,0,1]
	v_pk_fma_f16 v191, v59, v4, v201 op_sel:[0,1,0]
	v_pk_fma_f16 v192, v59, v5, v202 op_sel_hi:[1,0,1]
	v_pk_fma_f16 v59, v59, v5, v203 op_sel:[0,1,0]
	v_pk_fma_f16 v193, v60, v4, v204 op_sel_hi:[1,0,1]
	v_pk_fma_f16 v194, v60, v4, v205 op_sel:[0,1,0]
	v_pk_fma_f16 v195, v60, v5, v206 op_sel_hi:[1,0,1]
	v_pk_fma_f16 v60, v60, v5, v65 op_sel:[0,1,0]
	v_pk_fma_f16 v65, v61, v4, v207 op_sel_hi:[1,0,1]
	v_pk_fma_f16 v8, v61, v4, v8 op_sel:[0,1,0]
	v_pk_fma_f16 v9, v61, v5, v9 op_sel_hi:[1,0,1]
	v_pk_fma_f16 v61, v61, v5, v66 op_sel:[0,1,0]
	v_pk_fma_f16 v66, v62, v4, v84 op_sel_hi:[1,0,1]
	v_pk_fma_f16 v84, v62, v4, v178 op_sel:[0,1,0]
	v_pk_fma_f16 v178, v62, v5, v179 op_sel_hi:[1,0,1]
	v_pk_fma_f16 v62, v62, v5, v67 op_sel:[0,1,0]
	v_pk_fma_f16 v67, v63, v4, v180 op_sel_hi:[1,0,1]
	v_pk_fma_f16 v4, v63, v4, v10 op_sel:[0,1,0]
	v_pk_fma_f16 v10, v63, v5, v181 op_sel_hi:[1,0,1]
	v_pk_fma_f16 v5, v63, v5, v11 op_sel:[0,1,0]
	v_pk_fma_f16 v11, v69, v6, v68 op_sel_hi:[1,0,1]
	v_pk_fma_f16 v63, v69, v6, v182 op_sel:[0,1,0]
	v_pk_fma_f16 v68, v69, v7, v183 op_sel_hi:[1,0,1]
	v_pk_fma_f16 v56, v69, v7, v56 op_sel:[0,1,0]
	v_pk_fma_f16 v69, v70, v6, v184 op_sel_hi:[1,0,1]
	v_pk_fma_f16 v179, v70, v6, v185 op_sel:[0,1,0]
	v_pk_fma_f16 v180, v70, v7, v186 op_sel_hi:[1,0,1]
	v_pk_fma_f16 v57, v70, v7, v57 op_sel:[0,1,0]
	v_pk_fma_f16 v70, v71, v6, v187 op_sel_hi:[1,0,1]
	v_pk_fma_f16 v181, v71, v6, v188 op_sel:[0,1,0]
	v_pk_fma_f16 v182, v71, v7, v189 op_sel_hi:[1,0,1]
	v_pk_fma_f16 v58, v71, v7, v58 op_sel:[0,1,0]
	v_pk_fma_f16 v71, v72, v6, v190 op_sel_hi:[1,0,1]
	v_pk_fma_f16 v183, v72, v6, v191 op_sel:[0,1,0]
	v_pk_fma_f16 v184, v72, v7, v192 op_sel_hi:[1,0,1]
	v_pk_fma_f16 v59, v72, v7, v59 op_sel:[0,1,0]
	v_pk_fma_f16 v72, v73, v6, v193 op_sel_hi:[1,0,1]
	v_pk_fma_f16 v185, v73, v6, v194 op_sel:[0,1,0]
	v_pk_fma_f16 v186, v73, v7, v195 op_sel_hi:[1,0,1]
	v_pk_fma_f16 v60, v73, v7, v60 op_sel:[0,1,0]
	v_pk_fma_f16 v65, v74, v6, v65 op_sel_hi:[1,0,1]
	v_pk_fma_f16 v8, v74, v6, v8 op_sel:[0,1,0]
	v_pk_fma_f16 v9, v74, v7, v9 op_sel_hi:[1,0,1]
	v_pk_fma_f16 v61, v74, v7, v61 op_sel:[0,1,0]
	v_pk_fma_f16 v66, v75, v6, v66 op_sel_hi:[1,0,1]
	v_pk_fma_f16 v73, v75, v6, v84 op_sel:[0,1,0]
	v_pk_fma_f16 v74, v75, v7, v178 op_sel_hi:[1,0,1]
	v_pk_fma_f16 v62, v75, v7, v62 op_sel:[0,1,0]
	v_pk_fma_f16 v67, v76, v6, v67 op_sel_hi:[1,0,1]
	v_pk_fma_f16 v4, v76, v6, v4 op_sel:[0,1,0]
	v_pk_fma_f16 v6, v76, v7, v10 op_sel_hi:[1,0,1]
	v_pk_fma_f16 v5, v76, v7, v5 op_sel:[0,1,0]
	v_pk_fma_f16 v7, v77, v106, v11 op_sel_hi:[1,0,1]
	v_pk_fma_f16 v10, v77, v106, v63 op_sel:[0,1,0]
	v_pk_fma_f16 v11, v77, v107, v68 op_sel_hi:[1,0,1]
	v_pk_fma_f16 v8, v87, v106, v8 op_sel:[0,1,0]
	v_pk_fma_f16 v9, v87, v107, v9 op_sel_hi:[1,0,1]
	v_pk_fma_f16 v4, v89, v106, v4 op_sel:[0,1,0]
	v_pk_fma_f16 v6, v89, v107, v6 op_sel_hi:[1,0,1]
	v_pk_fma_f16 v5, v89, v107, v5 op_sel:[0,1,0]
	v_pk_fma_f16 v7, v90, v108, v7 op_sel_hi:[1,0,1]
	v_pk_fma_f16 v10, v90, v108, v10 op_sel:[0,1,0]
	v_pk_fma_f16 v11, v90, v109, v11 op_sel_hi:[1,0,1]
	v_pk_fma_f16 v8, v95, v108, v8 op_sel:[0,1,0]
	v_pk_fma_f16 v9, v95, v109, v9 op_sel_hi:[1,0,1]
	v_pk_fma_f16 v4, v97, v108, v4 op_sel:[0,1,0]
	v_pk_fma_f16 v6, v97, v109, v6 op_sel_hi:[1,0,1]
	v_pk_fma_f16 v5, v97, v109, v5 op_sel:[0,1,0]
	v_pk_fma_f16 v7, v98, v110, v7 op_sel_hi:[1,0,1]
	v_pk_fma_f16 v10, v98, v110, v10 op_sel:[0,1,0]
	v_pk_fma_f16 v11, v98, v111, v11 op_sel_hi:[1,0,1]
	v_pk_fma_f16 v56, v77, v107, v56 op_sel:[0,1,0]
	v_pk_fma_f16 v63, v78, v106, v69 op_sel_hi:[1,0,1]
	v_pk_fma_f16 v68, v78, v106, v179 op_sel:[0,1,0]
	v_pk_fma_f16 v69, v78, v107, v180 op_sel_hi:[1,0,1]
	v_pk_fma_f16 v57, v78, v107, v57 op_sel:[0,1,0]
	v_pk_fma_f16 v70, v79, v106, v70 op_sel_hi:[1,0,1]
	v_pk_fma_f16 v75, v79, v106, v181 op_sel:[0,1,0]
	v_pk_fma_f16 v76, v79, v107, v182 op_sel_hi:[1,0,1]
	v_pk_fma_f16 v58, v79, v107, v58 op_sel:[0,1,0]
	v_pk_fma_f16 v71, v80, v106, v71 op_sel_hi:[1,0,1]
	v_pk_fma_f16 v77, v80, v106, v183 op_sel:[0,1,0]
	v_pk_fma_f16 v78, v80, v107, v184 op_sel_hi:[1,0,1]
	v_pk_fma_f16 v59, v80, v107, v59 op_sel:[0,1,0]
	v_pk_fma_f16 v8, v103, v110, v8 op_sel:[0,1,0]
	v_pk_fma_f16 v9, v103, v111, v9 op_sel_hi:[1,0,1]
	v_pk_fma_f16 v4, v105, v110, v4 op_sel:[0,1,0]
	v_pk_fma_f16 v6, v105, v111, v6 op_sel_hi:[1,0,1]
	v_pk_fma_f16 v5, v105, v111, v5 op_sel:[0,1,0]
	v_pk_fma_f16 v7, v114, v112, v7 op_sel_hi:[1,0,1]
	v_pk_fma_f16 v10, v114, v112, v10 op_sel:[0,1,0]
	v_pk_fma_f16 v11, v114, v113, v11 op_sel_hi:[1,0,1]
	v_pk_fma_f16 v72, v86, v106, v72 op_sel_hi:[1,0,1]
	v_pk_fma_f16 v60, v86, v107, v60 op_sel:[0,1,0]
	v_pk_fma_f16 v65, v87, v106, v65 op_sel_hi:[1,0,1]
	v_pk_fma_f16 v61, v87, v107, v61 op_sel:[0,1,0]
	v_pk_fma_f16 v66, v88, v106, v66 op_sel_hi:[1,0,1]
	v_pk_fma_f16 v62, v88, v107, v62 op_sel:[0,1,0]
	v_pk_fma_f16 v67, v89, v106, v67 op_sel_hi:[1,0,1]
	v_pk_fma_f16 v73, v88, v106, v73 op_sel:[0,1,0]
	v_pk_fma_f16 v74, v88, v107, v74 op_sel_hi:[1,0,1]
	v_pk_fma_f16 v56, v90, v109, v56 op_sel:[0,1,0]
	v_pk_fma_f16 v63, v91, v108, v63 op_sel_hi:[1,0,1]
	v_pk_fma_f16 v68, v91, v108, v68 op_sel:[0,1,0]
	v_pk_fma_f16 v69, v91, v109, v69 op_sel_hi:[1,0,1]
	v_pk_fma_f16 v57, v91, v109, v57 op_sel:[0,1,0]
	v_pk_fma_f16 v70, v92, v108, v70 op_sel_hi:[1,0,1]
	v_pk_fma_f16 v75, v92, v108, v75 op_sel:[0,1,0]
	v_pk_fma_f16 v76, v92, v109, v76 op_sel_hi:[1,0,1]
	v_pk_fma_f16 v58, v92, v109, v58 op_sel:[0,1,0]
	v_pk_fma_f16 v71, v93, v108, v71 op_sel_hi:[1,0,1]
	v_pk_fma_f16 v77, v93, v108, v77 op_sel:[0,1,0]
	v_pk_fma_f16 v78, v93, v109, v78 op_sel_hi:[1,0,1]
	v_pk_fma_f16 v59, v93, v109, v59 op_sel:[0,1,0]
	v_pk_fma_f16 v8, v119, v112, v8 op_sel:[0,1,0]
	v_pk_fma_f16 v9, v119, v113, v9 op_sel_hi:[1,0,1]
	v_pk_fma_f16 v4, v121, v112, v4 op_sel:[0,1,0]
	v_pk_fma_f16 v6, v121, v113, v6 op_sel_hi:[1,0,1]
	v_pk_fma_f16 v5, v121, v113, v5 op_sel:[0,1,0]
	v_pk_fma_f16 v7, v122, v146, v7 op_sel_hi:[1,0,1]
	v_pk_fma_f16 v10, v122, v146, v10 op_sel:[0,1,0]
	v_pk_fma_f16 v11, v122, v147, v11 op_sel_hi:[1,0,1]
	v_pk_fma_f16 v72, v94, v108, v72 op_sel_hi:[1,0,1]
	v_pk_fma_f16 v60, v94, v109, v60 op_sel:[0,1,0]
	v_pk_fma_f16 v65, v95, v108, v65 op_sel_hi:[1,0,1]
	v_pk_fma_f16 v61, v95, v109, v61 op_sel:[0,1,0]
	v_pk_fma_f16 v66, v96, v108, v66 op_sel_hi:[1,0,1]
	v_pk_fma_f16 v62, v96, v109, v62 op_sel:[0,1,0]
	v_pk_fma_f16 v67, v97, v108, v67 op_sel_hi:[1,0,1]
	v_pk_fma_f16 v73, v96, v108, v73 op_sel:[0,1,0]
	v_pk_fma_f16 v74, v96, v109, v74 op_sel_hi:[1,0,1]
	v_pk_fma_f16 v56, v98, v111, v56 op_sel:[0,1,0]
	v_pk_fma_f16 v63, v99, v110, v63 op_sel_hi:[1,0,1]
	v_pk_fma_f16 v68, v99, v110, v68 op_sel:[0,1,0]
	v_pk_fma_f16 v69, v99, v111, v69 op_sel_hi:[1,0,1]
	v_pk_fma_f16 v57, v99, v111, v57 op_sel:[0,1,0]
	v_pk_fma_f16 v70, v100, v110, v70 op_sel_hi:[1,0,1]
	v_pk_fma_f16 v75, v100, v110, v75 op_sel:[0,1,0]
	v_pk_fma_f16 v76, v100, v111, v76 op_sel_hi:[1,0,1]
	v_pk_fma_f16 v58, v100, v111, v58 op_sel:[0,1,0]
	v_pk_fma_f16 v71, v101, v110, v71 op_sel_hi:[1,0,1]
	v_pk_fma_f16 v77, v101, v110, v77 op_sel:[0,1,0]
	v_pk_fma_f16 v78, v101, v111, v78 op_sel_hi:[1,0,1]
	;; [unrolled: 30-line block ×3, first 2 shown]
	v_pk_fma_f16 v77, v117, v112, v77 op_sel:[0,1,0]
	v_pk_fma_f16 v78, v117, v113, v78 op_sel_hi:[1,0,1]
	v_pk_fma_f16 v59, v117, v113, v59 op_sel:[0,1,0]
	v_pk_fma_f16 v8, v135, v148, v8 op_sel:[0,1,0]
	v_pk_fma_f16 v9, v135, v149, v9 op_sel_hi:[1,0,1]
	v_pk_fma_f16 v4, v137, v148, v4 op_sel:[0,1,0]
	v_pk_fma_f16 v6, v137, v149, v6 op_sel_hi:[1,0,1]
	;; [unrolled: 2-line block ×4, first 2 shown]
	v_pk_fma_f16 v72, v118, v112, v72 op_sel_hi:[1,0,1]
	v_pk_fma_f16 v60, v118, v113, v60 op_sel:[0,1,0]
	v_pk_fma_f16 v65, v119, v112, v65 op_sel_hi:[1,0,1]
	v_pk_fma_f16 v61, v119, v113, v61 op_sel:[0,1,0]
	;; [unrolled: 2-line block ×12, first 2 shown]
	v_pk_fma_f16 v84, v143, v150, v8 op_sel:[0,1,0]
	v_pk_fma_f16 v86, v143, v151, v9 op_sel_hi:[1,0,1]
	v_pk_fma_f16 v87, v145, v150, v4 op_sel:[0,1,0]
	v_pk_fma_f16 v88, v145, v151, v6 op_sel_hi:[1,0,1]
	;; [unrolled: 2-line block ×4, first 2 shown]
	s_waitcnt vmcnt(3)
	ds_store_b128 v43, v[162:165]
	s_waitcnt vmcnt(2)
	ds_store_b128 v44, v[166:169]
	;; [unrolled: 2-line block ×4, first 2 shown]
	s_waitcnt lgkmcnt(0)
	s_barrier
	buffer_gl0_inv
	ds_load_2addr_b64 v[4:7], v64 offset1:32
	ds_load_b128 v[8:11], v41 offset:896
	v_pk_fma_f16 v72, v126, v146, v72 op_sel_hi:[1,0,1]
	v_pk_fma_f16 v60, v126, v147, v60 op_sel:[0,1,0]
	v_pk_fma_f16 v65, v127, v146, v65 op_sel_hi:[1,0,1]
	v_pk_fma_f16 v61, v127, v147, v61 op_sel:[0,1,0]
	;; [unrolled: 2-line block ×39, first 2 shown]
	v_pk_fma_f16 v110, v161, v152, v67 op_sel_hi:[1,0,1]
	ds_load_2addr_b64 v[56:59], v64 offset0:64 offset1:96
	ds_load_b128 v[60:63], v41 offset:912
	ds_load_b128 v[65:68], v41 offset:928
	;; [unrolled: 1-line block ×3, first 2 shown]
	v_pk_fma_f16 v79, v134, v148, v79 op_sel:[0,1,0]
	v_pk_fma_f16 v80, v134, v149, v80 op_sel_hi:[1,0,1]
	v_pk_fma_f16 v107, v160, v152, v73 op_sel:[0,1,0]
	v_pk_fma_f16 v108, v160, v153, v74 op_sel_hi:[1,0,1]
	s_waitcnt lgkmcnt(4)
	v_pk_fma_f16 v90, v4, v8, v90 op_sel_hi:[1,0,1]
	v_pk_fma_f16 v91, v4, v8, v91 op_sel:[0,1,0]
	v_pk_fma_f16 v92, v4, v9, v92 op_sel_hi:[1,0,1]
	v_pk_fma_f16 v93, v4, v9, v93 op_sel:[0,1,0]
	;; [unrolled: 2-line block ×7, first 2 shown]
	ds_load_2addr_b64 v[73:76], v64 offset0:128 offset1:160
	v_pk_fma_f16 v78, v7, v9, v78 op_sel_hi:[1,0,1]
	v_pk_fma_f16 v101, v7, v9, v101 op_sel:[0,1,0]
	ds_load_2addr_b64 v[4:7], v64 offset0:192 offset1:224
	v_pk_fma_f16 v79, v142, v150, v79 op_sel:[0,1,0]
	v_pk_fma_f16 v80, v142, v151, v80 op_sel_hi:[1,0,1]
	v_pk_fma_f16 v84, v159, v152, v84 op_sel:[0,1,0]
	v_pk_fma_f16 v86, v159, v153, v86 op_sel_hi:[1,0,1]
	v_pk_fma_f16 v87, v161, v152, v87 op_sel:[0,1,0]
	v_pk_fma_f16 v79, v158, v152, v79 op_sel:[0,1,0]
	v_pk_fma_f16 v80, v158, v153, v80 op_sel_hi:[1,0,1]
	v_pk_fma_f16 v88, v161, v153, v88 op_sel_hi:[1,0,1]
	v_pk_fma_f16 v89, v161, v153, v89 op_sel:[0,1,0]
	s_waitcnt lgkmcnt(5)
	v_pk_fma_f16 v102, v56, v8, v102 op_sel_hi:[1,0,1]
	v_pk_fma_f16 v79, v56, v8, v79 op_sel:[0,1,0]
	v_pk_fma_f16 v80, v56, v9, v80 op_sel_hi:[1,0,1]
	v_pk_fma_f16 v103, v56, v9, v103 op_sel:[0,1,0]
	;; [unrolled: 2-line block ×8, first 2 shown]
	ds_load_2addr_b64 v[56:59], v53 offset1:32
	s_waitcnt lgkmcnt(2)
	v_pk_fma_f16 v87, v73, v10, v90 op_sel_hi:[1,0,1]
	v_pk_fma_f16 v88, v73, v10, v91 op_sel:[0,1,0]
	v_pk_fma_f16 v89, v73, v11, v92 op_sel_hi:[1,0,1]
	v_pk_fma_f16 v90, v73, v11, v93 op_sel:[0,1,0]
	;; [unrolled: 2-line block ×8, first 2 shown]
	s_waitcnt lgkmcnt(1)
	v_pk_fma_f16 v101, v4, v10, v102 op_sel_hi:[1,0,1]
	v_pk_fma_f16 v79, v4, v10, v79 op_sel:[0,1,0]
	v_pk_fma_f16 v80, v4, v11, v80 op_sel_hi:[1,0,1]
	v_pk_fma_f16 v102, v4, v11, v103 op_sel:[0,1,0]
	;; [unrolled: 2-line block ×7, first 2 shown]
	ds_load_2addr_b64 v[73:76], v53 offset0:64 offset1:96
	v_pk_fma_f16 v64, v7, v11, v64 op_sel_hi:[1,0,1]
	v_pk_fma_f16 v110, v7, v11, v9 op_sel:[0,1,0]
	ds_load_2addr_b64 v[4:7], v53 offset0:128 offset1:160
	s_waitcnt lgkmcnt(2)
	v_pk_fma_f16 v87, v56, v60, v87 op_sel_hi:[1,0,1]
	v_pk_fma_f16 v88, v56, v60, v88 op_sel:[0,1,0]
	v_pk_fma_f16 v89, v56, v61, v89 op_sel_hi:[1,0,1]
	v_pk_fma_f16 v56, v56, v61, v90 op_sel:[0,1,0]
	;; [unrolled: 2-line block ×8, first 2 shown]
	s_waitcnt lgkmcnt(1)
	v_pk_fma_f16 v98, v73, v60, v101 op_sel_hi:[1,0,1]
	v_pk_fma_f16 v79, v73, v60, v79 op_sel:[0,1,0]
	v_pk_fma_f16 v80, v73, v61, v80 op_sel_hi:[1,0,1]
	v_pk_fma_f16 v73, v73, v61, v102 op_sel:[0,1,0]
	;; [unrolled: 2-line block ×7, first 2 shown]
	ds_load_2addr_b64 v[8:11], v53 offset0:192 offset1:224
	v_pk_fma_f16 v53, v76, v61, v64 op_sel_hi:[1,0,1]
	v_pk_fma_f16 v61, v76, v61, v110 op_sel:[0,1,0]
	s_waitcnt lgkmcnt(1)
	v_pk_fma_f16 v64, v4, v62, v87 op_sel_hi:[1,0,1]
	v_pk_fma_f16 v76, v4, v62, v88 op_sel:[0,1,0]
	v_pk_fma_f16 v87, v4, v63, v89 op_sel_hi:[1,0,1]
	v_pk_fma_f16 v88, v4, v63, v56 op_sel:[0,1,0]
	;; [unrolled: 2-line block ×4, first 2 shown]
	v_pk_fma_f16 v104, v6, v63, v58 op_sel:[0,1,0]
	ds_load_2addr_b64 v[56:59], v54 offset1:32
	v_pk_fma_f16 v93, v6, v62, v93 op_sel_hi:[1,0,1]
	v_pk_fma_f16 v94, v6, v62, v94 op_sel:[0,1,0]
	v_pk_fma_f16 v95, v6, v63, v95 op_sel_hi:[1,0,1]
	v_pk_fma_f16 v96, v7, v62, v96 op_sel_hi:[1,0,1]
	v_pk_fma_f16 v77, v7, v62, v77 op_sel:[0,1,0]
	v_pk_fma_f16 v78, v7, v63, v78 op_sel_hi:[1,0,1]
	v_pk_fma_f16 v97, v7, v63, v97 op_sel:[0,1,0]
	ds_load_2addr_b64 v[4:7], v54 offset0:64 offset1:96
	s_waitcnt lgkmcnt(2)
	v_pk_fma_f16 v98, v8, v62, v98 op_sel_hi:[1,0,1]
	v_pk_fma_f16 v79, v8, v62, v79 op_sel:[0,1,0]
	v_pk_fma_f16 v80, v8, v63, v80 op_sel_hi:[1,0,1]
	v_pk_fma_f16 v73, v8, v63, v73 op_sel:[0,1,0]
	;; [unrolled: 2-line block ×8, first 2 shown]
	s_waitcnt lgkmcnt(1)
	v_pk_fma_f16 v62, v56, v65, v64 op_sel_hi:[1,0,1]
	v_pk_fma_f16 v63, v56, v65, v76 op_sel:[0,1,0]
	v_pk_fma_f16 v64, v56, v66, v87 op_sel_hi:[1,0,1]
	v_pk_fma_f16 v76, v56, v66, v88 op_sel:[0,1,0]
	;; [unrolled: 2-line block ×7, first 2 shown]
	ds_load_2addr_b64 v[8:11], v54 offset0:128 offset1:160
	v_pk_fma_f16 v78, v59, v66, v78 op_sel_hi:[1,0,1]
	v_pk_fma_f16 v96, v59, v66, v97 op_sel:[0,1,0]
	ds_load_2addr_b64 v[56:59], v54 offset0:192 offset1:224
	s_waitcnt lgkmcnt(2)
	v_pk_fma_f16 v97, v4, v65, v98 op_sel_hi:[1,0,1]
	v_pk_fma_f16 v79, v4, v65, v79 op_sel:[0,1,0]
	v_pk_fma_f16 v80, v4, v66, v80 op_sel_hi:[1,0,1]
	v_pk_fma_f16 v73, v4, v66, v73 op_sel:[0,1,0]
	;; [unrolled: 2-line block ×8, first 2 shown]
	ds_load_2addr_b64 v[4:7], v55 offset1:32
	s_waitcnt lgkmcnt(2)
	v_pk_fma_f16 v61, v8, v67, v62 op_sel_hi:[1,0,1]
	v_pk_fma_f16 v62, v8, v67, v63 op_sel:[0,1,0]
	v_pk_fma_f16 v63, v8, v68, v64 op_sel_hi:[1,0,1]
	v_pk_fma_f16 v64, v8, v68, v76 op_sel:[0,1,0]
	;; [unrolled: 2-line block ×8, first 2 shown]
	s_waitcnt lgkmcnt(1)
	v_pk_fma_f16 v94, v56, v67, v97 op_sel_hi:[1,0,1]
	v_pk_fma_f16 v79, v56, v67, v79 op_sel:[0,1,0]
	v_pk_fma_f16 v80, v56, v68, v80 op_sel_hi:[1,0,1]
	v_pk_fma_f16 v73, v56, v68, v73 op_sel:[0,1,0]
	;; [unrolled: 2-line block ×7, first 2 shown]
	ds_load_2addr_b64 v[8:11], v55 offset0:64 offset1:96
	v_pk_fma_f16 v53, v59, v68, v53 op_sel_hi:[1,0,1]
	v_pk_fma_f16 v54, v59, v68, v54 op_sel:[0,1,0]
	ds_load_2addr_b64 v[56:59], v55 offset0:128 offset1:160
	s_waitcnt lgkmcnt(2)
	v_pk_fma_f16 v61, v4, v69, v61 op_sel_hi:[1,0,1]
	v_pk_fma_f16 v62, v4, v69, v62 op_sel:[0,1,0]
	v_pk_fma_f16 v63, v4, v70, v63 op_sel_hi:[1,0,1]
	v_pk_fma_f16 v64, v4, v70, v64 op_sel:[0,1,0]
	;; [unrolled: 2-line block ×8, first 2 shown]
	ds_load_2addr_b64 v[4:7], v55 offset0:192 offset1:224
	s_waitcnt lgkmcnt(2)
	v_pk_fma_f16 v92, v8, v69, v94 op_sel_hi:[1,0,1]
	v_pk_fma_f16 v79, v8, v69, v79 op_sel:[0,1,0]
	v_pk_fma_f16 v80, v8, v70, v80 op_sel_hi:[1,0,1]
	v_pk_fma_f16 v73, v8, v70, v73 op_sel:[0,1,0]
	;; [unrolled: 2-line block ×8, first 2 shown]
	s_waitcnt lgkmcnt(1)
	v_pk_fma_f16 v61, v56, v71, v61 op_sel_hi:[1,0,1]
	v_pk_fma_f16 v62, v56, v71, v62 op_sel:[0,1,0]
	v_pk_fma_f16 v63, v56, v72, v63 op_sel_hi:[1,0,1]
	v_pk_fma_f16 v64, v56, v72, v64 op_sel:[0,1,0]
	ds_load_2addr_b64 v[8:11], v52 offset1:32
	ds_load_b128 v[53:56], v41 offset:960
	v_pk_fma_f16 v65, v57, v71, v65 op_sel_hi:[1,0,1]
	v_pk_fma_f16 v66, v57, v71, v66 op_sel:[0,1,0]
	v_pk_fma_f16 v67, v57, v72, v67 op_sel_hi:[1,0,1]
	v_pk_fma_f16 v68, v57, v72, v68 op_sel:[0,1,0]
	;; [unrolled: 2-line block ×6, first 2 shown]
	s_waitcnt lgkmcnt(2)
	v_pk_fma_f16 v92, v4, v71, v92 op_sel_hi:[1,0,1]
	v_pk_fma_f16 v79, v4, v71, v79 op_sel:[0,1,0]
	v_pk_fma_f16 v93, v5, v71, v93 op_sel_hi:[1,0,1]
	v_pk_fma_f16 v84, v5, v71, v84 op_sel:[0,1,0]
	;; [unrolled: 2-line block ×4, first 2 shown]
	ds_load_2addr_b64 v[57:60], v52 offset0:64 offset1:96
	v_pk_fma_f16 v80, v4, v72, v80 op_sel_hi:[1,0,1]
	v_pk_fma_f16 v73, v4, v72, v73 op_sel:[0,1,0]
	v_pk_fma_f16 v86, v5, v72, v86 op_sel_hi:[1,0,1]
	v_pk_fma_f16 v74, v5, v72, v74 op_sel:[0,1,0]
	;; [unrolled: 2-line block ×4, first 2 shown]
	s_waitcnt lgkmcnt(1)
	v_pk_fma_f16 v72, v8, v53, v61 op_sel_hi:[1,0,1]
	v_pk_fma_f16 v98, v8, v53, v62 op_sel:[0,1,0]
	v_pk_fma_f16 v99, v8, v54, v63 op_sel_hi:[1,0,1]
	v_pk_fma_f16 v100, v8, v54, v64 op_sel:[0,1,0]
	;; [unrolled: 2-line block ×7, first 2 shown]
	ds_load_2addr_b64 v[61:64], v52 offset0:128 offset1:160
	v_pk_fma_f16 v78, v11, v54, v78 op_sel_hi:[1,0,1]
	v_pk_fma_f16 v91, v11, v54, v91 op_sel:[0,1,0]
	ds_load_2addr_b64 v[8:11], v52 offset0:192 offset1:224
	s_waitcnt lgkmcnt(2)
	v_pk_fma_f16 v92, v57, v53, v92 op_sel_hi:[1,0,1]
	v_pk_fma_f16 v79, v57, v53, v79 op_sel:[0,1,0]
	v_pk_fma_f16 v93, v58, v53, v93 op_sel_hi:[1,0,1]
	v_pk_fma_f16 v84, v58, v53, v84 op_sel:[0,1,0]
	v_pk_fma_f16 v94, v59, v53, v94 op_sel_hi:[1,0,1]
	v_pk_fma_f16 v95, v59, v53, v95 op_sel:[0,1,0]
	v_pk_fma_f16 v97, v60, v53, v97 op_sel_hi:[1,0,1]
	v_pk_fma_f16 v53, v60, v53, v71 op_sel:[0,1,0]
	ds_load_b128 v[4:7], v41 offset:976
	v_pk_fma_f16 v80, v57, v54, v80 op_sel_hi:[1,0,1]
	v_pk_fma_f16 v73, v57, v54, v73 op_sel:[0,1,0]
	v_pk_fma_f16 v86, v58, v54, v86 op_sel_hi:[1,0,1]
	v_pk_fma_f16 v74, v58, v54, v74 op_sel:[0,1,0]
	;; [unrolled: 2-line block ×4, first 2 shown]
	s_waitcnt lgkmcnt(2)
	v_pk_fma_f16 v71, v61, v55, v72 op_sel_hi:[1,0,1]
	v_pk_fma_f16 v72, v61, v55, v98 op_sel:[0,1,0]
	v_pk_fma_f16 v65, v62, v55, v65 op_sel_hi:[1,0,1]
	v_pk_fma_f16 v66, v62, v55, v66 op_sel:[0,1,0]
	;; [unrolled: 2-line block ×6, first 2 shown]
	ds_load_2addr_b64 v[57:60], v51 offset1:32
	v_pk_fma_f16 v78, v64, v56, v78 op_sel_hi:[1,0,1]
	v_pk_fma_f16 v64, v64, v56, v91 op_sel:[0,1,0]
	s_waitcnt lgkmcnt(2)
	v_pk_fma_f16 v89, v8, v55, v92 op_sel_hi:[1,0,1]
	v_pk_fma_f16 v79, v8, v55, v79 op_sel:[0,1,0]
	v_pk_fma_f16 v90, v9, v55, v93 op_sel_hi:[1,0,1]
	v_pk_fma_f16 v84, v9, v55, v84 op_sel:[0,1,0]
	;; [unrolled: 2-line block ×4, first 2 shown]
	ds_load_2addr_b64 v[52:55], v51 offset0:64 offset1:96
	v_pk_fma_f16 v98, v61, v56, v99 op_sel_hi:[1,0,1]
	v_pk_fma_f16 v61, v61, v56, v100 op_sel:[0,1,0]
	v_pk_fma_f16 v80, v8, v56, v80 op_sel_hi:[1,0,1]
	v_pk_fma_f16 v73, v8, v56, v73 op_sel:[0,1,0]
	;; [unrolled: 2-line block ×5, first 2 shown]
	ds_load_2addr_b64 v[8:11], v51 offset0:128 offset1:160
	s_waitcnt lgkmcnt(2)
	v_pk_fma_f16 v70, v57, v4, v71 op_sel_hi:[1,0,1]
	v_pk_fma_f16 v71, v57, v4, v72 op_sel:[0,1,0]
	v_pk_fma_f16 v72, v57, v5, v98 op_sel_hi:[1,0,1]
	v_pk_fma_f16 v57, v57, v5, v61 op_sel:[0,1,0]
	;; [unrolled: 2-line block ×8, first 2 shown]
	s_waitcnt lgkmcnt(1)
	v_pk_fma_f16 v78, v52, v4, v89 op_sel_hi:[1,0,1]
	v_pk_fma_f16 v79, v52, v4, v79 op_sel:[0,1,0]
	v_pk_fma_f16 v80, v52, v5, v80 op_sel_hi:[1,0,1]
	v_pk_fma_f16 v73, v52, v5, v73 op_sel:[0,1,0]
	;; [unrolled: 2-line block ×6, first 2 shown]
	ds_load_2addr_b64 v[51:54], v51 offset0:192 offset1:224
	v_pk_fma_f16 v91, v55, v4, v94 op_sel_hi:[1,0,1]
	v_pk_fma_f16 v4, v55, v4, v95 op_sel:[0,1,0]
	v_pk_fma_f16 v69, v55, v5, v69 op_sel_hi:[1,0,1]
	v_pk_fma_f16 v5, v55, v5, v56 op_sel:[0,1,0]
	s_waitcnt lgkmcnt(1)
	v_pk_fma_f16 v70, v8, v6, v70 op_sel_hi:[1,0,1]
	v_pk_fma_f16 v71, v8, v6, v71 op_sel:[0,1,0]
	v_pk_fma_f16 v72, v8, v7, v72 op_sel_hi:[1,0,1]
	v_pk_fma_f16 v92, v8, v7, v57 op_sel:[0,1,0]
	;; [unrolled: 2-line block ×7, first 2 shown]
	v_pk_fma_f16 v77, v11, v7, v77 op_sel_hi:[1,0,1]
	ds_load_2addr_b64 v[55:58], v49 offset1:32
	ds_load_b128 v[59:62], v41 offset:992
	v_pk_fma_f16 v64, v11, v7, v64 op_sel:[0,1,0]
	ds_load_2addr_b64 v[8:11], v49 offset0:64 offset1:96
	s_waitcnt lgkmcnt(3)
	v_pk_fma_f16 v78, v51, v6, v78 op_sel_hi:[1,0,1]
	v_pk_fma_f16 v79, v51, v6, v79 op_sel:[0,1,0]
	v_pk_fma_f16 v80, v51, v7, v80 op_sel_hi:[1,0,1]
	v_pk_fma_f16 v73, v51, v7, v73 op_sel:[0,1,0]
	;; [unrolled: 2-line block ×8, first 2 shown]
	ds_load_2addr_b64 v[51:54], v49 offset0:128 offset1:160
	ds_load_b128 v[4:7], v41 offset:1008
	s_waitcnt lgkmcnt(3)
	v_pk_fma_f16 v70, v55, v59, v70 op_sel_hi:[1,0,1]
	v_pk_fma_f16 v71, v55, v59, v71 op_sel:[0,1,0]
	v_pk_fma_f16 v72, v55, v60, v72 op_sel_hi:[1,0,1]
	v_pk_fma_f16 v92, v55, v60, v92 op_sel:[0,1,0]
	;; [unrolled: 2-line block ×8, first 2 shown]
	s_waitcnt lgkmcnt(2)
	v_pk_fma_f16 v78, v8, v59, v78 op_sel_hi:[1,0,1]
	v_pk_fma_f16 v79, v8, v59, v79 op_sel:[0,1,0]
	v_pk_fma_f16 v80, v8, v60, v80 op_sel_hi:[1,0,1]
	v_pk_fma_f16 v73, v8, v60, v73 op_sel:[0,1,0]
	;; [unrolled: 2-line block ×7, first 2 shown]
	ds_load_2addr_b64 v[55:58], v49 offset0:192 offset1:224
	v_pk_fma_f16 v49, v11, v60, v69 op_sel_hi:[1,0,1]
	v_pk_fma_f16 v60, v11, v60, v98 op_sel:[0,1,0]
	ds_load_2addr_b64 v[8:11], v48 offset1:32
	s_waitcnt lgkmcnt(3)
	v_pk_fma_f16 v69, v51, v61, v70 op_sel_hi:[1,0,1]
	v_pk_fma_f16 v70, v51, v61, v71 op_sel:[0,1,0]
	v_pk_fma_f16 v71, v51, v62, v72 op_sel_hi:[1,0,1]
	v_pk_fma_f16 v72, v51, v62, v92 op_sel:[0,1,0]
	;; [unrolled: 2-line block ×8, first 2 shown]
	ds_load_2addr_b64 v[51:54], v48 offset0:64 offset1:96
	s_waitcnt lgkmcnt(2)
	v_pk_fma_f16 v78, v55, v61, v78 op_sel_hi:[1,0,1]
	v_pk_fma_f16 v79, v55, v61, v79 op_sel:[0,1,0]
	v_pk_fma_f16 v80, v55, v62, v80 op_sel_hi:[1,0,1]
	v_pk_fma_f16 v73, v55, v62, v73 op_sel:[0,1,0]
	;; [unrolled: 2-line block ×8, first 2 shown]
	s_waitcnt lgkmcnt(1)
	v_pk_fma_f16 v61, v8, v4, v69 op_sel_hi:[1,0,1]
	v_pk_fma_f16 v62, v8, v4, v70 op_sel:[0,1,0]
	v_pk_fma_f16 v69, v8, v5, v71 op_sel_hi:[1,0,1]
	v_pk_fma_f16 v70, v8, v5, v72 op_sel:[0,1,0]
	;; [unrolled: 2-line block ×7, first 2 shown]
	ds_load_2addr_b64 v[55:58], v48 offset0:128 offset1:160
	v_pk_fma_f16 v77, v11, v5, v77 op_sel_hi:[1,0,1]
	v_pk_fma_f16 v96, v11, v5, v64 op_sel:[0,1,0]
	ds_load_2addr_b64 v[8:11], v48 offset0:192 offset1:224
	s_waitcnt lgkmcnt(0)
	s_barrier
	buffer_gl0_inv
	s_load_b32 s8, s[4:5], 0x4
	v_pk_fma_f16 v97, v51, v4, v78 op_sel_hi:[1,0,1]
	v_pk_fma_f16 v98, v51, v4, v79 op_sel:[0,1,0]
	v_pk_fma_f16 v99, v51, v5, v80 op_sel_hi:[1,0,1]
	v_pk_fma_f16 v51, v51, v5, v73 op_sel:[0,1,0]
	;; [unrolled: 2-line block ×9, first 2 shown]
	v_pk_fma_f16 v60, v55, v7, v69 op_sel_hi:[1,0,1]
	s_waitcnt lgkmcnt(0)
	s_lshl_b32 s8, s8, 7
	v_pk_fma_f16 v55, v55, v7, v70 op_sel:[0,1,0]
	v_pk_fma_f16 v79, v56, v6, v71 op_sel_hi:[1,0,1]
	v_pk_fma_f16 v73, v56, v6, v72 op_sel:[0,1,0]
	v_pk_fma_f16 v64, v56, v7, v66 op_sel_hi:[1,0,1]
	;; [unrolled: 2-line block ×14, first 2 shown]
	v_pk_fma_f16 v48, v11, v7, v5 op_sel:[0,1,0]
	s_add_i32 s3, s8, s3
	s_delay_alu instid0(SALU_CYCLE_1)
	s_cmp_ge_i32 s3, s34
	s_cbranch_scc1 .LBB29_79
; %bb.78:                               ;   in Loop: Header=BB29_9 Depth=1
	v_dual_mov_b32 v92, v0 :: v_dual_mov_b32 v91, v81
	v_dual_mov_b32 v90, v1 :: v_dual_mov_b32 v89, v82
	;; [unrolled: 1-line block ×3, first 2 shown]
	v_mov_b32_e32 v86, v3
	v_mov_b32_e32 v84, v85
	s_branch .LBB29_9
.LBB29_79:
	v_mov_b32_e32 v6, v33
.LBB29_80:
	v_cmp_lt_i32_e32 vcc_lo, v50, v34
	s_cmp_lg_u64 s[24:25], 0
	s_cselect_b32 s3, -1, 0
	s_cmp_eq_u32 s14, 0
	v_cndmask_b32_e32 v4, v6, v50, vcc_lo
	v_cmp_lt_i32_e32 vcc_lo, v15, v34
	s_cselect_b32 s4, -1, 0
	s_delay_alu instid0(SALU_CYCLE_1) | instskip(SKIP_2) | instid1(VALU_DEP_2)
	s_and_b32 s3, s4, s3
	v_cndmask_b32_e32 v9, v6, v15, vcc_lo
	v_cmp_lt_i32_e32 vcc_lo, v14, v34
	v_lshlrev_b32_e32 v9, 2, v9
	v_lshlrev_b32_e32 v4, 2, v4
	ds_bpermute_b32 v5, v4, v81
	s_waitcnt lgkmcnt(0)
	v_add_f32_e32 v5, v81, v5
	ds_bpermute_b32 v7, v4, v82
	ds_bpermute_b32 v8, v4, v83
	;; [unrolled: 1-line block ×4, first 2 shown]
	s_waitcnt lgkmcnt(2)
	v_dual_add_f32 v7, v82, v7 :: v_dual_add_f32 v8, v83, v8
	s_waitcnt lgkmcnt(1)
	v_add_f32_e32 v4, v85, v4
	ds_bpermute_b32 v11, v9, v7
	v_cndmask_b32_e32 v14, v6, v14, vcc_lo
	ds_bpermute_b32 v15, v9, v8
	ds_bpermute_b32 v9, v9, v4
	v_cmp_lt_i32_e32 vcc_lo, v13, v34
	s_waitcnt lgkmcnt(3)
	v_add_f32_e32 v5, v5, v10
	v_cndmask_b32_e32 v13, v6, v13, vcc_lo
	v_cmp_lt_i32_e32 vcc_lo, v12, v34
	s_waitcnt lgkmcnt(2)
	v_dual_add_f32 v7, v7, v11 :: v_dual_lshlrev_b32 v14, 2, v14
	s_waitcnt lgkmcnt(1)
	v_add_f32_e32 v8, v8, v15
	ds_bpermute_b32 v10, v14, v7
	s_waitcnt lgkmcnt(1)
	v_add_f32_e32 v4, v4, v9
	ds_bpermute_b32 v9, v14, v5
	ds_bpermute_b32 v11, v14, v8
	v_lshlrev_b32_e32 v13, 2, v13
	s_waitcnt lgkmcnt(2)
	v_add_f32_e32 v7, v7, v10
	ds_bpermute_b32 v14, v14, v4
	s_waitcnt lgkmcnt(1)
	v_dual_add_f32 v5, v5, v9 :: v_dual_add_f32 v8, v8, v11
	ds_bpermute_b32 v10, v13, v7
	ds_bpermute_b32 v11, v13, v8
	s_waitcnt lgkmcnt(2)
	v_add_f32_e32 v4, v4, v14
	ds_bpermute_b32 v9, v13, v5
	v_cndmask_b32_e32 v6, v6, v12, vcc_lo
	s_and_b32 vcc_lo, exec_lo, s3
	s_waitcnt lgkmcnt(2)
	v_add_f32_e32 v7, v7, v10
	ds_bpermute_b32 v13, v13, v4
	s_waitcnt lgkmcnt(1)
	v_dual_add_f32 v8, v8, v11 :: v_dual_add_f32 v5, v5, v9
	s_waitcnt lgkmcnt(0)
	v_dual_add_f32 v9, v4, v13 :: v_dual_lshlrev_b32 v6, 2, v6
	ds_bpermute_b32 v4, v6, v5
	ds_bpermute_b32 v10, v6, v7
	;; [unrolled: 1-line block ×4, first 2 shown]
	s_waitcnt lgkmcnt(2)
	v_dual_add_f32 v4, v5, v4 :: v_dual_add_f32 v5, v7, v10
	s_waitcnt lgkmcnt(0)
	v_dual_add_f32 v6, v8, v11 :: v_dual_add_f32 v7, v9, v12
	s_cbranch_vccz .LBB29_83
; %bb.81:
	s_ashr_i32 s3, s2, 31
	v_dual_mov_b32 v8, 0 :: v_dual_max_f32 v13, v1, v1
	s_lshl_b64 s[4:5], s[2:3], 2
	s_delay_alu instid0(SALU_CYCLE_1)
	s_add_u32 s4, s24, s4
	s_addc_u32 s5, s25, s5
	global_load_b128 v[8:11], v8, s[4:5]
	v_max_f32_e32 v12, v0, v0
	s_waitcnt vmcnt(0)
	v_dual_max_f32 v14, v2, v2 :: v_dual_max_f32 v15, v8, v8
	v_dual_max_f32 v19, v9, v9 :: v_dual_max_f32 v20, v10, v10
	v_max_f32_e32 v21, v11, v11
	s_delay_alu instid0(VALU_DEP_2) | instskip(NEXT) | instid1(VALU_DEP_1)
	v_dual_max_f32 v13, v13, v19 :: v_dual_max_f32 v14, v14, v20
	v_dual_max_f32 v18, v3, v3 :: v_dual_sub_f32 v19, v1, v13
	s_delay_alu instid0(VALU_DEP_1) | instskip(NEXT) | instid1(VALU_DEP_3)
	v_dual_max_f32 v12, v12, v15 :: v_dual_max_f32 v15, v18, v21
	v_dual_sub_f32 v20, v2, v14 :: v_dual_sub_f32 v9, v9, v13
	v_sub_f32_e32 v10, v10, v14
	s_delay_alu instid0(VALU_DEP_3) | instskip(NEXT) | instid1(VALU_DEP_4)
	v_sub_f32_e32 v18, v0, v12
	v_dual_sub_f32 v8, v8, v12 :: v_dual_sub_f32 v21, v3, v15
	v_dual_mov_b32 v0, v12 :: v_dual_mov_b32 v3, v15
	v_dual_mov_b32 v1, v13 :: v_dual_mov_b32 v2, v14
	s_delay_alu instid0(VALU_DEP_3) | instskip(SKIP_3) | instid1(VALU_DEP_4)
	v_dual_mul_f32 v13, 0x3fb8aa3b, v8 :: v_dual_mul_f32 v12, 0x3fb8aa3b, v18
	v_sub_f32_e32 v11, v11, v15
	v_dual_mul_f32 v15, 0x3fb8aa3b, v9 :: v_dual_mul_f32 v14, 0x3fb8aa3b, v19
	v_mul_f32_e32 v23, 0x3fb8aa3b, v10
	v_fma_f32 v26, 0x3fb8aa3b, v18, -v12
	v_rndne_f32_e32 v27, v12
	v_fma_f32 v28, 0x3fb8aa3b, v8, -v13
	v_rndne_f32_e32 v29, v13
	v_fma_f32 v33, 0x3fb8aa3b, v9, -v15
	v_fma_f32 v37, 0x3fb8aa3b, v10, -v23
	v_fmac_f32_e32 v26, 0x32a5705f, v18
	v_sub_f32_e32 v12, v12, v27
	v_dual_mul_f32 v22, 0x3fb8aa3b, v20 :: v_dual_mul_f32 v25, 0x3fb8aa3b, v11
	v_fma_f32 v30, 0x3fb8aa3b, v19, -v14
	v_rndne_f32_e32 v32, v14
	v_dual_fmac_f32 v28, 0x32a5705f, v8 :: v_dual_fmac_f32 v37, 0x32a5705f, v10
	v_sub_f32_e32 v13, v13, v29
	v_dual_fmac_f32 v33, 0x32a5705f, v9 :: v_dual_add_f32 v12, v12, v26
	v_rndne_f32_e32 v34, v15
	v_mul_f32_e32 v24, 0x3fb8aa3b, v21
	v_fma_f32 v35, 0x3fb8aa3b, v20, -v22
	v_rndne_f32_e32 v38, v23
	v_fmac_f32_e32 v30, 0x32a5705f, v19
	v_sub_f32_e32 v14, v14, v32
	v_add_f32_e32 v13, v13, v28
	v_exp_f32_e32 v12, v12
	v_sub_f32_e32 v23, v23, v38
	v_rndne_f32_e32 v36, v22
	v_fma_f32 v41, 0x3fb8aa3b, v11, -v25
	v_rndne_f32_e32 v42, v25
	v_cvt_i32_f32_e32 v27, v27
	v_sub_f32_e32 v15, v15, v34
	v_fma_f32 v39, 0x3fb8aa3b, v21, -v24
	v_rndne_f32_e32 v40, v24
	v_dual_fmac_f32 v35, 0x32a5705f, v20 :: v_dual_add_f32 v14, v14, v30
	s_delay_alu instid0(VALU_DEP_4) | instskip(SKIP_4) | instid1(VALU_DEP_2)
	v_add_f32_e32 v15, v15, v33
	v_exp_f32_e32 v13, v13
	v_cvt_i32_f32_e32 v29, v29
	v_dual_sub_f32 v22, v22, v36 :: v_dual_fmac_f32 v39, 0x32a5705f, v21
	v_dual_sub_f32 v24, v24, v40 :: v_dual_fmac_f32 v41, 0x32a5705f, v11
	v_dual_sub_f32 v25, v25, v42 :: v_dual_add_f32 v22, v22, v35
	v_exp_f32_e32 v14, v14
	v_ldexp_f32 v12, v12, v27
	v_cmp_ngt_f32_e32 vcc_lo, 0xc2ce8ed0, v18
	v_cvt_i32_f32_e32 v32, v32
	v_add_f32_e32 v25, v25, v41
	v_exp_f32_e32 v15, v15
	v_ldexp_f32 v13, v13, v29
	v_cndmask_b32_e32 v12, 0, v12, vcc_lo
	v_cmp_ngt_f32_e32 vcc_lo, 0xc2ce8ed0, v8
	v_cvt_i32_f32_e32 v34, v34
	v_dual_add_f32 v23, v23, v37 :: v_dual_add_f32 v24, v24, v39
	v_exp_f32_e32 v22, v22
	v_ldexp_f32 v14, v14, v32
	v_cndmask_b32_e32 v13, 0, v13, vcc_lo
	v_cmp_ngt_f32_e32 vcc_lo, 0xc2ce8ed0, v19
	v_cvt_i32_f32_e32 v36, v36
	v_exp_f32_e32 v23, v23
	v_ldexp_f32 v15, v15, v34
	v_cvt_i32_f32_e32 v38, v38
	v_cndmask_b32_e32 v14, 0, v14, vcc_lo
	v_cmp_ngt_f32_e32 vcc_lo, 0xc2ce8ed0, v9
	v_exp_f32_e32 v24, v24
	v_ldexp_f32 v22, v22, v36
	v_exp_f32_e32 v25, v25
	v_cvt_i32_f32_e32 v26, v40
	v_cndmask_b32_e32 v15, 0, v15, vcc_lo
	v_cmp_ngt_f32_e32 vcc_lo, 0xc2ce8ed0, v20
	v_ldexp_f32 v23, v23, v38
	v_cvt_i32_f32_e32 v28, v42
	v_cndmask_b32_e32 v22, 0, v22, vcc_lo
	v_cmp_ngt_f32_e32 vcc_lo, 0xc2ce8ed0, v10
	v_ldexp_f32 v24, v24, v26
	s_delay_alu instid0(TRANS32_DEP_1) | instid1(VALU_DEP_4)
	v_ldexp_f32 v25, v25, v28
	v_cndmask_b32_e32 v23, 0, v23, vcc_lo
	v_cmp_ngt_f32_e32 vcc_lo, 0xc2ce8ed0, v21
	s_delay_alu instid0(VALU_DEP_4)
	v_cndmask_b32_e32 v24, 0, v24, vcc_lo
	v_cmp_ngt_f32_e32 vcc_lo, 0xc2ce8ed0, v11
	v_cndmask_b32_e32 v25, 0, v25, vcc_lo
	v_cmp_nlt_f32_e32 vcc_lo, 0x42b17218, v18
	v_cndmask_b32_e32 v12, 0x7f800000, v12, vcc_lo
	v_cmp_nlt_f32_e32 vcc_lo, 0x42b17218, v8
	;; [unrolled: 2-line block ×7, first 2 shown]
	s_delay_alu instid0(VALU_DEP_2) | instskip(SKIP_4) | instid1(VALU_DEP_3)
	v_dual_fmac_f32 v10, v6, v14 :: v_dual_fmac_f32 v9, v5, v13
	v_fmac_f32_e32 v8, v4, v12
	v_cvt_f16_f32_e32 v4, v12
	v_cndmask_b32_e32 v15, 0x7f800000, v24, vcc_lo
	v_cmp_nlt_f32_e32 vcc_lo, 0x42b17218, v11
	v_pk_mul_f16 v68, v4, v68 op_sel_hi:[0,1]
	v_pk_mul_f16 v79, v4, v79 op_sel_hi:[0,1]
	;; [unrolled: 1-line block ×8, first 2 shown]
	v_mov_b32_e32 v4, v8
	v_cvt_f16_f32_e32 v5, v13
	v_cndmask_b32_e32 v11, 0x7f800000, v25, vcc_lo
	s_delay_alu instid0(VALU_DEP_2)
	v_pk_mul_f16 v65, v5, v65 op_sel_hi:[0,1]
	v_pk_mul_f16 v73, v5, v73 op_sel_hi:[0,1]
	;; [unrolled: 1-line block ×8, first 2 shown]
	v_mov_b32_e32 v5, v9
	v_cvt_f16_f32_e32 v6, v14
	s_delay_alu instid0(VALU_DEP_1)
	v_pk_mul_f16 v60, v6, v60 op_sel_hi:[0,1]
	v_pk_mul_f16 v64, v6, v64 op_sel_hi:[0,1]
	;; [unrolled: 1-line block ×8, first 2 shown]
	v_dual_mov_b32 v6, v10 :: v_dual_fmac_f32 v11, v7, v15
	v_cvt_f16_f32_e32 v7, v15
	s_delay_alu instid0(VALU_DEP_1)
	v_pk_mul_f16 v55, v7, v55 op_sel_hi:[0,1]
	v_pk_mul_f16 v56, v7, v56 op_sel_hi:[0,1]
	;; [unrolled: 1-line block ×8, first 2 shown]
	v_mov_b32_e32 v7, v11
	s_mov_b32 s3, exec_lo
	v_cmpx_gt_i32_e64 s6, v16
	s_cbranch_execnz .LBB29_84
.LBB29_82:
	s_nop 0
	s_sendmsg sendmsg(MSG_DEALLOC_VGPRS)
	s_endpgm
.LBB29_83:
	s_delay_alu instid0(VALU_DEP_1)
	v_dual_mov_b32 v11, v7 :: v_dual_mov_b32 v10, v6
	v_dual_mov_b32 v9, v5 :: v_dual_mov_b32 v8, v4
	s_mov_b32 s3, exec_lo
	v_cmpx_gt_i32_e64 s6, v16
	s_cbranch_execz .LBB29_82
.LBB29_84:
	s_load_b32 s1, s[0:1], 0xd4
	v_mov_b32_e32 v14, 1.0
	s_waitcnt lgkmcnt(0)
	s_cmp_lg_u32 s1, 1
	s_cselect_b32 s4, -1, 0
	s_cmp_eq_u32 s1, 1
	s_cselect_b32 s3, -1, 0
	s_and_b32 vcc_lo, exec_lo, s4
	s_cbranch_vccnz .LBB29_86
; %bb.85:
	v_div_scale_f32 v12, null, v4, v4, 1.0
	s_delay_alu instid0(VALU_DEP_1) | instskip(SKIP_2) | instid1(VALU_DEP_1)
	v_rcp_f32_e32 v13, v12
	s_waitcnt_depctr 0xfff
	v_fma_f32 v14, -v12, v13, 1.0
	v_fmac_f32_e32 v13, v14, v13
	v_div_scale_f32 v14, vcc_lo, 1.0, v4, 1.0
	s_delay_alu instid0(VALU_DEP_1) | instskip(NEXT) | instid1(VALU_DEP_1)
	v_mul_f32_e32 v15, v14, v13
	v_fma_f32 v18, -v12, v15, v14
	s_delay_alu instid0(VALU_DEP_1) | instskip(NEXT) | instid1(VALU_DEP_1)
	v_fmac_f32_e32 v15, v18, v13
	v_fma_f32 v12, -v12, v15, v14
	s_delay_alu instid0(VALU_DEP_1) | instskip(NEXT) | instid1(VALU_DEP_1)
	v_div_fmas_f32 v12, v12, v13, v15
	v_div_fixup_f32 v14, v12, v4, 1.0
.LBB29_86:
	v_mad_u64_u32 v[12:13], null, s12, s6, v[16:17]
	v_lshrrev_b32_e32 v4, 16, v79
	v_cmp_eq_u32_e32 vcc_lo, 0, v17
	v_cvt_f32_f16_e32 v17, v79
	v_lshrrev_b32_e32 v18, 16, v68
	v_mov_b32_e32 v28, 0
	v_lshrrev_b32_e32 v19, 16, v80
	v_mad_u64_u32 v[15:16], null, v12, s7, s[2:3]
	v_mul_f32_e32 v17, v14, v17
	v_cvt_f32_f16_e32 v16, v68
	v_cvt_f32_f16_e32 v23, v78
	;; [unrolled: 1-line block ×5, first 2 shown]
	v_mad_u64_u32 v[12:13], null, s1, v15, s[14:15]
	v_dual_mul_f32 v15, v14, v16 :: v_dual_mov_b32 v24, v28
	v_mul_f32_e32 v19, v14, v23
	v_lshrrev_b32_e32 v13, 16, v77
	v_cvt_f32_f16_e32 v20, v80
	v_lshrrev_b32_e32 v22, 16, v78
	v_lshl_add_u32 v27, v12, 9, v31
	v_mul_f32_e32 v18, v14, v4
	v_lshrrev_b32_e32 v4, 16, v76
	v_cvt_f32_f16_e32 v13, v13
	v_mul_f32_e32 v21, v14, v20
	v_add_nc_u32_e32 v23, 0x80, v27
	v_lshlrev_b64 v[25:26], 2, v[27:28]
	v_mul_f32_e32 v16, v14, v29
	v_cvt_f32_f16_e32 v4, v4
	v_cvt_f32_f16_e32 v20, v22
	v_lshlrev_b64 v[23:24], 2, v[23:24]
	v_mul_f32_e32 v22, v14, v30
	v_add_co_u32 v32, s0, s28, v25
	s_delay_alu instid0(VALU_DEP_1) | instskip(NEXT) | instid1(VALU_DEP_4)
	v_add_co_ci_u32_e64 v33, s0, s29, v26, s0
	v_add_co_u32 v34, s0, s28, v23
	s_delay_alu instid0(VALU_DEP_1)
	v_add_co_ci_u32_e64 v35, s0, s29, v24, s0
	v_add_nc_u32_e32 v23, 0x100, v27
	v_dual_mov_b32 v24, v28 :: v_dual_add_nc_u32 v27, 0x180, v27
	v_mul_f32_e32 v26, v14, v13
	v_lshrrev_b32_e32 v13, 16, v74
	v_cvt_f32_f16_e32 v36, v76
	s_delay_alu instid0(VALU_DEP_4)
	v_lshlrev_b64 v[38:39], 2, v[27:28]
	v_lshlrev_b64 v[29:30], 2, v[23:24]
	v_mul_f32_e32 v24, v14, v4
	v_lshrrev_b32_e32 v4, 16, v75
	v_cvt_f32_f16_e32 v13, v13
	v_cvt_f32_f16_e32 v25, v77
	v_mul_f32_e32 v23, v14, v36
	v_add_co_u32 v36, s0, s28, v29
	v_cvt_f32_f16_e32 v4, v4
	v_cvt_f32_f16_e32 v29, v75
	;; [unrolled: 1-line block ×3, first 2 shown]
	v_add_co_ci_u32_e64 v37, s0, s29, v30, s0
	v_mul_f32_e32 v28, v14, v13
	v_add_co_u32 v13, s0, s28, v38
	v_mul_f32_e32 v20, v14, v20
	v_mul_f32_e32 v25, v14, v25
	;; [unrolled: 1-line block ×5, first 2 shown]
	v_add_co_ci_u32_e64 v14, s0, s29, v39, s0
	s_and_b32 s0, vcc_lo, s4
	s_clause 0x3
	global_store_b128 v[32:33], v[15:18], off
	global_store_b128 v[34:35], v[19:22], off
	;; [unrolled: 1-line block ×4, first 2 shown]
	s_and_saveexec_b32 s2, s0
	s_cbranch_execz .LBB29_88
; %bb.87:
	v_ashrrev_i32_e32 v13, 31, v12
	v_mov_b32_e32 v15, v0
	v_mov_b32_e32 v16, v8
	s_delay_alu instid0(VALU_DEP_3) | instskip(NEXT) | instid1(VALU_DEP_1)
	v_lshlrev_b64 v[13:14], 3, v[12:13]
	v_add_co_u32 v13, vcc_lo, s30, v13
	s_delay_alu instid0(VALU_DEP_2)
	v_add_co_ci_u32_e32 v14, vcc_lo, s31, v14, vcc_lo
	global_store_b64 v[13:14], v[15:16], off
.LBB29_88:
	s_or_b32 exec_lo, exec_lo, s2
	v_cndmask_b32_e64 v13, 0, 1, s3
	v_mov_b32_e32 v0, 1.0
	s_and_not1_b32 vcc_lo, exec_lo, s3
	s_cbranch_vccnz .LBB29_90
; %bb.89:
	v_div_scale_f32 v0, null, v5, v5, 1.0
	s_delay_alu instid0(VALU_DEP_1) | instskip(SKIP_2) | instid1(VALU_DEP_1)
	v_rcp_f32_e32 v4, v0
	s_waitcnt_depctr 0xfff
	v_fma_f32 v8, -v0, v4, 1.0
	v_fmac_f32_e32 v4, v8, v4
	v_div_scale_f32 v8, vcc_lo, 1.0, v5, 1.0
	s_delay_alu instid0(VALU_DEP_1) | instskip(NEXT) | instid1(VALU_DEP_1)
	v_mul_f32_e32 v14, v8, v4
	v_fma_f32 v15, -v0, v14, v8
	s_delay_alu instid0(VALU_DEP_1) | instskip(NEXT) | instid1(VALU_DEP_1)
	v_fmac_f32_e32 v14, v15, v4
	v_fma_f32 v0, -v0, v14, v8
	s_delay_alu instid0(VALU_DEP_1) | instskip(NEXT) | instid1(VALU_DEP_1)
	v_div_fmas_f32 v0, v0, v4, v14
	v_div_fixup_f32 v0, v0, v5, 1.0
.LBB29_90:
	v_dual_mov_b32 v27, 0 :: v_dual_add_nc_u32 v4, s1, v12
	v_lshrrev_b32_e32 v5, 16, v73
	v_cvt_f32_f16_e32 v8, v73
	v_lshrrev_b32_e32 v20, 16, v72
	s_delay_alu instid0(VALU_DEP_4)
	v_lshl_add_u32 v26, v4, 9, v31
	v_lshrrev_b32_e32 v12, 16, v65
	v_cvt_f32_f16_e32 v5, v5
	v_mul_f32_e32 v16, v0, v8
	v_cvt_f32_f16_e32 v8, v20
	v_lshlrev_b64 v[18:19], 2, v[26:27]
	v_cvt_f32_f16_e32 v14, v65
	v_mul_f32_e32 v17, v0, v5
	v_lshrrev_b32_e32 v5, 16, v70
	v_cvt_f32_f16_e32 v12, v12
	v_mul_f32_e32 v21, v0, v8
	v_add_co_u32 v32, vcc_lo, s28, v18
	v_add_co_ci_u32_e32 v33, vcc_lo, s29, v19, vcc_lo
	v_dual_mov_b32 v19, v27 :: v_dual_add_nc_u32 v18, 0x80, v26
	v_cvt_f32_f16_e32 v5, v5
	v_lshrrev_b32_e32 v8, 16, v69
	v_mul_f32_e32 v14, v0, v14
	v_mul_f32_e32 v15, v0, v12
	v_lshlrev_b64 v[22:23], 2, v[18:19]
	v_mul_f32_e32 v19, v0, v5
	v_lshrrev_b32_e32 v5, 16, v71
	v_cvt_f32_f16_e32 v12, v72
	v_cvt_f32_f16_e32 v8, v8
	;; [unrolled: 1-line block ×3, first 2 shown]
	v_add_co_u32 v34, vcc_lo, s28, v22
	v_add_nc_u32_e32 v22, 0x100, v26
	v_add_co_ci_u32_e32 v35, vcc_lo, s29, v23, vcc_lo
	v_mov_b32_e32 v23, v27
	v_cvt_f32_f16_e32 v5, v5
	v_add_nc_u32_e32 v26, 0x180, v26
	v_mul_f32_e32 v20, v0, v12
	v_cvt_f32_f16_e32 v12, v71
	v_lshlrev_b64 v[28:29], 2, v[22:23]
	v_cvt_f32_f16_e32 v30, v69
	v_mul_f32_e32 v25, v0, v5
	v_mul_f32_e32 v23, v0, v8
	v_lshrrev_b32_e32 v5, 16, v67
	v_lshrrev_b32_e32 v8, 16, v66
	v_lshlrev_b64 v[38:39], 2, v[26:27]
	v_mul_f32_e32 v18, v0, v24
	v_mul_f32_e32 v24, v0, v12
	;; [unrolled: 1-line block ×3, first 2 shown]
	v_add_co_u32 v36, vcc_lo, s28, v28
	v_cvt_f32_f16_e32 v5, v5
	v_cvt_f32_f16_e32 v12, v67
	;; [unrolled: 1-line block ×4, first 2 shown]
	v_add_co_ci_u32_e32 v37, vcc_lo, s29, v29, vcc_lo
	v_add_co_u32 v38, vcc_lo, s28, v38
	v_mul_f32_e32 v29, v0, v5
	v_mul_f32_e32 v28, v0, v12
	;; [unrolled: 1-line block ×4, first 2 shown]
	v_add_co_ci_u32_e32 v39, vcc_lo, s29, v39, vcc_lo
	s_clause 0x3
	global_store_b128 v[32:33], v[14:17], off
	global_store_b128 v[34:35], v[18:21], off
	;; [unrolled: 1-line block ×4, first 2 shown]
	s_and_saveexec_b32 s2, s0
	s_cbranch_execz .LBB29_92
; %bb.91:
	v_ashrrev_i32_e32 v5, 31, v4
	v_mov_b32_e32 v8, v1
	s_delay_alu instid0(VALU_DEP_2) | instskip(NEXT) | instid1(VALU_DEP_1)
	v_lshlrev_b64 v[14:15], 3, v[4:5]
	v_add_co_u32 v14, vcc_lo, s30, v14
	s_delay_alu instid0(VALU_DEP_2)
	v_add_co_ci_u32_e32 v15, vcc_lo, s31, v15, vcc_lo
	global_store_b64 v[14:15], v[8:9], off
.LBB29_92:
	s_or_b32 exec_lo, exec_lo, s2
	v_cmp_ne_u32_e32 vcc_lo, 1, v13
	v_mov_b32_e32 v1, 1.0
	s_cbranch_vccnz .LBB29_94
; %bb.93:
	v_div_scale_f32 v0, null, v6, v6, 1.0
	s_delay_alu instid0(VALU_DEP_1) | instskip(SKIP_2) | instid1(VALU_DEP_1)
	v_rcp_f32_e32 v1, v0
	s_waitcnt_depctr 0xfff
	v_fma_f32 v5, -v0, v1, 1.0
	v_fmac_f32_e32 v1, v5, v1
	v_div_scale_f32 v5, vcc_lo, 1.0, v6, 1.0
	s_delay_alu instid0(VALU_DEP_1) | instskip(NEXT) | instid1(VALU_DEP_1)
	v_mul_f32_e32 v8, v5, v1
	v_fma_f32 v9, -v0, v8, v5
	s_delay_alu instid0(VALU_DEP_1) | instskip(NEXT) | instid1(VALU_DEP_1)
	v_fmac_f32_e32 v8, v9, v1
	v_fma_f32 v0, -v0, v8, v5
	s_delay_alu instid0(VALU_DEP_1) | instskip(NEXT) | instid1(VALU_DEP_1)
	v_div_fmas_f32 v0, v0, v1, v8
	v_div_fixup_f32 v1, v0, v6, 1.0
.LBB29_94:
	v_lshrrev_b32_e32 v6, 16, v64
	v_dual_mov_b32 v5, 0 :: v_dual_add_nc_u32 v0, s1, v4
	v_cvt_f32_f16_e32 v12, v64
	v_lshrrev_b32_e32 v18, 16, v63
	s_delay_alu instid0(VALU_DEP_4) | instskip(NEXT) | instid1(VALU_DEP_4)
	v_cvt_f32_f16_e32 v6, v6
	v_lshl_add_u32 v4, v0, 9, v31
	v_lshrrev_b32_e32 v8, 16, v60
	v_mul_f32_e32 v16, v1, v12
	v_cvt_f32_f16_e32 v12, v18
	s_delay_alu instid0(VALU_DEP_4)
	v_dual_mul_f32 v17, v1, v6 :: v_dual_add_nc_u32 v18, 0x80, v4
	v_lshrrev_b32_e32 v6, 16, v61
	v_mov_b32_e32 v19, v5
	v_cvt_f32_f16_e32 v15, v8
	v_lshlrev_b64 v[8:9], 2, v[4:5]
	v_mul_f32_e32 v21, v1, v12
	v_cvt_f32_f16_e32 v6, v6
	v_lshlrev_b64 v[22:23], 2, v[18:19]
	v_lshrrev_b32_e32 v12, 16, v59
	v_mul_f32_e32 v15, v1, v15
	v_add_co_u32 v8, vcc_lo, s28, v8
	v_mul_f32_e32 v19, v1, v6
	v_lshrrev_b32_e32 v6, 16, v62
	v_add_co_ci_u32_e32 v9, vcc_lo, s29, v9, vcc_lo
	v_add_co_u32 v32, vcc_lo, s28, v22
	v_add_nc_u32_e32 v22, 0x100, v4
	v_add_co_ci_u32_e32 v33, vcc_lo, s29, v23, vcc_lo
	v_mov_b32_e32 v23, v5
	v_cvt_f32_f16_e32 v6, v6
	v_cvt_f32_f16_e32 v12, v12
	v_add_nc_u32_e32 v4, 0x180, v4
	v_cvt_f32_f16_e32 v24, v61
	v_lshlrev_b64 v[26:27], 2, v[22:23]
	v_mul_f32_e32 v25, v1, v6
	v_mul_f32_e32 v23, v1, v12
	v_lshrrev_b32_e32 v6, 16, v58
	v_lshrrev_b32_e32 v12, 16, v57
	v_cvt_f32_f16_e32 v14, v60
	v_lshlrev_b64 v[4:5], 2, v[4:5]
	v_cvt_f32_f16_e32 v20, v63
	v_mul_f32_e32 v18, v1, v24
	v_cvt_f32_f16_e32 v24, v62
	v_cvt_f32_f16_e32 v28, v59
	v_add_co_u32 v34, vcc_lo, s28, v26
	v_cvt_f32_f16_e32 v6, v6
	v_cvt_f32_f16_e32 v26, v58
	;; [unrolled: 1-line block ×4, first 2 shown]
	v_mul_f32_e32 v14, v1, v14
	v_add_co_ci_u32_e32 v35, vcc_lo, s29, v27, vcc_lo
	v_mul_f32_e32 v20, v1, v20
	v_add_co_u32 v4, vcc_lo, s28, v4
	v_mul_f32_e32 v24, v1, v24
	v_mul_f32_e32 v22, v1, v28
	;; [unrolled: 1-line block ×6, first 2 shown]
	v_add_co_ci_u32_e32 v5, vcc_lo, s29, v5, vcc_lo
	s_clause 0x3
	global_store_b128 v[8:9], v[14:17], off
	global_store_b128 v[32:33], v[18:21], off
	;; [unrolled: 1-line block ×4, first 2 shown]
	s_and_saveexec_b32 s2, s0
	s_cbranch_execz .LBB29_96
; %bb.95:
	v_ashrrev_i32_e32 v1, 31, v0
	v_mov_b32_e32 v9, v2
	s_delay_alu instid0(VALU_DEP_2) | instskip(NEXT) | instid1(VALU_DEP_1)
	v_lshlrev_b64 v[4:5], 3, v[0:1]
	v_add_co_u32 v4, vcc_lo, s30, v4
	s_delay_alu instid0(VALU_DEP_2)
	v_add_co_ci_u32_e32 v5, vcc_lo, s31, v5, vcc_lo
	global_store_b64 v[4:5], v[9:10], off
.LBB29_96:
	s_or_b32 exec_lo, exec_lo, s2
	v_cmp_ne_u32_e32 vcc_lo, 1, v13
	v_mov_b32_e32 v1, 1.0
	s_cbranch_vccnz .LBB29_98
; %bb.97:
	v_div_scale_f32 v1, null, v7, v7, 1.0
	s_delay_alu instid0(VALU_DEP_1) | instskip(SKIP_2) | instid1(VALU_DEP_1)
	v_rcp_f32_e32 v2, v1
	s_waitcnt_depctr 0xfff
	v_fma_f32 v4, -v1, v2, 1.0
	v_fmac_f32_e32 v2, v4, v2
	v_div_scale_f32 v4, vcc_lo, 1.0, v7, 1.0
	s_delay_alu instid0(VALU_DEP_1) | instskip(NEXT) | instid1(VALU_DEP_1)
	v_mul_f32_e32 v5, v4, v2
	v_fma_f32 v6, -v1, v5, v4
	s_delay_alu instid0(VALU_DEP_1) | instskip(NEXT) | instid1(VALU_DEP_1)
	v_fmac_f32_e32 v5, v6, v2
	v_fma_f32 v1, -v1, v5, v4
	s_delay_alu instid0(VALU_DEP_1) | instskip(NEXT) | instid1(VALU_DEP_1)
	v_div_fmas_f32 v1, v1, v2, v5
	v_div_fixup_f32 v1, v1, v7, 1.0
.LBB29_98:
	v_dual_mov_b32 v9, 0 :: v_dual_add_nc_u32 v0, s1, v0
	v_lshrrev_b32_e32 v2, 16, v56
	v_cvt_f32_f16_e32 v4, v56
	v_cvt_f32_f16_e32 v7, v55
	s_delay_alu instid0(VALU_DEP_4)
	v_lshl_add_u32 v8, v0, 9, v31
	v_lshrrev_b32_e32 v10, 16, v54
	v_cvt_f32_f16_e32 v2, v2
	v_mul_f32_e32 v6, v1, v4
	v_mul_f32_e32 v4, v1, v7
	v_lshlrev_b64 v[12:13], 2, v[8:9]
	v_lshrrev_b32_e32 v5, 16, v55
	v_mul_f32_e32 v7, v1, v2
	v_lshrrev_b32_e32 v2, 16, v52
	v_cvt_f32_f16_e32 v10, v10
	v_cvt_f32_f16_e32 v18, v52
	v_add_co_u32 v24, vcc_lo, s28, v12
	v_add_nc_u32_e32 v12, 0x80, v8
	v_add_co_ci_u32_e32 v25, vcc_lo, s29, v13, vcc_lo
	v_mov_b32_e32 v13, v9
	v_cvt_f32_f16_e32 v2, v2
	v_cvt_f32_f16_e32 v5, v5
	v_mul_f32_e32 v15, v1, v10
	v_lshrrev_b32_e32 v10, 16, v51
	v_lshlrev_b64 v[16:17], 2, v[12:13]
	v_mul_f32_e32 v13, v1, v2
	v_lshrrev_b32_e32 v2, 16, v53
	v_mul_f32_e32 v5, v1, v5
	v_cvt_f32_f16_e32 v10, v10
	v_cvt_f32_f16_e32 v14, v54
	v_add_co_u32 v26, vcc_lo, s28, v16
	v_add_nc_u32_e32 v16, 0x100, v8
	v_add_co_ci_u32_e32 v27, vcc_lo, s29, v17, vcc_lo
	v_mov_b32_e32 v17, v9
	v_cvt_f32_f16_e32 v2, v2
	v_add_nc_u32_e32 v8, 0x180, v8
	v_mul_f32_e32 v12, v1, v18
	v_cvt_f32_f16_e32 v18, v53
	v_lshlrev_b64 v[20:21], 2, v[16:17]
	v_mul_f32_e32 v19, v1, v2
	v_mul_f32_e32 v17, v1, v10
	v_lshrrev_b32_e32 v2, 16, v48
	v_lshrrev_b32_e32 v10, 16, v49
	v_lshlrev_b64 v[8:9], 2, v[8:9]
	v_cvt_f32_f16_e32 v22, v51
	v_add_co_u32 v28, vcc_lo, s28, v20
	v_cvt_f32_f16_e32 v2, v2
	v_cvt_f32_f16_e32 v20, v48
	;; [unrolled: 1-line block ×4, first 2 shown]
	v_add_co_ci_u32_e32 v29, vcc_lo, s29, v21, vcc_lo
	v_mul_f32_e32 v14, v1, v14
	v_mul_f32_e32 v18, v1, v18
	;; [unrolled: 1-line block ×7, first 2 shown]
	v_add_co_u32 v1, vcc_lo, s28, v8
	v_add_co_ci_u32_e32 v2, vcc_lo, s29, v9, vcc_lo
	s_clause 0x3
	global_store_b128 v[24:25], v[4:7], off
	global_store_b128 v[26:27], v[12:15], off
	global_store_b128 v[28:29], v[16:19], off
	global_store_b128 v[1:2], v[20:23], off
	s_and_b32 exec_lo, exec_lo, s0
	s_cbranch_execz .LBB29_82
; %bb.99:
	v_ashrrev_i32_e32 v1, 31, v0
	v_mov_b32_e32 v10, v3
	s_delay_alu instid0(VALU_DEP_2) | instskip(NEXT) | instid1(VALU_DEP_1)
	v_lshlrev_b64 v[0:1], 3, v[0:1]
	v_add_co_u32 v0, vcc_lo, s30, v0
	s_delay_alu instid0(VALU_DEP_2)
	v_add_co_ci_u32_e32 v1, vcc_lo, s31, v1, vcc_lo
	global_store_b64 v[0:1], v[10:11], off
	s_nop 0
	s_sendmsg sendmsg(MSG_DEALLOC_VGPRS)
	s_endpgm
	.section	.rodata,"a",@progbits
	.p2align	6, 0x0
	.amdhsa_kernel _ZL15flash_attn_tileILi512ELi512ELi8ELi4ELb1EEvPKcS1_S1_S1_S1_PKiPfP15HIP_vector_typeIfLj2EEffffjfiS5_IjLj3EEiiiiiiiiiiiliiliiiiil
		.amdhsa_group_segment_fixed_size 59392
		.amdhsa_private_segment_fixed_size 0
		.amdhsa_kernarg_size 464
		.amdhsa_user_sgpr_count 13
		.amdhsa_user_sgpr_dispatch_ptr 0
		.amdhsa_user_sgpr_queue_ptr 0
		.amdhsa_user_sgpr_kernarg_segment_ptr 1
		.amdhsa_user_sgpr_dispatch_id 0
		.amdhsa_user_sgpr_private_segment_size 0
		.amdhsa_wavefront_size32 1
		.amdhsa_uses_dynamic_stack 0
		.amdhsa_enable_private_segment 0
		.amdhsa_system_sgpr_workgroup_id_x 1
		.amdhsa_system_sgpr_workgroup_id_y 1
		.amdhsa_system_sgpr_workgroup_id_z 1
		.amdhsa_system_sgpr_workgroup_info 0
		.amdhsa_system_vgpr_workitem_id 1
		.amdhsa_next_free_vgpr 208
		.amdhsa_next_free_sgpr 40
		.amdhsa_reserve_vcc 1
		.amdhsa_float_round_mode_32 0
		.amdhsa_float_round_mode_16_64 0
		.amdhsa_float_denorm_mode_32 3
		.amdhsa_float_denorm_mode_16_64 3
		.amdhsa_dx10_clamp 1
		.amdhsa_ieee_mode 1
		.amdhsa_fp16_overflow 0
		.amdhsa_workgroup_processor_mode 1
		.amdhsa_memory_ordered 1
		.amdhsa_forward_progress 0
		.amdhsa_shared_vgpr_count 0
		.amdhsa_exception_fp_ieee_invalid_op 0
		.amdhsa_exception_fp_denorm_src 0
		.amdhsa_exception_fp_ieee_div_zero 0
		.amdhsa_exception_fp_ieee_overflow 0
		.amdhsa_exception_fp_ieee_underflow 0
		.amdhsa_exception_fp_ieee_inexact 0
		.amdhsa_exception_int_div_zero 0
	.end_amdhsa_kernel
	.section	.text._ZL15flash_attn_tileILi512ELi512ELi8ELi4ELb1EEvPKcS1_S1_S1_S1_PKiPfP15HIP_vector_typeIfLj2EEffffjfiS5_IjLj3EEiiiiiiiiiiiliiliiiiil,"axG",@progbits,_ZL15flash_attn_tileILi512ELi512ELi8ELi4ELb1EEvPKcS1_S1_S1_S1_PKiPfP15HIP_vector_typeIfLj2EEffffjfiS5_IjLj3EEiiiiiiiiiiiliiliiiiil,comdat
.Lfunc_end29:
	.size	_ZL15flash_attn_tileILi512ELi512ELi8ELi4ELb1EEvPKcS1_S1_S1_S1_PKiPfP15HIP_vector_typeIfLj2EEffffjfiS5_IjLj3EEiiiiiiiiiiiliiliiiiil, .Lfunc_end29-_ZL15flash_attn_tileILi512ELi512ELi8ELi4ELb1EEvPKcS1_S1_S1_S1_PKiPfP15HIP_vector_typeIfLj2EEffffjfiS5_IjLj3EEiiiiiiiiiiiliiliiiiil
                                        ; -- End function
	.section	.AMDGPU.csdata,"",@progbits
; Kernel info:
; codeLenInByte = 95936
; NumSgprs: 42
; NumVgprs: 208
; ScratchSize: 0
; MemoryBound: 0
; FloatMode: 240
; IeeeMode: 1
; LDSByteSize: 59392 bytes/workgroup (compile time only)
; SGPRBlocks: 5
; VGPRBlocks: 25
; NumSGPRsForWavesPerEU: 42
; NumVGPRsForWavesPerEU: 208
; Occupancy: 4
; WaveLimiterHint : 1
; COMPUTE_PGM_RSRC2:SCRATCH_EN: 0
; COMPUTE_PGM_RSRC2:USER_SGPR: 13
; COMPUTE_PGM_RSRC2:TRAP_HANDLER: 0
; COMPUTE_PGM_RSRC2:TGID_X_EN: 1
; COMPUTE_PGM_RSRC2:TGID_Y_EN: 1
; COMPUTE_PGM_RSRC2:TGID_Z_EN: 1
; COMPUTE_PGM_RSRC2:TIDIG_COMP_CNT: 1
	.section	.text._ZL15flash_attn_tileILi512ELi512ELi4ELi4ELb1EEvPKcS1_S1_S1_S1_PKiPfP15HIP_vector_typeIfLj2EEffffjfiS5_IjLj3EEiiiiiiiiiiiliiliiiiil,"axG",@progbits,_ZL15flash_attn_tileILi512ELi512ELi4ELi4ELb1EEvPKcS1_S1_S1_S1_PKiPfP15HIP_vector_typeIfLj2EEffffjfiS5_IjLj3EEiiiiiiiiiiiliiliiiiil,comdat
	.globl	_ZL15flash_attn_tileILi512ELi512ELi4ELi4ELb1EEvPKcS1_S1_S1_S1_PKiPfP15HIP_vector_typeIfLj2EEffffjfiS5_IjLj3EEiiiiiiiiiiiliiliiiiil ; -- Begin function _ZL15flash_attn_tileILi512ELi512ELi4ELi4ELb1EEvPKcS1_S1_S1_S1_PKiPfP15HIP_vector_typeIfLj2EEffffjfiS5_IjLj3EEiiiiiiiiiiiliiliiiiil
	.p2align	8
	.type	_ZL15flash_attn_tileILi512ELi512ELi4ELi4ELb1EEvPKcS1_S1_S1_S1_PKiPfP15HIP_vector_typeIfLj2EEffffjfiS5_IjLj3EEiiiiiiiiiiiliiliiiiil,@function
_ZL15flash_attn_tileILi512ELi512ELi4ELi4ELb1EEvPKcS1_S1_S1_S1_PKiPfP15HIP_vector_typeIfLj2EEffffjfiS5_IjLj3EEiiiiiiiiiiiliiliiiiil: ; @_ZL15flash_attn_tileILi512ELi512ELi4ELi4ELb1EEvPKcS1_S1_S1_S1_PKiPfP15HIP_vector_typeIfLj2EEffffjfiS5_IjLj3EEiiiiiiiiiiiliiliiiiil
; %bb.0:
	s_clause 0x3
	s_load_b128 s[4:7], s[0:1], 0x5c
	s_load_b64 s[2:3], s[0:1], 0x80
	s_load_b512 s[16:31], s[0:1], 0x0
	s_load_b64 s[36:37], s[0:1], 0xb8
	s_mov_b64 s[34:35], 0
	s_waitcnt lgkmcnt(0)
	s_ashr_i32 s8, s7, 31
	s_delay_alu instid0(SALU_CYCLE_1) | instskip(NEXT) | instid1(SALU_CYCLE_1)
	s_lshr_b32 s8, s8, 30
	s_add_i32 s8, s7, s8
	s_delay_alu instid0(SALU_CYCLE_1) | instskip(NEXT) | instid1(SALU_CYCLE_1)
	s_ashr_i32 s8, s8, 2
	v_cvt_f32_u32_e32 v1, s8
	s_sub_i32 s10, 0, s8
	s_delay_alu instid0(VALU_DEP_1) | instskip(SKIP_2) | instid1(VALU_DEP_1)
	v_rcp_iflag_f32_e32 v1, v1
	s_waitcnt_depctr 0xfff
	v_mul_f32_e32 v1, 0x4f7ffffe, v1
	v_cvt_u32_f32_e32 v1, v1
	s_delay_alu instid0(VALU_DEP_1) | instskip(NEXT) | instid1(VALU_DEP_1)
	v_readfirstlane_b32 s9, v1
	s_mul_i32 s10, s10, s9
	s_delay_alu instid0(SALU_CYCLE_1) | instskip(NEXT) | instid1(SALU_CYCLE_1)
	s_mul_hi_u32 s10, s9, s10
	s_add_i32 s9, s9, s10
	s_delay_alu instid0(SALU_CYCLE_1) | instskip(NEXT) | instid1(SALU_CYCLE_1)
	s_mul_hi_u32 s9, s15, s9
	s_mul_i32 s10, s9, s8
	s_add_i32 s11, s9, 1
	s_sub_i32 s10, s15, s10
	s_delay_alu instid0(SALU_CYCLE_1)
	s_sub_i32 s12, s10, s8
	s_cmp_ge_u32 s10, s8
	s_cselect_b32 s9, s11, s9
	s_cselect_b32 s10, s12, s10
	s_add_i32 s11, s9, 1
	s_cmp_ge_u32 s10, s8
	s_cselect_b32 s33, s11, s9
	s_abs_i32 s8, s3
	s_lshl_b32 s11, s15, 2
	v_cvt_f32_u32_e32 v1, s8
	s_sub_i32 s10, 0, s8
	s_abs_i32 s15, s7
	s_mul_i32 s12, s33, s7
	s_xor_b32 s3, s7, s3
	v_rcp_iflag_f32_e32 v1, v1
	s_sub_i32 s12, s11, s12
	s_ashr_i32 s3, s3, 31
	s_waitcnt_depctr 0xfff
	v_mul_f32_e32 v1, 0x4f7ffffe, v1
	s_delay_alu instid0(VALU_DEP_1) | instskip(NEXT) | instid1(VALU_DEP_1)
	v_cvt_u32_f32_e32 v1, v1
	v_readfirstlane_b32 s9, v1
	s_delay_alu instid0(VALU_DEP_1) | instskip(NEXT) | instid1(SALU_CYCLE_1)
	s_mul_i32 s10, s10, s9
	s_mul_hi_u32 s10, s9, s10
	s_delay_alu instid0(SALU_CYCLE_1) | instskip(NEXT) | instid1(SALU_CYCLE_1)
	s_add_i32 s9, s9, s10
	s_mul_hi_u32 s9, s15, s9
	s_delay_alu instid0(SALU_CYCLE_1) | instskip(SKIP_2) | instid1(SALU_CYCLE_1)
	s_mul_i32 s10, s9, s8
	s_add_i32 s11, s9, 1
	s_sub_i32 s10, s15, s10
	s_sub_i32 s15, s10, s8
	s_cmp_ge_u32 s10, s8
	s_cselect_b32 s9, s11, s9
	s_cselect_b32 s10, s15, s10
	s_add_i32 s11, s9, 1
	s_cmp_ge_u32 s10, s8
	s_cselect_b32 s8, s11, s9
	s_delay_alu instid0(SALU_CYCLE_1) | instskip(NEXT) | instid1(SALU_CYCLE_1)
	s_xor_b32 s8, s8, s3
	s_sub_i32 s38, s8, s3
	s_delay_alu instid0(SALU_CYCLE_1) | instskip(SKIP_2) | instid1(VALU_DEP_1)
	s_abs_i32 s15, s38
	s_cmp_eq_u64 s[22:23], 0
	v_cvt_f32_u32_e32 v1, s15
	v_rcp_iflag_f32_e32 v1, v1
	s_waitcnt_depctr 0xfff
	v_mul_f32_e32 v1, 0x4f7ffffe, v1
	s_delay_alu instid0(VALU_DEP_1) | instskip(NEXT) | instid1(VALU_DEP_1)
	v_cvt_u32_f32_e32 v1, v1
	v_readfirstlane_b32 s39, v1
	s_cbranch_scc1 .LBB30_2
; %bb.1:
	s_abs_i32 s3, s36
	s_abs_i32 s10, s33
	v_cvt_f32_u32_e32 v1, s3
	s_sub_i32 s9, 0, s3
	s_delay_alu instid0(VALU_DEP_1) | instskip(SKIP_2) | instid1(VALU_DEP_1)
	v_rcp_iflag_f32_e32 v1, v1
	s_waitcnt_depctr 0xfff
	v_mul_f32_e32 v1, 0x4f7ffffe, v1
	v_cvt_u32_f32_e32 v1, v1
	s_delay_alu instid0(VALU_DEP_1) | instskip(NEXT) | instid1(VALU_DEP_1)
	v_readfirstlane_b32 s8, v1
	s_mul_i32 s9, s9, s8
	s_delay_alu instid0(SALU_CYCLE_1) | instskip(NEXT) | instid1(SALU_CYCLE_1)
	s_mul_hi_u32 s9, s8, s9
	s_add_i32 s11, s8, s9
	s_load_b64 s[8:9], s[0:1], 0xc8
	s_mul_hi_u32 s11, s10, s11
	s_delay_alu instid0(SALU_CYCLE_1) | instskip(NEXT) | instid1(SALU_CYCLE_1)
	s_mul_i32 s11, s11, s3
	s_sub_i32 s10, s10, s11
	s_ashr_i32 s11, s33, 31
	s_sub_i32 s34, s10, s3
	s_cmp_ge_u32 s10, s3
	s_cselect_b32 s10, s34, s10
	s_delay_alu instid0(SALU_CYCLE_1) | instskip(SKIP_2) | instid1(SALU_CYCLE_1)
	s_sub_i32 s34, s10, s3
	s_cmp_ge_u32 s10, s3
	s_cselect_b32 s3, s34, s10
	s_xor_b32 s3, s3, s11
	s_delay_alu instid0(SALU_CYCLE_1)
	s_sub_i32 s3, s3, s11
	s_waitcnt lgkmcnt(0)
	s_mul_i32 s9, s3, s9
	s_mul_hi_u32 s10, s3, s8
	s_ashr_i32 s11, s3, 31
	s_add_i32 s9, s10, s9
	s_mul_i32 s11, s11, s8
	s_mul_i32 s3, s3, s8
	s_add_i32 s9, s9, s11
	s_add_u32 s34, s22, s3
	s_addc_u32 s35, s23, s9
.LBB30_2:
	v_bfe_u32 v1, v0, 10, 10
	s_load_b128 s[8:11], s[0:1], 0x70
	v_and_b32_e32 v193, 0x3ff, v0
	s_delay_alu instid0(VALU_DEP_2) | instskip(SKIP_1) | instid1(VALU_DEP_3)
	v_lshrrev_b32_e32 v2, 1, v1
	v_lshlrev_b32_e32 v6, 1, v1
	v_lshlrev_b32_e32 v36, 3, v193
	s_delay_alu instid0(VALU_DEP_3) | instskip(NEXT) | instid1(VALU_DEP_3)
	v_lshl_add_u32 v192, s13, 2, v2
	v_or_b32_e32 v35, 1, v6
	v_and_b32_e32 v202, 2, v6
	s_delay_alu instid0(VALU_DEP_4) | instskip(NEXT) | instid1(VALU_DEP_4)
	v_lshl_or_b32 v51, v1, 11, v36
	v_mul_hi_u32 v2, s4, v192
	s_delay_alu instid0(VALU_DEP_4) | instskip(SKIP_4) | instid1(VALU_DEP_3)
	v_and_b32_e32 v12, 3, v35
	v_lshlrev_b32_e32 v35, 8, v35
	s_waitcnt lgkmcnt(0)
	s_mul_i32 s3, s33, s10
	s_mul_i32 s4, s12, s9
	v_add_nc_u32_e32 v2, v192, v2
	s_delay_alu instid0(VALU_DEP_1)
	v_lshrrev_b32_e32 v2, s5, v2
	s_ashr_i32 s5, s3, 31
	s_add_u32 s3, s16, s3
	s_addc_u32 s5, s17, s5
	s_ashr_i32 s10, s4, 31
	v_mul_lo_u32 v2, v2, s6
	s_add_u32 s3, s3, s4
	s_addc_u32 s4, s5, s10
	s_ashr_i32 s5, s8, 31
	s_delay_alu instid0(SALU_CYCLE_1) | instskip(SKIP_2) | instid1(VALU_DEP_2)
	v_alignbit_b32 v5, s5, s8, 2
	s_ashr_i32 s8, s9, 31
	s_lshr_b32 s5, s5, 2
	v_sub_nc_u32_e32 v2, v192, v2
	v_alignbit_b32 v10, s8, s9, 2
	s_delay_alu instid0(VALU_DEP_2) | instskip(NEXT) | instid1(VALU_DEP_2)
	v_mad_u64_u32 v[3:4], null, v5, v2, 0
	v_mad_u64_u32 v[8:9], null, v10, v202, 0
	s_delay_alu instid0(VALU_DEP_2) | instskip(SKIP_4) | instid1(VALU_DEP_3)
	v_mad_u64_u32 v[5:6], null, s5, v2, v[4:5]
	v_mad_u64_u32 v[6:7], null, v10, v12, 0
	s_lshr_b32 s5, s8, 2
	s_cmp_eq_u64 s[26:27], 0
	v_mul_lo_u32 v11, s5, v202
	v_dual_mov_b32 v4, v5 :: v_dual_lshlrev_b32 v5, 4, v193
	s_delay_alu instid0(VALU_DEP_3) | instskip(NEXT) | instid1(VALU_DEP_2)
	v_mov_b32_e32 v0, v7
	v_lshlrev_b64 v[3:4], 2, v[3:4]
	s_delay_alu instid0(VALU_DEP_4) | instskip(NEXT) | instid1(VALU_DEP_3)
	v_or_b32_e32 v9, v9, v11
	v_mad_u64_u32 v[10:11], null, s5, v12, v[0:1]
	s_delay_alu instid0(VALU_DEP_3) | instskip(NEXT) | instid1(VALU_DEP_4)
	v_add_co_u32 v0, vcc_lo, s3, v3
	v_add_co_ci_u32_e32 v7, vcc_lo, s4, v4, vcc_lo
	s_delay_alu instid0(VALU_DEP_4) | instskip(NEXT) | instid1(VALU_DEP_3)
	v_lshlrev_b64 v[3:4], 2, v[8:9]
	v_add_co_u32 v0, vcc_lo, v0, v5
	s_delay_alu instid0(VALU_DEP_3) | instskip(SKIP_1) | instid1(VALU_DEP_3)
	v_add_co_ci_u32_e32 v13, vcc_lo, 0, v7, vcc_lo
	v_mov_b32_e32 v7, v10
	v_add_co_u32 v15, vcc_lo, v0, v3
	s_delay_alu instid0(VALU_DEP_3) | instskip(NEXT) | instid1(VALU_DEP_3)
	v_add_co_ci_u32_e32 v16, vcc_lo, v13, v4, vcc_lo
	v_lshlrev_b64 v[11:12], 2, v[6:7]
	s_load_b32 s4, s[0:1], 0x40
	s_mov_b32 s3, 0
	s_clause 0x1
	global_load_b128 v[3:6], v[15:16], off
	global_load_b128 v[7:10], v[15:16], off offset:512
	v_add_co_u32 v31, vcc_lo, v0, v11
	v_add_co_ci_u32_e32 v32, vcc_lo, v13, v12, vcc_lo
	s_clause 0x5
	global_load_b128 v[11:14], v[15:16], off offset:1024
	global_load_b128 v[15:18], v[15:16], off offset:1536
	global_load_b128 v[19:22], v[31:32], off
	global_load_b128 v[23:26], v[31:32], off offset:512
	global_load_b128 v[27:30], v[31:32], off offset:1024
	;; [unrolled: 1-line block ×3, first 2 shown]
	v_lshlrev_b32_e32 v0, 1, v193
	s_delay_alu instid0(VALU_DEP_1)
	v_add_lshl_u32 v0, v35, v0, 2
	s_waitcnt vmcnt(7) lgkmcnt(0)
	v_fma_mixlo_f16 v35, v3, s4, 0
	v_fma_mixlo_f16 v36, v5, s4, 0
	s_waitcnt vmcnt(6)
	v_fma_mixlo_f16 v37, v7, s4, 0
	v_fma_mixlo_f16 v38, v9, s4, 0
	s_waitcnt vmcnt(5)
	;; [unrolled: 3-line block ×7, first 2 shown]
	v_fma_mixlo_f16 v49, v31, s4, 0
	v_fma_mixlo_f16 v50, v33, s4, 0
	v_fma_mixhi_f16 v36, v6, s4, 0
	v_fma_mixhi_f16 v35, v4, s4, 0
	;; [unrolled: 1-line block ×16, first 2 shown]
	ds_store_2addr_b64 v51, v[35:36], v[37:38] offset1:32
	ds_store_2addr_b64 v51, v[39:40], v[41:42] offset0:64 offset1:96
	ds_store_2addr_b64 v0, v[43:44], v[45:46] offset1:32
	ds_store_2addr_b64 v0, v[47:48], v[49:50] offset0:64 offset1:96
	s_waitcnt lgkmcnt(0)
	s_barrier
	buffer_gl0_inv
	s_cbranch_scc1 .LBB30_4
; %bb.3:
	s_load_b32 s2, s[0:1], 0xd0
	s_waitcnt lgkmcnt(0)
	s_mul_i32 s2, s2, s33
	s_delay_alu instid0(SALU_CYCLE_1) | instskip(NEXT) | instid1(SALU_CYCLE_1)
	s_add_i32 s2, s2, s13
	s_lshl_b64 s[2:3], s[2:3], 2
	s_delay_alu instid0(SALU_CYCLE_1)
	s_add_u32 s2, s26, s2
	s_addc_u32 s3, s27, s3
	s_load_b32 s2, s[2:3], 0x0
.LBB30_4:
	v_lshlrev_b32_e32 v201, 2, v193
	v_mbcnt_lo_u32_b32 v203, -1, 0
	s_lshl_b32 s3, s14, 6
	s_waitcnt lgkmcnt(0)
	s_cmp_lt_i32 s3, s2
	s_cbranch_scc1 .LBB30_6
; %bb.5:
	v_mbcnt_lo_u32_b32 v0, -1, 0
	v_mov_b32_e32 v204, 32
	s_mov_b32 s4, 0
	s_mov_b32 s5, 0xfeffffff
	s_delay_alu instid0(VALU_DEP_2)
	v_xor_b32_e32 v222, 16, v0
	v_xor_b32_e32 v218, 8, v0
	;; [unrolled: 1-line block ×5, first 2 shown]
	s_branch .LBB30_7
.LBB30_6:
	s_mov_b32 s4, -1
                                        ; implicit-def: $sgpr5
                                        ; implicit-def: $vgpr0
                                        ; implicit-def: $vgpr204
                                        ; implicit-def: $vgpr222
                                        ; implicit-def: $vgpr218
                                        ; implicit-def: $vgpr219
                                        ; implicit-def: $vgpr220
                                        ; implicit-def: $vgpr221
.LBB30_7:
	s_delay_alu instid0(SALU_CYCLE_1) | instskip(SKIP_2) | instid1(VALU_DEP_3)
	v_cndmask_b32_e64 v3, 0, 1, s4
	v_dual_mov_b32 v200, s5 :: v_dual_mov_b32 v169, s4
	v_dual_mov_b32 v155, s4 :: v_dual_mov_b32 v168, s4
	v_cmp_ne_u32_e32 vcc_lo, 1, v3
	v_dual_mov_b32 v199, s5 :: v_dual_mov_b32 v158, s4
	v_dual_mov_b32 v157, s4 :: v_dual_mov_b32 v154, s4
	;; [unrolled: 1-line block ×8, first 2 shown]
	s_cbranch_vccnz .LBB30_28
; %bb.8:
	s_clause 0x1
	s_load_b128 s[8:11], s[0:1], 0x98
	s_load_b64 s[4:5], s[0:1], 0x8c
	s_sub_i32 s13, 0, s15
	s_abs_i32 s22, s12
	s_mul_i32 s13, s13, s39
	s_ashr_i32 s27, s37, 1
	s_mul_hi_u32 s13, s39, s13
	s_ashr_i32 s37, s33, 31
	s_add_i32 s39, s39, s13
	s_ashr_i32 s23, s12, 31
	s_mul_hi_u32 s36, s22, s39
	s_ashr_i32 s26, s38, 31
	s_load_b64 s[16:17], s[0:1], 0xa8
	s_mul_i32 s38, s36, s15
	v_lshrrev_b32_e32 v0, 3, v193
	v_dual_mov_b32 v144, 0 :: v_dual_and_b32 v9, 28, v201
	v_dual_mov_b32 v145, 0 :: v_dual_lshlrev_b32 v208, 11, v1
	v_mov_b32_e32 v151, 0
	s_waitcnt lgkmcnt(0)
	s_mul_i32 s39, s37, s8
	s_ashr_i32 s13, s4, 2
	s_mul_i32 s4, s33, s9
	s_mul_hi_u32 s9, s33, s8
	s_mul_i32 s8, s33, s8
	s_add_i32 s4, s9, s4
	s_ashr_i32 s10, s10, 2
	s_add_i32 s4, s4, s39
	s_add_u32 s9, s18, s8
	s_addc_u32 s4, s19, s4
	s_sub_i32 s19, s22, s38
	s_xor_b32 s18, s23, s26
	s_add_i32 s22, s36, 1
	s_sub_i32 s23, s19, s15
	s_cmp_ge_u32 s19, s15
	v_mul_lo_u32 v5, s10, v1
	s_cselect_b32 s22, s22, s36
	s_cselect_b32 s19, s23, s19
	s_add_i32 s23, s22, 1
	s_cmp_ge_u32 s19, s15
	v_lshl_add_u32 v0, v1, 2, v0
	s_cselect_b32 s15, s23, s22
	v_lshlrev_b32_e32 v4, 2, v9
	s_xor_b32 s15, s15, s18
	v_ashrrev_i32_e32 v6, 31, v5
	s_sub_i32 s18, s15, s18
	v_mul_lo_u32 v3, s13, v0
	s_mul_i32 s5, s18, s5
	v_mad_u32_u24 v0, 0x90, v0, v4
	s_load_b32 s8, s[0:1], 0x54
	s_mul_i32 s17, s33, s17
	s_mul_hi_u32 s19, s33, s16
	s_ashr_i32 s15, s5, 31
	s_add_u32 s9, s9, s5
	s_mul_i32 s37, s37, s16
	s_addc_u32 s15, s4, s15
	s_add_i32 s4, s19, s17
	s_mul_i32 s5, s33, s16
	v_lshlrev_b64 v[5:6], 2, v[5:6]
	s_add_i32 s4, s4, s37
	s_mul_i32 s18, s18, s11
	v_dual_mov_b32 v204, 32 :: v_dual_add_nc_u32 v205, 0x4000, v0
	v_dual_mov_b32 v147, 0 :: v_dual_add_nc_u32 v206, 0x5200, v0
	v_dual_mov_b32 v149, 0 :: v_dual_lshlrev_b32 v0, 2, v201
	s_add_u32 s5, s20, s5
	v_lshl_add_u32 v7, s13, 5, v3
	s_addc_u32 s4, s21, s4
	s_ashr_i32 s11, s18, 31
	s_add_u32 s5, s5, s18
	s_addc_u32 s4, s4, s11
	v_lshl_add_u32 v10, v1, 10, v0
	v_lshl_add_u32 v209, v1, 8, 0x6400
	v_add_co_u32 v1, vcc_lo, s5, v5
	v_ashrrev_i32_e32 v4, 31, v3
	v_ashrrev_i32_e32 v8, 31, v7
	v_mad_u64_u32 v[194:195], null, v2, s27, v[193:194]
	v_add_co_ci_u32_e32 v2, vcc_lo, s4, v6, vcc_lo
	v_add_co_u32 v213, vcc_lo, v1, v0
	v_lshlrev_b64 v[195:196], 2, v[3:4]
	v_lshlrev_b64 v[197:198], 2, v[7:8]
	v_mul_u32_u24_e32 v207, 0x90, v193
	v_dual_mov_b32 v153, 0 :: v_dual_add_nc_u32 v210, 0x4000, v10
	v_dual_mov_b32 v146, 0 :: v_dual_add_nc_u32 v211, 0x4200, v10
	v_lshl_or_b32 v212, v193, 3, 0x4000
	v_add_co_ci_u32_e32 v214, vcc_lo, 0, v2, vcc_lo
	v_dual_mov_b32 v160, 0xfeffffff :: v_dual_lshlrev_b32 v215, 2, v9
	v_dual_mov_b32 v148, 0 :: v_dual_mov_b32 v159, 0
	v_dual_mov_b32 v150, 0 :: v_dual_mov_b32 v157, 0
	v_dual_mov_b32 v152, 0 :: v_dual_mov_b32 v155, 0
	v_dual_mov_b32 v156, 0 :: v_dual_mov_b32 v161, 0xfeffffff
	v_dual_mov_b32 v154, 0 :: v_dual_mov_b32 v217, 0
	v_mov_b32_e32 v158, 0
	v_mov_b32_e32 v216, 0
	s_add_u32 s4, s0, 0xd0
	s_addc_u32 s5, s1, 0
	s_mov_b32 s11, 0xbbbac73d
.LBB30_9:                               ; =>This Inner Loop Header: Depth=1
	s_mul_hi_i32 s17, s3, s13
	s_mul_i32 s16, s3, s13
	s_delay_alu instid0(SALU_CYCLE_1) | instskip(NEXT) | instid1(SALU_CYCLE_1)
	s_lshl_b64 s[16:17], s[16:17], 2
	s_add_u32 s16, s9, s16
	s_addc_u32 s17, s15, s17
	v_add_co_u32 v0, vcc_lo, s16, v195
	v_add_co_ci_u32_e32 v1, vcc_lo, s17, v196, vcc_lo
	v_add_co_u32 v2, vcc_lo, s16, v197
	v_add_co_ci_u32_e32 v3, vcc_lo, s17, v198, vcc_lo
	s_delay_alu instid0(VALU_DEP_4) | instskip(NEXT) | instid1(VALU_DEP_4)
	v_add_co_u32 v0, vcc_lo, v0, v215
	v_add_co_ci_u32_e32 v1, vcc_lo, 0, v1, vcc_lo
	s_delay_alu instid0(VALU_DEP_4) | instskip(NEXT) | instid1(VALU_DEP_4)
	v_add_co_u32 v2, vcc_lo, v2, v215
	v_add_co_ci_u32_e32 v3, vcc_lo, 0, v3, vcc_lo
	s_clause 0x1
	global_load_b128 v[4:7], v[0:1], off
	global_load_b128 v[8:11], v[2:3], off
	s_waitcnt vmcnt(1)
	ds_store_b128 v205, v[4:7]
	s_waitcnt vmcnt(0)
	ds_store_b128 v206, v[8:11]
	s_waitcnt lgkmcnt(0)
	s_barrier
	buffer_gl0_inv
	ds_load_b128 v[8:11], v207 offset:16384
	ds_load_b128 v[12:15], v208
	ds_load_b128 v[16:19], v208 offset:1024
	ds_load_b128 v[20:23], v207 offset:20992
	v_dual_mov_b32 v6, 0 :: v_dual_mov_b32 v7, 0
	v_dual_mov_b32 v4, 0 :: v_dual_mov_b32 v5, 0
	s_waitcnt lgkmcnt(2)
	;;#ASMSTART
	v_dot2_f32_f16 v6, v8, v12, v6
	;;#ASMEND
	;;#ASMSTART
	v_dot2_f32_f16 v6, v9, v13, v6
	;;#ASMEND
	;;#ASMSTART
	v_dot2_f32_f16 v6, v10, v14, v6
	;;#ASMEND
	;;#ASMSTART
	v_dot2_f32_f16 v6, v11, v15, v6
	;;#ASMEND
	s_waitcnt lgkmcnt(1)
	;;#ASMSTART
	v_dot2_f32_f16 v4, v8, v16, v4
	;;#ASMEND
	;;#ASMSTART
	v_dot2_f32_f16 v4, v9, v17, v4
	;;#ASMEND
	;;#ASMSTART
	v_dot2_f32_f16 v4, v10, v18, v4
	;;#ASMEND
	;;#ASMSTART
	v_dot2_f32_f16 v4, v11, v19, v4
	;;#ASMEND
	s_waitcnt lgkmcnt(0)
	;;#ASMSTART
	v_dot2_f32_f16 v7, v20, v12, v7
	;;#ASMEND
	;;#ASMSTART
	v_dot2_f32_f16 v7, v21, v13, v7
	;;#ASMEND
	;;#ASMSTART
	v_dot2_f32_f16 v7, v22, v14, v7
	;;#ASMEND
	;;#ASMSTART
	v_dot2_f32_f16 v7, v23, v15, v7
	;;#ASMEND
	;;#ASMSTART
	v_dot2_f32_f16 v5, v20, v16, v5
	;;#ASMEND
	;;#ASMSTART
	v_dot2_f32_f16 v5, v21, v17, v5
	;;#ASMEND
	;;#ASMSTART
	v_dot2_f32_f16 v5, v22, v18, v5
	;;#ASMEND
	;;#ASMSTART
	v_dot2_f32_f16 v5, v23, v19, v5
	;;#ASMEND
	ds_load_b128 v[8:11], v207 offset:16400
	ds_load_b128 v[12:15], v208 offset:16
	ds_load_b128 v[16:19], v208 offset:1040
	ds_load_b128 v[20:23], v207 offset:21008
	s_waitcnt lgkmcnt(2)
	;;#ASMSTART
	v_dot2_f32_f16 v6, v8, v12, v6
	;;#ASMEND
	;;#ASMSTART
	v_dot2_f32_f16 v6, v9, v13, v6
	;;#ASMEND
	;;#ASMSTART
	v_dot2_f32_f16 v6, v10, v14, v6
	;;#ASMEND
	;;#ASMSTART
	v_dot2_f32_f16 v6, v11, v15, v6
	;;#ASMEND
	s_waitcnt lgkmcnt(1)
	;;#ASMSTART
	v_dot2_f32_f16 v4, v8, v16, v4
	;;#ASMEND
	;;#ASMSTART
	v_dot2_f32_f16 v4, v9, v17, v4
	;;#ASMEND
	;;#ASMSTART
	v_dot2_f32_f16 v4, v10, v18, v4
	;;#ASMEND
	;;#ASMSTART
	v_dot2_f32_f16 v4, v11, v19, v4
	;;#ASMEND
	s_waitcnt lgkmcnt(0)
	;;#ASMSTART
	v_dot2_f32_f16 v7, v20, v12, v7
	;;#ASMEND
	;;#ASMSTART
	v_dot2_f32_f16 v7, v21, v13, v7
	;;#ASMEND
	;;#ASMSTART
	v_dot2_f32_f16 v7, v22, v14, v7
	;;#ASMEND
	;;#ASMSTART
	v_dot2_f32_f16 v7, v23, v15, v7
	;;#ASMEND
	;;#ASMSTART
	v_dot2_f32_f16 v5, v20, v16, v5
	;;#ASMEND
	;;#ASMSTART
	v_dot2_f32_f16 v5, v21, v17, v5
	;;#ASMEND
	;;#ASMSTART
	v_dot2_f32_f16 v5, v22, v18, v5
	;;#ASMEND
	;;#ASMSTART
	v_dot2_f32_f16 v5, v23, v19, v5
	;;#ASMEND
	ds_load_b128 v[8:11], v207 offset:16416
	ds_load_b128 v[12:15], v208 offset:32
	ds_load_b128 v[16:19], v208 offset:1056
	ds_load_b128 v[20:23], v207 offset:21024
	;; [unrolled: 55-line block ×7, first 2 shown]
	s_waitcnt lgkmcnt(2)
	;;#ASMSTART
	v_dot2_f32_f16 v6, v8, v12, v6
	;;#ASMEND
	;;#ASMSTART
	v_dot2_f32_f16 v6, v9, v13, v6
	;;#ASMEND
	;;#ASMSTART
	v_dot2_f32_f16 v6, v10, v14, v6
	;;#ASMEND
	;;#ASMSTART
	v_dot2_f32_f16 v6, v11, v15, v6
	;;#ASMEND
	s_waitcnt lgkmcnt(1)
	;;#ASMSTART
	v_dot2_f32_f16 v4, v8, v16, v4
	;;#ASMEND
	;;#ASMSTART
	v_dot2_f32_f16 v4, v9, v17, v4
	;;#ASMEND
	;;#ASMSTART
	v_dot2_f32_f16 v4, v10, v18, v4
	;;#ASMEND
	;;#ASMSTART
	v_dot2_f32_f16 v4, v11, v19, v4
	;;#ASMEND
	;; [unrolled: 13-line block ×3, first 2 shown]
	;;#ASMSTART
	v_dot2_f32_f16 v5, v20, v16, v5
	;;#ASMEND
	;;#ASMSTART
	v_dot2_f32_f16 v5, v21, v17, v5
	;;#ASMEND
	;;#ASMSTART
	v_dot2_f32_f16 v5, v22, v18, v5
	;;#ASMEND
	;;#ASMSTART
	v_dot2_f32_f16 v5, v23, v19, v5
	;;#ASMEND
	s_barrier
	buffer_gl0_inv
	s_clause 0x1
	global_load_b128 v[8:11], v[0:1], off offset:128
	global_load_b128 v[12:15], v[2:3], off offset:128
	s_waitcnt vmcnt(1)
	ds_store_b128 v205, v[8:11]
	s_waitcnt vmcnt(0)
	ds_store_b128 v206, v[12:15]
	s_waitcnt lgkmcnt(0)
	s_barrier
	buffer_gl0_inv
	ds_load_b128 v[8:11], v207 offset:16384
	ds_load_b128 v[12:15], v208 offset:128
	ds_load_b128 v[16:19], v208 offset:1152
	ds_load_b128 v[20:23], v207 offset:20992
	s_waitcnt lgkmcnt(2)
	;;#ASMSTART
	v_dot2_f32_f16 v6, v8, v12, v6
	;;#ASMEND
	;;#ASMSTART
	v_dot2_f32_f16 v6, v9, v13, v6
	;;#ASMEND
	;;#ASMSTART
	v_dot2_f32_f16 v6, v10, v14, v6
	;;#ASMEND
	;;#ASMSTART
	v_dot2_f32_f16 v6, v11, v15, v6
	;;#ASMEND
	s_waitcnt lgkmcnt(1)
	;;#ASMSTART
	v_dot2_f32_f16 v4, v8, v16, v4
	;;#ASMEND
	;;#ASMSTART
	v_dot2_f32_f16 v4, v9, v17, v4
	;;#ASMEND
	;;#ASMSTART
	v_dot2_f32_f16 v4, v10, v18, v4
	;;#ASMEND
	;;#ASMSTART
	v_dot2_f32_f16 v4, v11, v19, v4
	;;#ASMEND
	s_waitcnt lgkmcnt(0)
	;;#ASMSTART
	v_dot2_f32_f16 v7, v20, v12, v7
	;;#ASMEND
	;;#ASMSTART
	v_dot2_f32_f16 v7, v21, v13, v7
	;;#ASMEND
	;;#ASMSTART
	v_dot2_f32_f16 v7, v22, v14, v7
	;;#ASMEND
	;;#ASMSTART
	v_dot2_f32_f16 v7, v23, v15, v7
	;;#ASMEND
	;;#ASMSTART
	v_dot2_f32_f16 v5, v20, v16, v5
	;;#ASMEND
	;;#ASMSTART
	v_dot2_f32_f16 v5, v21, v17, v5
	;;#ASMEND
	;;#ASMSTART
	v_dot2_f32_f16 v5, v22, v18, v5
	;;#ASMEND
	;;#ASMSTART
	v_dot2_f32_f16 v5, v23, v19, v5
	;;#ASMEND
	ds_load_b128 v[8:11], v207 offset:16400
	ds_load_b128 v[12:15], v208 offset:144
	ds_load_b128 v[16:19], v208 offset:1168
	ds_load_b128 v[20:23], v207 offset:21008
	s_waitcnt lgkmcnt(2)
	;;#ASMSTART
	v_dot2_f32_f16 v6, v8, v12, v6
	;;#ASMEND
	;;#ASMSTART
	v_dot2_f32_f16 v6, v9, v13, v6
	;;#ASMEND
	;;#ASMSTART
	v_dot2_f32_f16 v6, v10, v14, v6
	;;#ASMEND
	;;#ASMSTART
	v_dot2_f32_f16 v6, v11, v15, v6
	;;#ASMEND
	s_waitcnt lgkmcnt(1)
	;;#ASMSTART
	v_dot2_f32_f16 v4, v8, v16, v4
	;;#ASMEND
	;;#ASMSTART
	v_dot2_f32_f16 v4, v9, v17, v4
	;;#ASMEND
	;;#ASMSTART
	v_dot2_f32_f16 v4, v10, v18, v4
	;;#ASMEND
	;;#ASMSTART
	v_dot2_f32_f16 v4, v11, v19, v4
	;;#ASMEND
	s_waitcnt lgkmcnt(0)
	;;#ASMSTART
	v_dot2_f32_f16 v7, v20, v12, v7
	;;#ASMEND
	;;#ASMSTART
	v_dot2_f32_f16 v7, v21, v13, v7
	;;#ASMEND
	;;#ASMSTART
	v_dot2_f32_f16 v7, v22, v14, v7
	;;#ASMEND
	;;#ASMSTART
	v_dot2_f32_f16 v7, v23, v15, v7
	;;#ASMEND
	;;#ASMSTART
	v_dot2_f32_f16 v5, v20, v16, v5
	;;#ASMEND
	;;#ASMSTART
	v_dot2_f32_f16 v5, v21, v17, v5
	;;#ASMEND
	;;#ASMSTART
	v_dot2_f32_f16 v5, v22, v18, v5
	;;#ASMEND
	;;#ASMSTART
	v_dot2_f32_f16 v5, v23, v19, v5
	;;#ASMEND
	;; [unrolled: 55-line block ×8, first 2 shown]
	s_barrier
	buffer_gl0_inv
	s_clause 0x1
	global_load_b128 v[8:11], v[0:1], off offset:256
	global_load_b128 v[12:15], v[2:3], off offset:256
	s_waitcnt vmcnt(1)
	ds_store_b128 v205, v[8:11]
	s_waitcnt vmcnt(0)
	ds_store_b128 v206, v[12:15]
	s_waitcnt lgkmcnt(0)
	s_barrier
	buffer_gl0_inv
	ds_load_b128 v[8:11], v207 offset:16384
	ds_load_b128 v[12:15], v208 offset:256
	ds_load_b128 v[16:19], v208 offset:1280
	ds_load_b128 v[20:23], v207 offset:20992
	s_waitcnt lgkmcnt(2)
	;;#ASMSTART
	v_dot2_f32_f16 v6, v8, v12, v6
	;;#ASMEND
	;;#ASMSTART
	v_dot2_f32_f16 v6, v9, v13, v6
	;;#ASMEND
	;;#ASMSTART
	v_dot2_f32_f16 v6, v10, v14, v6
	;;#ASMEND
	;;#ASMSTART
	v_dot2_f32_f16 v6, v11, v15, v6
	;;#ASMEND
	s_waitcnt lgkmcnt(1)
	;;#ASMSTART
	v_dot2_f32_f16 v4, v8, v16, v4
	;;#ASMEND
	;;#ASMSTART
	v_dot2_f32_f16 v4, v9, v17, v4
	;;#ASMEND
	;;#ASMSTART
	v_dot2_f32_f16 v4, v10, v18, v4
	;;#ASMEND
	;;#ASMSTART
	v_dot2_f32_f16 v4, v11, v19, v4
	;;#ASMEND
	s_waitcnt lgkmcnt(0)
	;;#ASMSTART
	v_dot2_f32_f16 v7, v20, v12, v7
	;;#ASMEND
	;;#ASMSTART
	v_dot2_f32_f16 v7, v21, v13, v7
	;;#ASMEND
	;;#ASMSTART
	v_dot2_f32_f16 v7, v22, v14, v7
	;;#ASMEND
	;;#ASMSTART
	v_dot2_f32_f16 v7, v23, v15, v7
	;;#ASMEND
	;;#ASMSTART
	v_dot2_f32_f16 v5, v20, v16, v5
	;;#ASMEND
	;;#ASMSTART
	v_dot2_f32_f16 v5, v21, v17, v5
	;;#ASMEND
	;;#ASMSTART
	v_dot2_f32_f16 v5, v22, v18, v5
	;;#ASMEND
	;;#ASMSTART
	v_dot2_f32_f16 v5, v23, v19, v5
	;;#ASMEND
	ds_load_b128 v[8:11], v207 offset:16400
	ds_load_b128 v[12:15], v208 offset:272
	ds_load_b128 v[16:19], v208 offset:1296
	ds_load_b128 v[20:23], v207 offset:21008
	s_waitcnt lgkmcnt(2)
	;;#ASMSTART
	v_dot2_f32_f16 v6, v8, v12, v6
	;;#ASMEND
	;;#ASMSTART
	v_dot2_f32_f16 v6, v9, v13, v6
	;;#ASMEND
	;;#ASMSTART
	v_dot2_f32_f16 v6, v10, v14, v6
	;;#ASMEND
	;;#ASMSTART
	v_dot2_f32_f16 v6, v11, v15, v6
	;;#ASMEND
	s_waitcnt lgkmcnt(1)
	;;#ASMSTART
	v_dot2_f32_f16 v4, v8, v16, v4
	;;#ASMEND
	;;#ASMSTART
	v_dot2_f32_f16 v4, v9, v17, v4
	;;#ASMEND
	;;#ASMSTART
	v_dot2_f32_f16 v4, v10, v18, v4
	;;#ASMEND
	;;#ASMSTART
	v_dot2_f32_f16 v4, v11, v19, v4
	;;#ASMEND
	s_waitcnt lgkmcnt(0)
	;;#ASMSTART
	v_dot2_f32_f16 v7, v20, v12, v7
	;;#ASMEND
	;;#ASMSTART
	v_dot2_f32_f16 v7, v21, v13, v7
	;;#ASMEND
	;;#ASMSTART
	v_dot2_f32_f16 v7, v22, v14, v7
	;;#ASMEND
	;;#ASMSTART
	v_dot2_f32_f16 v7, v23, v15, v7
	;;#ASMEND
	;;#ASMSTART
	v_dot2_f32_f16 v5, v20, v16, v5
	;;#ASMEND
	;;#ASMSTART
	v_dot2_f32_f16 v5, v21, v17, v5
	;;#ASMEND
	;;#ASMSTART
	v_dot2_f32_f16 v5, v22, v18, v5
	;;#ASMEND
	;;#ASMSTART
	v_dot2_f32_f16 v5, v23, v19, v5
	;;#ASMEND
	;; [unrolled: 55-line block ×8, first 2 shown]
	s_barrier
	buffer_gl0_inv
	s_clause 0x1
	global_load_b128 v[8:11], v[0:1], off offset:384
	global_load_b128 v[12:15], v[2:3], off offset:384
	s_waitcnt vmcnt(1)
	ds_store_b128 v205, v[8:11]
	s_waitcnt vmcnt(0)
	ds_store_b128 v206, v[12:15]
	s_waitcnt lgkmcnt(0)
	s_barrier
	buffer_gl0_inv
	ds_load_b128 v[8:11], v207 offset:16384
	ds_load_b128 v[12:15], v208 offset:384
	ds_load_b128 v[16:19], v208 offset:1408
	ds_load_b128 v[20:23], v207 offset:20992
	s_waitcnt lgkmcnt(2)
	;;#ASMSTART
	v_dot2_f32_f16 v6, v8, v12, v6
	;;#ASMEND
	;;#ASMSTART
	v_dot2_f32_f16 v6, v9, v13, v6
	;;#ASMEND
	;;#ASMSTART
	v_dot2_f32_f16 v6, v10, v14, v6
	;;#ASMEND
	;;#ASMSTART
	v_dot2_f32_f16 v6, v11, v15, v6
	;;#ASMEND
	s_waitcnt lgkmcnt(1)
	;;#ASMSTART
	v_dot2_f32_f16 v4, v8, v16, v4
	;;#ASMEND
	;;#ASMSTART
	v_dot2_f32_f16 v4, v9, v17, v4
	;;#ASMEND
	;;#ASMSTART
	v_dot2_f32_f16 v4, v10, v18, v4
	;;#ASMEND
	;;#ASMSTART
	v_dot2_f32_f16 v4, v11, v19, v4
	;;#ASMEND
	s_waitcnt lgkmcnt(0)
	;;#ASMSTART
	v_dot2_f32_f16 v7, v20, v12, v7
	;;#ASMEND
	;;#ASMSTART
	v_dot2_f32_f16 v7, v21, v13, v7
	;;#ASMEND
	;;#ASMSTART
	v_dot2_f32_f16 v7, v22, v14, v7
	;;#ASMEND
	;;#ASMSTART
	v_dot2_f32_f16 v7, v23, v15, v7
	;;#ASMEND
	;;#ASMSTART
	v_dot2_f32_f16 v5, v20, v16, v5
	;;#ASMEND
	;;#ASMSTART
	v_dot2_f32_f16 v5, v21, v17, v5
	;;#ASMEND
	;;#ASMSTART
	v_dot2_f32_f16 v5, v22, v18, v5
	;;#ASMEND
	;;#ASMSTART
	v_dot2_f32_f16 v5, v23, v19, v5
	;;#ASMEND
	ds_load_b128 v[8:11], v207 offset:16400
	ds_load_b128 v[12:15], v208 offset:400
	ds_load_b128 v[16:19], v208 offset:1424
	ds_load_b128 v[20:23], v207 offset:21008
	s_waitcnt lgkmcnt(2)
	;;#ASMSTART
	v_dot2_f32_f16 v6, v8, v12, v6
	;;#ASMEND
	;;#ASMSTART
	v_dot2_f32_f16 v6, v9, v13, v6
	;;#ASMEND
	;;#ASMSTART
	v_dot2_f32_f16 v6, v10, v14, v6
	;;#ASMEND
	;;#ASMSTART
	v_dot2_f32_f16 v6, v11, v15, v6
	;;#ASMEND
	s_waitcnt lgkmcnt(1)
	;;#ASMSTART
	v_dot2_f32_f16 v4, v8, v16, v4
	;;#ASMEND
	;;#ASMSTART
	v_dot2_f32_f16 v4, v9, v17, v4
	;;#ASMEND
	;;#ASMSTART
	v_dot2_f32_f16 v4, v10, v18, v4
	;;#ASMEND
	;;#ASMSTART
	v_dot2_f32_f16 v4, v11, v19, v4
	;;#ASMEND
	s_waitcnt lgkmcnt(0)
	;;#ASMSTART
	v_dot2_f32_f16 v7, v20, v12, v7
	;;#ASMEND
	;;#ASMSTART
	v_dot2_f32_f16 v7, v21, v13, v7
	;;#ASMEND
	;;#ASMSTART
	v_dot2_f32_f16 v7, v22, v14, v7
	;;#ASMEND
	;;#ASMSTART
	v_dot2_f32_f16 v7, v23, v15, v7
	;;#ASMEND
	;;#ASMSTART
	v_dot2_f32_f16 v5, v20, v16, v5
	;;#ASMEND
	;;#ASMSTART
	v_dot2_f32_f16 v5, v21, v17, v5
	;;#ASMEND
	;;#ASMSTART
	v_dot2_f32_f16 v5, v22, v18, v5
	;;#ASMEND
	;;#ASMSTART
	v_dot2_f32_f16 v5, v23, v19, v5
	;;#ASMEND
	;; [unrolled: 55-line block ×8, first 2 shown]
	s_barrier
	buffer_gl0_inv
	s_clause 0x1
	global_load_b128 v[8:11], v[0:1], off offset:512
	global_load_b128 v[12:15], v[2:3], off offset:512
	s_waitcnt vmcnt(1)
	ds_store_b128 v205, v[8:11]
	s_waitcnt vmcnt(0)
	ds_store_b128 v206, v[12:15]
	s_waitcnt lgkmcnt(0)
	s_barrier
	buffer_gl0_inv
	ds_load_b128 v[8:11], v207 offset:16384
	ds_load_b128 v[12:15], v208 offset:512
	ds_load_b128 v[16:19], v208 offset:1536
	ds_load_b128 v[20:23], v207 offset:20992
	s_waitcnt lgkmcnt(2)
	;;#ASMSTART
	v_dot2_f32_f16 v6, v8, v12, v6
	;;#ASMEND
	;;#ASMSTART
	v_dot2_f32_f16 v6, v9, v13, v6
	;;#ASMEND
	;;#ASMSTART
	v_dot2_f32_f16 v6, v10, v14, v6
	;;#ASMEND
	;;#ASMSTART
	v_dot2_f32_f16 v6, v11, v15, v6
	;;#ASMEND
	s_waitcnt lgkmcnt(1)
	;;#ASMSTART
	v_dot2_f32_f16 v4, v8, v16, v4
	;;#ASMEND
	;;#ASMSTART
	v_dot2_f32_f16 v4, v9, v17, v4
	;;#ASMEND
	;;#ASMSTART
	v_dot2_f32_f16 v4, v10, v18, v4
	;;#ASMEND
	;;#ASMSTART
	v_dot2_f32_f16 v4, v11, v19, v4
	;;#ASMEND
	s_waitcnt lgkmcnt(0)
	;;#ASMSTART
	v_dot2_f32_f16 v7, v20, v12, v7
	;;#ASMEND
	;;#ASMSTART
	v_dot2_f32_f16 v7, v21, v13, v7
	;;#ASMEND
	;;#ASMSTART
	v_dot2_f32_f16 v7, v22, v14, v7
	;;#ASMEND
	;;#ASMSTART
	v_dot2_f32_f16 v7, v23, v15, v7
	;;#ASMEND
	;;#ASMSTART
	v_dot2_f32_f16 v5, v20, v16, v5
	;;#ASMEND
	;;#ASMSTART
	v_dot2_f32_f16 v5, v21, v17, v5
	;;#ASMEND
	;;#ASMSTART
	v_dot2_f32_f16 v5, v22, v18, v5
	;;#ASMEND
	;;#ASMSTART
	v_dot2_f32_f16 v5, v23, v19, v5
	;;#ASMEND
	ds_load_b128 v[8:11], v207 offset:16400
	ds_load_b128 v[12:15], v208 offset:528
	ds_load_b128 v[16:19], v208 offset:1552
	ds_load_b128 v[20:23], v207 offset:21008
	s_waitcnt lgkmcnt(2)
	;;#ASMSTART
	v_dot2_f32_f16 v6, v8, v12, v6
	;;#ASMEND
	;;#ASMSTART
	v_dot2_f32_f16 v6, v9, v13, v6
	;;#ASMEND
	;;#ASMSTART
	v_dot2_f32_f16 v6, v10, v14, v6
	;;#ASMEND
	;;#ASMSTART
	v_dot2_f32_f16 v6, v11, v15, v6
	;;#ASMEND
	s_waitcnt lgkmcnt(1)
	;;#ASMSTART
	v_dot2_f32_f16 v4, v8, v16, v4
	;;#ASMEND
	;;#ASMSTART
	v_dot2_f32_f16 v4, v9, v17, v4
	;;#ASMEND
	;;#ASMSTART
	v_dot2_f32_f16 v4, v10, v18, v4
	;;#ASMEND
	;;#ASMSTART
	v_dot2_f32_f16 v4, v11, v19, v4
	;;#ASMEND
	s_waitcnt lgkmcnt(0)
	;;#ASMSTART
	v_dot2_f32_f16 v7, v20, v12, v7
	;;#ASMEND
	;;#ASMSTART
	v_dot2_f32_f16 v7, v21, v13, v7
	;;#ASMEND
	;;#ASMSTART
	v_dot2_f32_f16 v7, v22, v14, v7
	;;#ASMEND
	;;#ASMSTART
	v_dot2_f32_f16 v7, v23, v15, v7
	;;#ASMEND
	;;#ASMSTART
	v_dot2_f32_f16 v5, v20, v16, v5
	;;#ASMEND
	;;#ASMSTART
	v_dot2_f32_f16 v5, v21, v17, v5
	;;#ASMEND
	;;#ASMSTART
	v_dot2_f32_f16 v5, v22, v18, v5
	;;#ASMEND
	;;#ASMSTART
	v_dot2_f32_f16 v5, v23, v19, v5
	;;#ASMEND
	;; [unrolled: 55-line block ×8, first 2 shown]
	s_barrier
	buffer_gl0_inv
	s_clause 0x1
	global_load_b128 v[8:11], v[0:1], off offset:640
	global_load_b128 v[12:15], v[2:3], off offset:640
	s_waitcnt vmcnt(1)
	ds_store_b128 v205, v[8:11]
	s_waitcnt vmcnt(0)
	ds_store_b128 v206, v[12:15]
	s_waitcnt lgkmcnt(0)
	s_barrier
	buffer_gl0_inv
	ds_load_b128 v[8:11], v207 offset:16384
	ds_load_b128 v[12:15], v208 offset:640
	ds_load_b128 v[16:19], v208 offset:1664
	ds_load_b128 v[20:23], v207 offset:20992
	s_waitcnt lgkmcnt(2)
	;;#ASMSTART
	v_dot2_f32_f16 v6, v8, v12, v6
	;;#ASMEND
	;;#ASMSTART
	v_dot2_f32_f16 v6, v9, v13, v6
	;;#ASMEND
	;;#ASMSTART
	v_dot2_f32_f16 v6, v10, v14, v6
	;;#ASMEND
	;;#ASMSTART
	v_dot2_f32_f16 v6, v11, v15, v6
	;;#ASMEND
	s_waitcnt lgkmcnt(1)
	;;#ASMSTART
	v_dot2_f32_f16 v4, v8, v16, v4
	;;#ASMEND
	;;#ASMSTART
	v_dot2_f32_f16 v4, v9, v17, v4
	;;#ASMEND
	;;#ASMSTART
	v_dot2_f32_f16 v4, v10, v18, v4
	;;#ASMEND
	;;#ASMSTART
	v_dot2_f32_f16 v4, v11, v19, v4
	;;#ASMEND
	s_waitcnt lgkmcnt(0)
	;;#ASMSTART
	v_dot2_f32_f16 v7, v20, v12, v7
	;;#ASMEND
	;;#ASMSTART
	v_dot2_f32_f16 v7, v21, v13, v7
	;;#ASMEND
	;;#ASMSTART
	v_dot2_f32_f16 v7, v22, v14, v7
	;;#ASMEND
	;;#ASMSTART
	v_dot2_f32_f16 v7, v23, v15, v7
	;;#ASMEND
	;;#ASMSTART
	v_dot2_f32_f16 v5, v20, v16, v5
	;;#ASMEND
	;;#ASMSTART
	v_dot2_f32_f16 v5, v21, v17, v5
	;;#ASMEND
	;;#ASMSTART
	v_dot2_f32_f16 v5, v22, v18, v5
	;;#ASMEND
	;;#ASMSTART
	v_dot2_f32_f16 v5, v23, v19, v5
	;;#ASMEND
	ds_load_b128 v[8:11], v207 offset:16400
	ds_load_b128 v[12:15], v208 offset:656
	ds_load_b128 v[16:19], v208 offset:1680
	ds_load_b128 v[20:23], v207 offset:21008
	s_waitcnt lgkmcnt(2)
	;;#ASMSTART
	v_dot2_f32_f16 v6, v8, v12, v6
	;;#ASMEND
	;;#ASMSTART
	v_dot2_f32_f16 v6, v9, v13, v6
	;;#ASMEND
	;;#ASMSTART
	v_dot2_f32_f16 v6, v10, v14, v6
	;;#ASMEND
	;;#ASMSTART
	v_dot2_f32_f16 v6, v11, v15, v6
	;;#ASMEND
	s_waitcnt lgkmcnt(1)
	;;#ASMSTART
	v_dot2_f32_f16 v4, v8, v16, v4
	;;#ASMEND
	;;#ASMSTART
	v_dot2_f32_f16 v4, v9, v17, v4
	;;#ASMEND
	;;#ASMSTART
	v_dot2_f32_f16 v4, v10, v18, v4
	;;#ASMEND
	;;#ASMSTART
	v_dot2_f32_f16 v4, v11, v19, v4
	;;#ASMEND
	s_waitcnt lgkmcnt(0)
	;;#ASMSTART
	v_dot2_f32_f16 v7, v20, v12, v7
	;;#ASMEND
	;;#ASMSTART
	v_dot2_f32_f16 v7, v21, v13, v7
	;;#ASMEND
	;;#ASMSTART
	v_dot2_f32_f16 v7, v22, v14, v7
	;;#ASMEND
	;;#ASMSTART
	v_dot2_f32_f16 v7, v23, v15, v7
	;;#ASMEND
	;;#ASMSTART
	v_dot2_f32_f16 v5, v20, v16, v5
	;;#ASMEND
	;;#ASMSTART
	v_dot2_f32_f16 v5, v21, v17, v5
	;;#ASMEND
	;;#ASMSTART
	v_dot2_f32_f16 v5, v22, v18, v5
	;;#ASMEND
	;;#ASMSTART
	v_dot2_f32_f16 v5, v23, v19, v5
	;;#ASMEND
	;; [unrolled: 55-line block ×8, first 2 shown]
	s_barrier
	buffer_gl0_inv
	s_clause 0x1
	global_load_b128 v[8:11], v[0:1], off offset:768
	global_load_b128 v[12:15], v[2:3], off offset:768
	s_waitcnt vmcnt(1)
	ds_store_b128 v205, v[8:11]
	s_waitcnt vmcnt(0)
	ds_store_b128 v206, v[12:15]
	s_waitcnt lgkmcnt(0)
	s_barrier
	buffer_gl0_inv
	ds_load_b128 v[8:11], v207 offset:16384
	ds_load_b128 v[12:15], v208 offset:768
	ds_load_b128 v[16:19], v208 offset:1792
	ds_load_b128 v[20:23], v207 offset:20992
	s_waitcnt lgkmcnt(2)
	;;#ASMSTART
	v_dot2_f32_f16 v6, v8, v12, v6
	;;#ASMEND
	;;#ASMSTART
	v_dot2_f32_f16 v6, v9, v13, v6
	;;#ASMEND
	;;#ASMSTART
	v_dot2_f32_f16 v6, v10, v14, v6
	;;#ASMEND
	;;#ASMSTART
	v_dot2_f32_f16 v6, v11, v15, v6
	;;#ASMEND
	s_waitcnt lgkmcnt(1)
	;;#ASMSTART
	v_dot2_f32_f16 v4, v8, v16, v4
	;;#ASMEND
	;;#ASMSTART
	v_dot2_f32_f16 v4, v9, v17, v4
	;;#ASMEND
	;;#ASMSTART
	v_dot2_f32_f16 v4, v10, v18, v4
	;;#ASMEND
	;;#ASMSTART
	v_dot2_f32_f16 v4, v11, v19, v4
	;;#ASMEND
	s_waitcnt lgkmcnt(0)
	;;#ASMSTART
	v_dot2_f32_f16 v7, v20, v12, v7
	;;#ASMEND
	;;#ASMSTART
	v_dot2_f32_f16 v7, v21, v13, v7
	;;#ASMEND
	;;#ASMSTART
	v_dot2_f32_f16 v7, v22, v14, v7
	;;#ASMEND
	;;#ASMSTART
	v_dot2_f32_f16 v7, v23, v15, v7
	;;#ASMEND
	;;#ASMSTART
	v_dot2_f32_f16 v5, v20, v16, v5
	;;#ASMEND
	;;#ASMSTART
	v_dot2_f32_f16 v5, v21, v17, v5
	;;#ASMEND
	;;#ASMSTART
	v_dot2_f32_f16 v5, v22, v18, v5
	;;#ASMEND
	;;#ASMSTART
	v_dot2_f32_f16 v5, v23, v19, v5
	;;#ASMEND
	ds_load_b128 v[8:11], v207 offset:16400
	ds_load_b128 v[12:15], v208 offset:784
	ds_load_b128 v[16:19], v208 offset:1808
	ds_load_b128 v[20:23], v207 offset:21008
	s_waitcnt lgkmcnt(2)
	;;#ASMSTART
	v_dot2_f32_f16 v6, v8, v12, v6
	;;#ASMEND
	;;#ASMSTART
	v_dot2_f32_f16 v6, v9, v13, v6
	;;#ASMEND
	;;#ASMSTART
	v_dot2_f32_f16 v6, v10, v14, v6
	;;#ASMEND
	;;#ASMSTART
	v_dot2_f32_f16 v6, v11, v15, v6
	;;#ASMEND
	s_waitcnt lgkmcnt(1)
	;;#ASMSTART
	v_dot2_f32_f16 v4, v8, v16, v4
	;;#ASMEND
	;;#ASMSTART
	v_dot2_f32_f16 v4, v9, v17, v4
	;;#ASMEND
	;;#ASMSTART
	v_dot2_f32_f16 v4, v10, v18, v4
	;;#ASMEND
	;;#ASMSTART
	v_dot2_f32_f16 v4, v11, v19, v4
	;;#ASMEND
	s_waitcnt lgkmcnt(0)
	;;#ASMSTART
	v_dot2_f32_f16 v7, v20, v12, v7
	;;#ASMEND
	;;#ASMSTART
	v_dot2_f32_f16 v7, v21, v13, v7
	;;#ASMEND
	;;#ASMSTART
	v_dot2_f32_f16 v7, v22, v14, v7
	;;#ASMEND
	;;#ASMSTART
	v_dot2_f32_f16 v7, v23, v15, v7
	;;#ASMEND
	;;#ASMSTART
	v_dot2_f32_f16 v5, v20, v16, v5
	;;#ASMEND
	;;#ASMSTART
	v_dot2_f32_f16 v5, v21, v17, v5
	;;#ASMEND
	;;#ASMSTART
	v_dot2_f32_f16 v5, v22, v18, v5
	;;#ASMEND
	;;#ASMSTART
	v_dot2_f32_f16 v5, v23, v19, v5
	;;#ASMEND
	;; [unrolled: 55-line block ×8, first 2 shown]
	s_barrier
	buffer_gl0_inv
	s_clause 0x1
	global_load_b128 v[8:11], v[0:1], off offset:896
	global_load_b128 v[0:3], v[2:3], off offset:896
	s_waitcnt vmcnt(1)
	ds_store_b128 v205, v[8:11]
	s_waitcnt vmcnt(0)
	ds_store_b128 v206, v[0:3]
	s_waitcnt lgkmcnt(0)
	s_barrier
	buffer_gl0_inv
	ds_load_b128 v[0:3], v207 offset:16384
	ds_load_b128 v[8:11], v208 offset:896
	ds_load_b128 v[12:15], v208 offset:1920
	ds_load_b128 v[16:19], v207 offset:20992
	s_waitcnt lgkmcnt(2)
	;;#ASMSTART
	v_dot2_f32_f16 v6, v0, v8, v6
	;;#ASMEND
	;;#ASMSTART
	v_dot2_f32_f16 v6, v1, v9, v6
	;;#ASMEND
	;;#ASMSTART
	v_dot2_f32_f16 v6, v2, v10, v6
	;;#ASMEND
	;;#ASMSTART
	v_dot2_f32_f16 v6, v3, v11, v6
	;;#ASMEND
	s_waitcnt lgkmcnt(1)
	;;#ASMSTART
	v_dot2_f32_f16 v4, v0, v12, v4
	;;#ASMEND
	;;#ASMSTART
	v_dot2_f32_f16 v4, v1, v13, v4
	;;#ASMEND
	;;#ASMSTART
	v_dot2_f32_f16 v4, v2, v14, v4
	;;#ASMEND
	;;#ASMSTART
	v_dot2_f32_f16 v4, v3, v15, v4
	;;#ASMEND
	s_waitcnt lgkmcnt(0)
	;;#ASMSTART
	v_dot2_f32_f16 v7, v16, v8, v7
	;;#ASMEND
	;;#ASMSTART
	v_dot2_f32_f16 v7, v17, v9, v7
	;;#ASMEND
	;;#ASMSTART
	v_dot2_f32_f16 v7, v18, v10, v7
	;;#ASMEND
	;;#ASMSTART
	v_dot2_f32_f16 v7, v19, v11, v7
	;;#ASMEND
	;;#ASMSTART
	v_dot2_f32_f16 v5, v16, v12, v5
	;;#ASMEND
	;;#ASMSTART
	v_dot2_f32_f16 v5, v17, v13, v5
	;;#ASMEND
	;;#ASMSTART
	v_dot2_f32_f16 v5, v18, v14, v5
	;;#ASMEND
	;;#ASMSTART
	v_dot2_f32_f16 v5, v19, v15, v5
	;;#ASMEND
	ds_load_b128 v[0:3], v207 offset:16400
	ds_load_b128 v[8:11], v208 offset:912
	ds_load_b128 v[12:15], v208 offset:1936
	ds_load_b128 v[16:19], v207 offset:21008
	s_waitcnt lgkmcnt(2)
	;;#ASMSTART
	v_dot2_f32_f16 v6, v0, v8, v6
	;;#ASMEND
	;;#ASMSTART
	v_dot2_f32_f16 v6, v1, v9, v6
	;;#ASMEND
	;;#ASMSTART
	v_dot2_f32_f16 v6, v2, v10, v6
	;;#ASMEND
	;;#ASMSTART
	v_dot2_f32_f16 v6, v3, v11, v6
	;;#ASMEND
	s_waitcnt lgkmcnt(1)
	;;#ASMSTART
	v_dot2_f32_f16 v4, v0, v12, v4
	;;#ASMEND
	;;#ASMSTART
	v_dot2_f32_f16 v4, v1, v13, v4
	;;#ASMEND
	;;#ASMSTART
	v_dot2_f32_f16 v4, v2, v14, v4
	;;#ASMEND
	;;#ASMSTART
	v_dot2_f32_f16 v4, v3, v15, v4
	;;#ASMEND
	s_waitcnt lgkmcnt(0)
	;;#ASMSTART
	v_dot2_f32_f16 v7, v16, v8, v7
	;;#ASMEND
	;;#ASMSTART
	v_dot2_f32_f16 v7, v17, v9, v7
	;;#ASMEND
	;;#ASMSTART
	v_dot2_f32_f16 v7, v18, v10, v7
	;;#ASMEND
	;;#ASMSTART
	v_dot2_f32_f16 v7, v19, v11, v7
	;;#ASMEND
	;;#ASMSTART
	v_dot2_f32_f16 v5, v16, v12, v5
	;;#ASMEND
	;;#ASMSTART
	v_dot2_f32_f16 v5, v17, v13, v5
	;;#ASMEND
	;;#ASMSTART
	v_dot2_f32_f16 v5, v18, v14, v5
	;;#ASMEND
	;;#ASMSTART
	v_dot2_f32_f16 v5, v19, v15, v5
	;;#ASMEND
	ds_load_b128 v[0:3], v207 offset:16416
	ds_load_b128 v[8:11], v208 offset:928
	ds_load_b128 v[12:15], v208 offset:1952
	ds_load_b128 v[16:19], v207 offset:21024
	s_waitcnt lgkmcnt(2)
	;;#ASMSTART
	v_dot2_f32_f16 v6, v0, v8, v6
	;;#ASMEND
	;;#ASMSTART
	v_dot2_f32_f16 v6, v1, v9, v6
	;;#ASMEND
	;;#ASMSTART
	v_dot2_f32_f16 v6, v2, v10, v6
	;;#ASMEND
	;;#ASMSTART
	v_dot2_f32_f16 v6, v3, v11, v6
	;;#ASMEND
	s_waitcnt lgkmcnt(1)
	;;#ASMSTART
	v_dot2_f32_f16 v4, v0, v12, v4
	;;#ASMEND
	;;#ASMSTART
	v_dot2_f32_f16 v4, v1, v13, v4
	;;#ASMEND
	;;#ASMSTART
	v_dot2_f32_f16 v4, v2, v14, v4
	;;#ASMEND
	;;#ASMSTART
	v_dot2_f32_f16 v4, v3, v15, v4
	;;#ASMEND
	s_waitcnt lgkmcnt(0)
	;;#ASMSTART
	v_dot2_f32_f16 v7, v16, v8, v7
	;;#ASMEND
	;;#ASMSTART
	v_dot2_f32_f16 v7, v17, v9, v7
	;;#ASMEND
	;;#ASMSTART
	v_dot2_f32_f16 v7, v18, v10, v7
	;;#ASMEND
	;;#ASMSTART
	v_dot2_f32_f16 v7, v19, v11, v7
	;;#ASMEND
	;;#ASMSTART
	v_dot2_f32_f16 v5, v16, v12, v5
	;;#ASMEND
	;;#ASMSTART
	v_dot2_f32_f16 v5, v17, v13, v5
	;;#ASMEND
	;;#ASMSTART
	v_dot2_f32_f16 v5, v18, v14, v5
	;;#ASMEND
	;;#ASMSTART
	v_dot2_f32_f16 v5, v19, v15, v5
	;;#ASMEND
	ds_load_b128 v[0:3], v207 offset:16432
	ds_load_b128 v[8:11], v208 offset:944
	ds_load_b128 v[12:15], v208 offset:1968
	ds_load_b128 v[16:19], v207 offset:21040
	s_waitcnt lgkmcnt(2)
	;;#ASMSTART
	v_dot2_f32_f16 v6, v0, v8, v6
	;;#ASMEND
	;;#ASMSTART
	v_dot2_f32_f16 v6, v1, v9, v6
	;;#ASMEND
	;;#ASMSTART
	v_dot2_f32_f16 v6, v2, v10, v6
	;;#ASMEND
	;;#ASMSTART
	v_dot2_f32_f16 v6, v3, v11, v6
	;;#ASMEND
	s_waitcnt lgkmcnt(1)
	;;#ASMSTART
	v_dot2_f32_f16 v4, v0, v12, v4
	;;#ASMEND
	;;#ASMSTART
	v_dot2_f32_f16 v4, v1, v13, v4
	;;#ASMEND
	;;#ASMSTART
	v_dot2_f32_f16 v4, v2, v14, v4
	;;#ASMEND
	;;#ASMSTART
	v_dot2_f32_f16 v4, v3, v15, v4
	;;#ASMEND
	s_waitcnt lgkmcnt(0)
	;;#ASMSTART
	v_dot2_f32_f16 v7, v16, v8, v7
	;;#ASMEND
	;;#ASMSTART
	v_dot2_f32_f16 v7, v17, v9, v7
	;;#ASMEND
	;;#ASMSTART
	v_dot2_f32_f16 v7, v18, v10, v7
	;;#ASMEND
	;;#ASMSTART
	v_dot2_f32_f16 v7, v19, v11, v7
	;;#ASMEND
	;;#ASMSTART
	v_dot2_f32_f16 v5, v16, v12, v5
	;;#ASMEND
	;;#ASMSTART
	v_dot2_f32_f16 v5, v17, v13, v5
	;;#ASMEND
	;;#ASMSTART
	v_dot2_f32_f16 v5, v18, v14, v5
	;;#ASMEND
	;;#ASMSTART
	v_dot2_f32_f16 v5, v19, v15, v5
	;;#ASMEND
	ds_load_b128 v[0:3], v207 offset:16448
	ds_load_b128 v[8:11], v208 offset:960
	ds_load_b128 v[12:15], v208 offset:1984
	ds_load_b128 v[16:19], v207 offset:21056
	s_waitcnt lgkmcnt(2)
	;;#ASMSTART
	v_dot2_f32_f16 v6, v0, v8, v6
	;;#ASMEND
	;;#ASMSTART
	v_dot2_f32_f16 v6, v1, v9, v6
	;;#ASMEND
	;;#ASMSTART
	v_dot2_f32_f16 v6, v2, v10, v6
	;;#ASMEND
	;;#ASMSTART
	v_dot2_f32_f16 v6, v3, v11, v6
	;;#ASMEND
	s_waitcnt lgkmcnt(1)
	;;#ASMSTART
	v_dot2_f32_f16 v4, v0, v12, v4
	;;#ASMEND
	;;#ASMSTART
	v_dot2_f32_f16 v4, v1, v13, v4
	;;#ASMEND
	;;#ASMSTART
	v_dot2_f32_f16 v4, v2, v14, v4
	;;#ASMEND
	;;#ASMSTART
	v_dot2_f32_f16 v4, v3, v15, v4
	;;#ASMEND
	s_waitcnt lgkmcnt(0)
	;;#ASMSTART
	v_dot2_f32_f16 v7, v16, v8, v7
	;;#ASMEND
	;;#ASMSTART
	v_dot2_f32_f16 v7, v17, v9, v7
	;;#ASMEND
	;;#ASMSTART
	v_dot2_f32_f16 v7, v18, v10, v7
	;;#ASMEND
	;;#ASMSTART
	v_dot2_f32_f16 v7, v19, v11, v7
	;;#ASMEND
	;;#ASMSTART
	v_dot2_f32_f16 v5, v16, v12, v5
	;;#ASMEND
	;;#ASMSTART
	v_dot2_f32_f16 v5, v17, v13, v5
	;;#ASMEND
	;;#ASMSTART
	v_dot2_f32_f16 v5, v18, v14, v5
	;;#ASMEND
	;;#ASMSTART
	v_dot2_f32_f16 v5, v19, v15, v5
	;;#ASMEND
	ds_load_b128 v[0:3], v207 offset:16464
	ds_load_b128 v[8:11], v208 offset:976
	ds_load_b128 v[12:15], v208 offset:2000
	ds_load_b128 v[16:19], v207 offset:21072
	s_waitcnt lgkmcnt(2)
	;;#ASMSTART
	v_dot2_f32_f16 v6, v0, v8, v6
	;;#ASMEND
	;;#ASMSTART
	v_dot2_f32_f16 v6, v1, v9, v6
	;;#ASMEND
	;;#ASMSTART
	v_dot2_f32_f16 v6, v2, v10, v6
	;;#ASMEND
	;;#ASMSTART
	v_dot2_f32_f16 v6, v3, v11, v6
	;;#ASMEND
	s_waitcnt lgkmcnt(1)
	;;#ASMSTART
	v_dot2_f32_f16 v4, v0, v12, v4
	;;#ASMEND
	;;#ASMSTART
	v_dot2_f32_f16 v4, v1, v13, v4
	;;#ASMEND
	;;#ASMSTART
	v_dot2_f32_f16 v4, v2, v14, v4
	;;#ASMEND
	;;#ASMSTART
	v_dot2_f32_f16 v4, v3, v15, v4
	;;#ASMEND
	s_waitcnt lgkmcnt(0)
	;;#ASMSTART
	v_dot2_f32_f16 v7, v16, v8, v7
	;;#ASMEND
	;;#ASMSTART
	v_dot2_f32_f16 v7, v17, v9, v7
	;;#ASMEND
	;;#ASMSTART
	v_dot2_f32_f16 v7, v18, v10, v7
	;;#ASMEND
	;;#ASMSTART
	v_dot2_f32_f16 v7, v19, v11, v7
	;;#ASMEND
	;;#ASMSTART
	v_dot2_f32_f16 v5, v16, v12, v5
	;;#ASMEND
	;;#ASMSTART
	v_dot2_f32_f16 v5, v17, v13, v5
	;;#ASMEND
	;;#ASMSTART
	v_dot2_f32_f16 v5, v18, v14, v5
	;;#ASMEND
	;;#ASMSTART
	v_dot2_f32_f16 v5, v19, v15, v5
	;;#ASMEND
	ds_load_b128 v[0:3], v207 offset:16480
	ds_load_b128 v[8:11], v208 offset:992
	ds_load_b128 v[12:15], v208 offset:2016
	ds_load_b128 v[16:19], v207 offset:21088
	s_waitcnt lgkmcnt(2)
	;;#ASMSTART
	v_dot2_f32_f16 v6, v0, v8, v6
	;;#ASMEND
	;;#ASMSTART
	v_dot2_f32_f16 v6, v1, v9, v6
	;;#ASMEND
	;;#ASMSTART
	v_dot2_f32_f16 v6, v2, v10, v6
	;;#ASMEND
	;;#ASMSTART
	v_dot2_f32_f16 v6, v3, v11, v6
	;;#ASMEND
	s_waitcnt lgkmcnt(1)
	;;#ASMSTART
	v_dot2_f32_f16 v4, v0, v12, v4
	;;#ASMEND
	;;#ASMSTART
	v_dot2_f32_f16 v4, v1, v13, v4
	;;#ASMEND
	;;#ASMSTART
	v_dot2_f32_f16 v4, v2, v14, v4
	;;#ASMEND
	;;#ASMSTART
	v_dot2_f32_f16 v4, v3, v15, v4
	;;#ASMEND
	s_waitcnt lgkmcnt(0)
	;;#ASMSTART
	v_dot2_f32_f16 v7, v16, v8, v7
	;;#ASMEND
	;;#ASMSTART
	v_dot2_f32_f16 v7, v17, v9, v7
	;;#ASMEND
	;;#ASMSTART
	v_dot2_f32_f16 v7, v18, v10, v7
	;;#ASMEND
	;;#ASMSTART
	v_dot2_f32_f16 v7, v19, v11, v7
	;;#ASMEND
	;;#ASMSTART
	v_dot2_f32_f16 v5, v16, v12, v5
	;;#ASMEND
	;;#ASMSTART
	v_dot2_f32_f16 v5, v17, v13, v5
	;;#ASMEND
	;;#ASMSTART
	v_dot2_f32_f16 v5, v18, v14, v5
	;;#ASMEND
	;;#ASMSTART
	v_dot2_f32_f16 v5, v19, v15, v5
	;;#ASMEND
	ds_load_b128 v[0:3], v207 offset:16496
	ds_load_b128 v[8:11], v208 offset:1008
	;; [unrolled: 1-line block ×4, first 2 shown]
	s_waitcnt lgkmcnt(2)
	;;#ASMSTART
	v_dot2_f32_f16 v6, v0, v8, v6
	;;#ASMEND
	;;#ASMSTART
	v_dot2_f32_f16 v6, v1, v9, v6
	;;#ASMEND
	;; [unrolled: 3-line block ×4, first 2 shown]
	s_waitcnt lgkmcnt(1)
	;;#ASMSTART
	v_dot2_f32_f16 v4, v0, v12, v4
	;;#ASMEND
	;;#ASMSTART
	v_dot2_f32_f16 v4, v1, v13, v4
	;;#ASMEND
	;; [unrolled: 3-line block ×4, first 2 shown]
	s_waitcnt lgkmcnt(0)
	;;#ASMSTART
	v_dot2_f32_f16 v7, v16, v8, v7
	;;#ASMEND
	v_cmp_ngt_f32_e64 s16, 0x3f200000, |v6|
	;;#ASMSTART
	v_dot2_f32_f16 v7, v17, v9, v7
	;;#ASMEND
	;;#ASMSTART
	v_dot2_f32_f16 v7, v18, v10, v7
	;;#ASMEND
	;; [unrolled: 3-line block ×7, first 2 shown]
                                        ; implicit-def: $vgpr8
	s_and_saveexec_b32 s17, s16
	s_delay_alu instid0(SALU_CYCLE_1)
	s_xor_b32 s16, exec_lo, s17
	s_cbranch_execz .LBB30_11
; %bb.10:                               ;   in Loop: Header=BB30_9 Depth=1
	v_add_f32_e64 v0, |v6|, |v6|
	s_delay_alu instid0(VALU_DEP_1) | instskip(SKIP_1) | instid1(VALU_DEP_2)
	v_mul_f32_e32 v1, 0x3fb8aa3b, v0
	v_cmp_ngt_f32_e32 vcc_lo, 0xc2ce8ed0, v0
	v_rndne_f32_e32 v2, v1
	v_fma_f32 v3, 0x3fb8aa3b, v0, -v1
	s_delay_alu instid0(VALU_DEP_2) | instskip(NEXT) | instid1(VALU_DEP_2)
	v_sub_f32_e32 v1, v1, v2
	v_fmac_f32_e32 v3, 0x32a5705f, v0
	v_cvt_i32_f32_e32 v2, v2
	s_delay_alu instid0(VALU_DEP_2) | instskip(NEXT) | instid1(VALU_DEP_1)
	v_add_f32_e32 v1, v1, v3
	v_exp_f32_e32 v1, v1
	s_waitcnt_depctr 0xfff
	v_ldexp_f32 v1, v1, v2
	s_delay_alu instid0(VALU_DEP_1) | instskip(SKIP_1) | instid1(VALU_DEP_2)
	v_cndmask_b32_e32 v1, 0, v1, vcc_lo
	v_cmp_nlt_f32_e32 vcc_lo, 0x42b17218, v0
	v_cndmask_b32_e32 v0, 0x7f800000, v1, vcc_lo
	s_delay_alu instid0(VALU_DEP_1) | instskip(NEXT) | instid1(VALU_DEP_1)
	v_add_f32_e32 v0, 1.0, v0
	v_rcp_f32_e32 v0, v0
	s_waitcnt_depctr 0xfff
	v_fma_f32 v8, v0, -2.0, 1.0
.LBB30_11:                              ;   in Loop: Header=BB30_9 Depth=1
	s_and_not1_saveexec_b32 s16, s16
; %bb.12:                               ;   in Loop: Header=BB30_9 Depth=1
	v_mul_f32_e32 v0, v6, v6
	s_delay_alu instid0(VALU_DEP_1) | instskip(NEXT) | instid1(VALU_DEP_1)
	v_fmaak_f32 v1, s11, v0, 0x3ca908c9
	v_fmaak_f32 v1, v0, v1, 0xbd5c1c4e
	s_delay_alu instid0(VALU_DEP_1) | instskip(NEXT) | instid1(VALU_DEP_1)
	v_fmaak_f32 v1, v0, v1, 0x3e088382
	v_fmaak_f32 v1, v0, v1, 0xbeaaaa99
	s_delay_alu instid0(VALU_DEP_1) | instskip(NEXT) | instid1(VALU_DEP_1)
	v_mul_f32_e64 v1, |v6|, v1
	v_fma_f32 v8, v0, v1, |v6|
; %bb.13:                               ;   in Loop: Header=BB30_9 Depth=1
	s_or_b32 exec_lo, exec_lo, s16
	v_add_nc_u32_e32 v0, s3, v194
	v_cmp_ngt_f32_e64 s16, 0x3f200000, |v7|
                                        ; implicit-def: $vgpr9
	s_delay_alu instid0(VALU_DEP_2) | instskip(NEXT) | instid1(VALU_DEP_1)
	v_ashrrev_i32_e32 v1, 31, v0
	v_lshlrev_b64 v[0:1], 1, v[0:1]
	s_delay_alu instid0(VALU_DEP_1) | instskip(NEXT) | instid1(VALU_DEP_2)
	v_add_co_u32 v0, vcc_lo, s34, v0
	v_add_co_ci_u32_e32 v1, vcc_lo, s35, v1, vcc_lo
	flat_load_u16 v2, v[0:1]
	s_and_saveexec_b32 s17, s16
	s_delay_alu instid0(SALU_CYCLE_1)
	s_xor_b32 s16, exec_lo, s17
	s_cbranch_execz .LBB30_15
; %bb.14:                               ;   in Loop: Header=BB30_9 Depth=1
	v_add_f32_e64 v3, |v7|, |v7|
	s_delay_alu instid0(VALU_DEP_1) | instskip(SKIP_1) | instid1(VALU_DEP_2)
	v_mul_f32_e32 v9, 0x3fb8aa3b, v3
	v_cmp_ngt_f32_e32 vcc_lo, 0xc2ce8ed0, v3
	v_rndne_f32_e32 v10, v9
	v_fma_f32 v11, 0x3fb8aa3b, v3, -v9
	s_delay_alu instid0(VALU_DEP_2) | instskip(NEXT) | instid1(VALU_DEP_2)
	v_sub_f32_e32 v9, v9, v10
	v_fmac_f32_e32 v11, 0x32a5705f, v3
	v_cvt_i32_f32_e32 v10, v10
	s_delay_alu instid0(VALU_DEP_2) | instskip(NEXT) | instid1(VALU_DEP_1)
	v_add_f32_e32 v9, v9, v11
	v_exp_f32_e32 v9, v9
	s_waitcnt_depctr 0xfff
	v_ldexp_f32 v9, v9, v10
	s_delay_alu instid0(VALU_DEP_1) | instskip(SKIP_1) | instid1(VALU_DEP_2)
	v_cndmask_b32_e32 v9, 0, v9, vcc_lo
	v_cmp_nlt_f32_e32 vcc_lo, 0x42b17218, v3
	v_cndmask_b32_e32 v3, 0x7f800000, v9, vcc_lo
	s_delay_alu instid0(VALU_DEP_1) | instskip(NEXT) | instid1(VALU_DEP_1)
	v_add_f32_e32 v3, 1.0, v3
	v_rcp_f32_e32 v3, v3
	s_waitcnt_depctr 0xfff
	v_fma_f32 v9, v3, -2.0, 1.0
.LBB30_15:                              ;   in Loop: Header=BB30_9 Depth=1
	s_and_not1_saveexec_b32 s16, s16
; %bb.16:                               ;   in Loop: Header=BB30_9 Depth=1
	v_mul_f32_e32 v3, v7, v7
	s_delay_alu instid0(VALU_DEP_1) | instskip(NEXT) | instid1(VALU_DEP_1)
	v_fmaak_f32 v9, s11, v3, 0x3ca908c9
	v_fmaak_f32 v9, v3, v9, 0xbd5c1c4e
	s_delay_alu instid0(VALU_DEP_1) | instskip(NEXT) | instid1(VALU_DEP_1)
	v_fmaak_f32 v9, v3, v9, 0x3e088382
	v_fmaak_f32 v9, v3, v9, 0xbeaaaa99
	s_delay_alu instid0(VALU_DEP_1) | instskip(NEXT) | instid1(VALU_DEP_1)
	v_mul_f32_e64 v9, |v7|, v9
	v_fma_f32 v9, v3, v9, |v7|
; %bb.17:                               ;   in Loop: Header=BB30_9 Depth=1
	s_or_b32 exec_lo, exec_lo, s16
	flat_load_u16 v3, v[0:1] offset:64
	v_bfi_b32 v0, 0x7fffffff, v8, v6
	v_bfi_b32 v1, 0x7fffffff, v9, v7
	v_xor_b32_e32 v222, 16, v203
	v_xor_b32_e32 v218, 8, v203
	;; [unrolled: 1-line block ×3, first 2 shown]
	s_waitcnt vmcnt(1) lgkmcnt(1)
	v_fma_mix_f32 v0, v0, s8, v2 op_sel_hi:[0,0,1]
	v_xor_b32_e32 v220, 2, v203
	v_cmp_gt_i32_e32 vcc_lo, 32, v222
	v_xor_b32_e32 v221, 1, v203
	v_cmp_ngt_f32_e64 s16, 0x3f200000, |v4|
	v_dual_add_f32 v7, 0x40051340, v0 :: v_dual_cndmask_b32 v6, v203, v222
	v_cmp_gt_i32_e32 vcc_lo, 32, v218
	s_delay_alu instid0(VALU_DEP_2) | instskip(SKIP_4) | instid1(VALU_DEP_1)
	v_lshlrev_b32_e32 v6, 2, v6
	v_cndmask_b32_e32 v9, v203, v218, vcc_lo
	v_cmp_gt_i32_e32 vcc_lo, 32, v219
	s_waitcnt vmcnt(0) lgkmcnt(0)
	v_fma_mix_f32 v1, v1, s8, v3 op_sel_hi:[0,0,1]
	v_add_f32_e32 v8, 0x40051340, v1
	s_delay_alu instid0(VALU_DEP_1) | instskip(SKIP_3) | instid1(VALU_DEP_1)
	v_max3_f32 v8, v160, v7, v8
	ds_bpermute_b32 v7, v6, v8
	s_waitcnt lgkmcnt(0)
	v_dual_max_f32 v10, v7, v7 :: v_dual_lshlrev_b32 v7, 2, v9
	v_dual_max_f32 v9, v8, v10 :: v_dual_cndmask_b32 v10, v203, v219
	v_cmp_gt_i32_e32 vcc_lo, 32, v220
	ds_bpermute_b32 v8, v7, v9
	s_waitcnt lgkmcnt(0)
	v_dual_max_f32 v11, v8, v8 :: v_dual_lshlrev_b32 v8, 2, v10
	s_delay_alu instid0(VALU_DEP_1) | instskip(SKIP_4) | instid1(VALU_DEP_1)
	v_dual_max_f32 v10, v9, v11 :: v_dual_cndmask_b32 v11, v203, v220
	v_cmp_gt_i32_e32 vcc_lo, 32, v221
	ds_bpermute_b32 v9, v8, v10
	s_waitcnt lgkmcnt(0)
	v_dual_max_f32 v12, v9, v9 :: v_dual_lshlrev_b32 v9, 2, v11
	v_max_f32_e32 v10, v10, v12
	v_cndmask_b32_e32 v12, v203, v221, vcc_lo
	ds_bpermute_b32 v11, v9, v10
	s_waitcnt lgkmcnt(0)
	v_max_f32_e32 v13, v11, v11
	s_delay_alu instid0(VALU_DEP_1) | instskip(SKIP_2) | instid1(SALU_CYCLE_1)
	v_dual_max_f32 v10, v10, v13 :: v_dual_lshlrev_b32 v11, 2, v12
                                        ; implicit-def: $vgpr13
	ds_bpermute_b32 v12, v11, v10
	s_and_saveexec_b32 s17, s16
	s_xor_b32 s16, exec_lo, s17
	s_cbranch_execz .LBB30_19
; %bb.18:                               ;   in Loop: Header=BB30_9 Depth=1
	v_add_f32_e64 v13, |v4|, |v4|
	s_delay_alu instid0(VALU_DEP_1) | instskip(SKIP_1) | instid1(VALU_DEP_2)
	v_mul_f32_e32 v14, 0x3fb8aa3b, v13
	v_cmp_ngt_f32_e32 vcc_lo, 0xc2ce8ed0, v13
	v_rndne_f32_e32 v15, v14
	v_fma_f32 v16, 0x3fb8aa3b, v13, -v14
	s_delay_alu instid0(VALU_DEP_2) | instskip(NEXT) | instid1(VALU_DEP_2)
	v_sub_f32_e32 v14, v14, v15
	v_fmac_f32_e32 v16, 0x32a5705f, v13
	v_cvt_i32_f32_e32 v15, v15
	s_delay_alu instid0(VALU_DEP_2) | instskip(NEXT) | instid1(VALU_DEP_1)
	v_add_f32_e32 v14, v14, v16
	v_exp_f32_e32 v14, v14
	s_waitcnt_depctr 0xfff
	v_ldexp_f32 v14, v14, v15
	s_delay_alu instid0(VALU_DEP_1) | instskip(SKIP_1) | instid1(VALU_DEP_2)
	v_cndmask_b32_e32 v14, 0, v14, vcc_lo
	v_cmp_nlt_f32_e32 vcc_lo, 0x42b17218, v13
	v_cndmask_b32_e32 v13, 0x7f800000, v14, vcc_lo
	s_delay_alu instid0(VALU_DEP_1) | instskip(NEXT) | instid1(VALU_DEP_1)
	v_add_f32_e32 v13, 1.0, v13
	v_rcp_f32_e32 v13, v13
	s_waitcnt_depctr 0xfff
	v_fma_f32 v13, v13, -2.0, 1.0
.LBB30_19:                              ;   in Loop: Header=BB30_9 Depth=1
	s_and_not1_saveexec_b32 s16, s16
; %bb.20:                               ;   in Loop: Header=BB30_9 Depth=1
	v_mul_f32_e32 v13, v4, v4
	s_delay_alu instid0(VALU_DEP_1) | instskip(NEXT) | instid1(VALU_DEP_1)
	v_fmaak_f32 v14, s11, v13, 0x3ca908c9
	v_fmaak_f32 v14, v13, v14, 0xbd5c1c4e
	s_delay_alu instid0(VALU_DEP_1) | instskip(NEXT) | instid1(VALU_DEP_1)
	v_fmaak_f32 v14, v13, v14, 0x3e088382
	v_fmaak_f32 v14, v13, v14, 0xbeaaaa99
	s_delay_alu instid0(VALU_DEP_1) | instskip(NEXT) | instid1(VALU_DEP_1)
	v_mul_f32_e64 v14, |v4|, v14
	v_fma_f32 v13, v13, v14, |v4|
; %bb.21:                               ;   in Loop: Header=BB30_9 Depth=1
	s_or_b32 exec_lo, exec_lo, s16
	v_cmp_ngt_f32_e64 s16, 0x3f200000, |v5|
                                        ; implicit-def: $vgpr14
	s_delay_alu instid0(VALU_DEP_1) | instskip(NEXT) | instid1(SALU_CYCLE_1)
	s_and_saveexec_b32 s17, s16
	s_xor_b32 s16, exec_lo, s17
	s_cbranch_execz .LBB30_23
; %bb.22:                               ;   in Loop: Header=BB30_9 Depth=1
	v_add_f32_e64 v14, |v5|, |v5|
	s_delay_alu instid0(VALU_DEP_1) | instskip(SKIP_1) | instid1(VALU_DEP_2)
	v_mul_f32_e32 v15, 0x3fb8aa3b, v14
	v_cmp_ngt_f32_e32 vcc_lo, 0xc2ce8ed0, v14
	v_rndne_f32_e32 v16, v15
	v_fma_f32 v17, 0x3fb8aa3b, v14, -v15
	s_delay_alu instid0(VALU_DEP_2) | instskip(NEXT) | instid1(VALU_DEP_2)
	v_sub_f32_e32 v15, v15, v16
	v_fmac_f32_e32 v17, 0x32a5705f, v14
	v_cvt_i32_f32_e32 v16, v16
	s_delay_alu instid0(VALU_DEP_2) | instskip(NEXT) | instid1(VALU_DEP_1)
	v_add_f32_e32 v15, v15, v17
	v_exp_f32_e32 v15, v15
	s_waitcnt_depctr 0xfff
	v_ldexp_f32 v15, v15, v16
	s_delay_alu instid0(VALU_DEP_1) | instskip(SKIP_1) | instid1(VALU_DEP_2)
	v_cndmask_b32_e32 v15, 0, v15, vcc_lo
	v_cmp_nlt_f32_e32 vcc_lo, 0x42b17218, v14
	v_cndmask_b32_e32 v14, 0x7f800000, v15, vcc_lo
	s_delay_alu instid0(VALU_DEP_1) | instskip(NEXT) | instid1(VALU_DEP_1)
	v_add_f32_e32 v14, 1.0, v14
	v_rcp_f32_e32 v14, v14
	s_waitcnt_depctr 0xfff
	v_fma_f32 v14, v14, -2.0, 1.0
.LBB30_23:                              ;   in Loop: Header=BB30_9 Depth=1
	s_and_not1_saveexec_b32 s16, s16
; %bb.24:                               ;   in Loop: Header=BB30_9 Depth=1
	v_mul_f32_e32 v14, v5, v5
	s_delay_alu instid0(VALU_DEP_1) | instskip(NEXT) | instid1(VALU_DEP_1)
	v_fmaak_f32 v15, s11, v14, 0x3ca908c9
	v_fmaak_f32 v15, v14, v15, 0xbd5c1c4e
	s_delay_alu instid0(VALU_DEP_1) | instskip(NEXT) | instid1(VALU_DEP_1)
	v_fmaak_f32 v15, v14, v15, 0x3e088382
	v_fmaak_f32 v15, v14, v15, 0xbeaaaa99
	s_delay_alu instid0(VALU_DEP_1) | instskip(NEXT) | instid1(VALU_DEP_1)
	v_mul_f32_e64 v15, |v5|, v15
	v_fma_f32 v14, v14, v15, |v5|
; %bb.25:                               ;   in Loop: Header=BB30_9 Depth=1
	s_or_b32 exec_lo, exec_lo, s16
	s_mul_hi_i32 s17, s3, s10
	s_mul_i32 s16, s3, s10
	s_waitcnt lgkmcnt(0)
	s_lshl_b64 s[16:17], s[16:17], 2
	s_barrier
	v_add_co_u32 v19, vcc_lo, v213, s16
	v_add_co_ci_u32_e32 v20, vcc_lo, s17, v214, vcc_lo
	buffer_gl0_inv
	v_cvt_f32_f16_e32 v2, v2
	s_clause 0x1
	global_load_b128 v[15:18], v[19:20], off
	global_load_b128 v[19:22], v[19:20], off offset:512
	v_cvt_f32_f16_e32 v3, v3
	v_bfi_b32 v4, 0x7fffffff, v13, v4
	v_bfi_b32 v5, 0x7fffffff, v14, v5
	s_or_b32 s16, s3, 8
	v_add_nc_u32_e32 v223, 0x800, v212
	s_mul_hi_i32 s17, s16, s10
	s_delay_alu instid0(VALU_DEP_2) | instskip(SKIP_1) | instid1(SALU_CYCLE_1)
	v_dual_fmac_f32 v2, s8, v4 :: v_dual_fmac_f32 v3, s8, v5
	s_mul_i32 s16, s16, s10
	s_lshl_b64 s[16:17], s[16:17], 2
	s_delay_alu instid0(VALU_DEP_1) | instskip(NEXT) | instid1(VALU_DEP_1)
	v_dual_add_f32 v4, 0x40051340, v2 :: v_dual_add_f32 v5, 0x40051340, v3
	v_max3_f32 v4, v161, v4, v5
	ds_bpermute_b32 v5, v6, v4
	s_waitcnt lgkmcnt(0)
	v_dual_max_f32 v6, v12, v12 :: v_dual_max_f32 v5, v5, v5
	s_delay_alu instid0(VALU_DEP_1) | instskip(SKIP_2) | instid1(VALU_DEP_1)
	v_max_f32_e32 v4, v4, v5
	ds_bpermute_b32 v5, v7, v4
	v_max_f32_e32 v7, v10, v10
	v_max_f32_e32 v199, v7, v6
	s_delay_alu instid0(VALU_DEP_1) | instskip(SKIP_1) | instid1(VALU_DEP_1)
	v_sub_f32_e32 v0, v0, v199
	v_sub_f32_e32 v1, v1, v199
	v_mul_f32_e32 v6, 0x3fb8aa3b, v1
	v_dual_sub_f32 v160, v160, v199 :: v_dual_add_nc_u32 v225, 0x1800, v212
	s_waitcnt lgkmcnt(0)
	v_max_f32_e32 v5, v5, v5
	v_cmp_ngt_f32_e32 vcc_lo, 0xc2ce8ed0, v1
	s_delay_alu instid0(VALU_DEP_3) | instskip(NEXT) | instid1(VALU_DEP_3)
	v_mul_f32_e32 v170, 0x3fb8aa3b, v160
	v_max_f32_e32 v4, v4, v5
	s_delay_alu instid0(VALU_DEP_2) | instskip(SKIP_4) | instid1(VALU_DEP_3)
	v_fma_f32 v171, 0x3fb8aa3b, v160, -v170
	ds_bpermute_b32 v5, v8, v4
	v_mul_f32_e32 v8, 0x3fb8aa3b, v0
	v_rndne_f32_e32 v172, v170
	v_fmac_f32_e32 v171, 0x32a5705f, v160
	v_rndne_f32_e32 v10, v8
	s_delay_alu instid0(VALU_DEP_3) | instskip(SKIP_1) | instid1(VALU_DEP_2)
	v_dual_sub_f32 v170, v170, v172 :: v_dual_add_nc_u32 v7, v209, v201
	v_cvt_i32_f32_e32 v172, v172
	v_add_f32_e32 v170, v170, v171
	s_delay_alu instid0(VALU_DEP_1) | instskip(SKIP_2) | instid1(VALU_DEP_1)
	v_exp_f32_e32 v170, v170
	s_waitcnt lgkmcnt(0)
	v_max_f32_e32 v5, v5, v5
	v_max_f32_e32 v4, v4, v5
	s_waitcnt_depctr 0xfff
	v_ldexp_f32 v170, v170, v172
	ds_bpermute_b32 v5, v9, v4
	v_fma_f32 v9, 0x3fb8aa3b, v0, -v8
	v_sub_f32_e32 v8, v8, v10
	v_cvt_i32_f32_e32 v10, v10
	s_delay_alu instid0(VALU_DEP_3) | instskip(SKIP_2) | instid1(VALU_DEP_1)
	v_fmac_f32_e32 v9, 0x32a5705f, v0
	s_waitcnt lgkmcnt(0)
	v_max_f32_e32 v5, v5, v5
	v_max_f32_e32 v4, v4, v5
	ds_bpermute_b32 v5, v11, v4
	s_waitcnt lgkmcnt(0)
	v_max_f32_e32 v5, v5, v5
	s_delay_alu instid0(VALU_DEP_1) | instskip(SKIP_2) | instid1(VALU_DEP_3)
	v_max_f32_e32 v200, v4, v5
	v_fma_f32 v4, 0x3fb8aa3b, v1, -v6
	v_rndne_f32_e32 v5, v6
	v_sub_f32_e32 v2, v2, v200
	s_delay_alu instid0(VALU_DEP_3) | instskip(NEXT) | instid1(VALU_DEP_2)
	v_fmac_f32_e32 v4, 0x32a5705f, v1
	v_mul_f32_e32 v11, 0x3fb8aa3b, v2
	v_sub_f32_e32 v3, v3, v200
	v_sub_f32_e32 v161, v161, v200
	s_delay_alu instid0(VALU_DEP_3) | instskip(NEXT) | instid1(VALU_DEP_2)
	v_rndne_f32_e32 v13, v11
	v_dual_mul_f32 v12, 0x3fb8aa3b, v3 :: v_dual_mul_f32 v173, 0x3fb8aa3b, v161
	s_delay_alu instid0(VALU_DEP_1)
	v_rndne_f32_e32 v23, v12
	v_sub_f32_e32 v6, v6, v5
	v_fma_f32 v14, 0x3fb8aa3b, v3, -v12
	v_cvt_i32_f32_e32 v5, v5
	v_fma_f32 v174, 0x3fb8aa3b, v161, -v173
	v_rndne_f32_e32 v175, v173
	v_add_f32_e32 v4, v6, v4
	v_fmac_f32_e32 v14, 0x32a5705f, v3
	v_add_f32_e32 v8, v8, v9
	v_sub_f32_e32 v9, v11, v13
	v_fma_f32 v6, 0x3fb8aa3b, v2, -v11
	v_exp_f32_e32 v4, v4
	v_dual_sub_f32 v11, v12, v23 :: v_dual_add_nc_u32 v224, 0x1000, v212
	v_dual_sub_f32 v171, v173, v175 :: v_dual_fmac_f32 v174, 0x32a5705f, v161
	v_cvt_i32_f32_e32 v172, v175
	s_delay_alu instid0(VALU_DEP_2) | instskip(SKIP_3) | instid1(VALU_DEP_1)
	v_add_f32_e32 v171, v171, v174
	s_waitcnt_depctr 0xfff
	v_ldexp_f32 v4, v4, v5
	v_exp_f32_e32 v171, v171
	v_cndmask_b32_e32 v4, 0, v4, vcc_lo
	v_cmp_ngt_f32_e32 vcc_lo, 0xc2ce8ed0, v0
	v_fmac_f32_e32 v6, 0x32a5705f, v2
	s_delay_alu instid0(VALU_DEP_1) | instskip(SKIP_2) | instid1(TRANS32_DEP_2)
	v_add_f32_e32 v6, v9, v6
	v_add_f32_e32 v9, v11, v14
	v_exp_f32_e32 v8, v8
	v_ldexp_f32 v171, v171, v172
	s_delay_alu instid0(VALU_DEP_3) | instskip(NEXT) | instid1(VALU_DEP_2)
	v_exp_f32_e32 v6, v6
	v_exp_f32_e32 v9, v9
	s_delay_alu instid0(TRANS32_DEP_3) | instskip(SKIP_2) | instid1(VALU_DEP_3)
	v_ldexp_f32 v5, v8, v10
	v_cvt_i32_f32_e32 v8, v13
	v_cvt_i32_f32_e32 v10, v23
	v_cndmask_b32_e32 v5, 0, v5, vcc_lo
	v_cmp_nlt_f32_e32 vcc_lo, 0x42b17218, v1
	s_delay_alu instid0(TRANS32_DEP_2) | instid1(VALU_DEP_4)
	v_ldexp_f32 v6, v6, v8
	s_delay_alu instid0(TRANS32_DEP_1) | instid1(VALU_DEP_4)
	v_ldexp_f32 v8, v9, v10
	v_cndmask_b32_e32 v228, 0x7f800000, v4, vcc_lo
	v_cmp_ngt_f32_e32 vcc_lo, 0xc2ce8ed0, v2
	s_delay_alu instid0(VALU_DEP_4)
	v_cndmask_b32_e32 v1, 0, v6, vcc_lo
	v_cmp_ngt_f32_e32 vcc_lo, 0xc2ce8ed0, v3
	v_cndmask_b32_e32 v4, 0, v8, vcc_lo
	v_cmp_nlt_f32_e32 vcc_lo, 0x42b17218, v0
	v_cvt_f16_f32_e64 v0, v228
	v_cndmask_b32_e32 v229, 0x7f800000, v5, vcc_lo
	v_cmp_nlt_f32_e32 vcc_lo, 0x42b17218, v2
	v_cndmask_b32_e32 v226, 0x7f800000, v1, vcc_lo
	v_cmp_nlt_f32_e32 vcc_lo, 0x42b17218, v3
	s_delay_alu instid0(VALU_DEP_4) | instskip(NEXT) | instid1(VALU_DEP_3)
	v_cvt_f16_f32_e64 v1, v229
	v_cvt_f16_f32_e64 v2, v226
	v_cndmask_b32_e32 v227, 0x7f800000, v4, vcc_lo
	v_add_co_u32 v32, vcc_lo, v213, s16
	v_add_co_ci_u32_e32 v33, vcc_lo, s17, v214, vcc_lo
	s_delay_alu instid0(VALU_DEP_3) | instskip(SKIP_2) | instid1(SALU_CYCLE_1)
	v_cvt_f16_f32_e64 v3, v227
	v_pack_b32_f16 v1, v1, v2
	s_or_b32 s16, s3, 16
	s_mul_hi_i32 s17, s16, s10
	s_delay_alu instid0(VALU_DEP_2)
	v_pack_b32_f16 v0, v0, v3
	s_mul_i32 s16, s16, s10
	ds_store_2addr_b32 v7, v1, v0 offset1:32
	s_waitcnt vmcnt(1)
	ds_store_b128 v210, v[15:18]
	s_waitcnt vmcnt(0)
	ds_store_b128 v211, v[19:22]
	s_waitcnt lgkmcnt(0)
	s_barrier
	buffer_gl0_inv
	ds_load_2addr_b64 v[88:91], v212 offset1:32
	ds_load_2addr_b64 v[92:95], v212 offset0:64 offset1:96
	ds_load_b128 v[52:55], v209
	ds_load_b128 v[0:3], v209 offset:16
	ds_load_2addr_b64 v[80:83], v212 offset0:128 offset1:160
	ds_load_2addr_b64 v[84:87], v212 offset0:192 offset1:224
	ds_load_2addr_b64 v[72:75], v223 offset1:32
	ds_load_2addr_b64 v[76:79], v223 offset0:64 offset1:96
	ds_load_2addr_b64 v[60:63], v223 offset0:128 offset1:160
	ds_load_2addr_b64 v[68:71], v223 offset0:192 offset1:224
	ds_load_2addr_b64 v[36:39], v224 offset1:32
	ds_load_2addr_b64 v[44:47], v224 offset0:64 offset1:96
	ds_load_2addr_b64 v[20:23], v224 offset0:128 offset1:160
	ds_load_2addr_b64 v[28:31], v224 offset0:192 offset1:224
	ds_load_2addr_b64 v[12:15], v225 offset1:32
	ds_load_2addr_b64 v[16:19], v225 offset0:64 offset1:96
	ds_load_2addr_b64 v[8:11], v225 offset0:128 offset1:160
	ds_load_2addr_b64 v[4:7], v225 offset0:192 offset1:224
	s_waitcnt lgkmcnt(0)
	s_barrier
	buffer_gl0_inv
	s_clause 0x1
	global_load_b128 v[24:27], v[32:33], off
	global_load_b128 v[32:35], v[32:33], off offset:512
	s_lshl_b64 s[16:17], s[16:17], 2
	s_waitcnt vmcnt(1)
	ds_store_b128 v210, v[24:27]
	s_waitcnt vmcnt(0)
	ds_store_b128 v211, v[32:35]
	v_add_co_u32 v166, vcc_lo, v213, s16
	v_add_co_ci_u32_e32 v167, vcc_lo, s17, v214, vcc_lo
	s_waitcnt lgkmcnt(0)
	s_barrier
	buffer_gl0_inv
	ds_load_2addr_b64 v[140:143], v212 offset1:32
	ds_load_2addr_b64 v[136:139], v212 offset0:64 offset1:96
	ds_load_b128 v[104:107], v209 offset:32
	ds_load_b128 v[24:27], v209 offset:48
	ds_load_2addr_b64 v[132:135], v212 offset0:128 offset1:160
	ds_load_2addr_b64 v[128:131], v212 offset0:192 offset1:224
	ds_load_2addr_b64 v[124:127], v223 offset1:32
	ds_load_2addr_b64 v[120:123], v223 offset0:64 offset1:96
	ds_load_2addr_b64 v[116:119], v223 offset0:128 offset1:160
	ds_load_2addr_b64 v[112:115], v223 offset0:192 offset1:224
	ds_load_2addr_b64 v[108:111], v224 offset1:32
	ds_load_2addr_b64 v[100:103], v224 offset0:64 offset1:96
	;; [unrolled: 4-line block ×3, first 2 shown]
	ds_load_2addr_b64 v[40:43], v225 offset0:128 offset1:160
	ds_load_2addr_b64 v[32:35], v225 offset0:192 offset1:224
	s_waitcnt lgkmcnt(0)
	s_barrier
	buffer_gl0_inv
	s_clause 0x1
	global_load_b128 v[162:165], v[166:167], off
	global_load_b128 v[166:169], v[166:167], off offset:512
	v_cmp_ngt_f32_e32 vcc_lo, 0xc2ce8ed0, v160
	s_or_b32 s16, s3, 24
	s_waitcnt vmcnt(1)
	ds_store_b128 v210, v[162:165]
	s_waitcnt vmcnt(0)
	ds_store_b128 v211, v[166:169]
	v_cndmask_b32_e32 v170, 0, v170, vcc_lo
	v_cmp_nlt_f32_e32 vcc_lo, 0x42b17218, v160
	s_mul_hi_i32 s17, s16, s10
	s_mul_i32 s16, s16, s10
	s_waitcnt lgkmcnt(0)
	s_lshl_b64 s[16:17], s[16:17], 2
	v_cndmask_b32_e32 v231, 0x7f800000, v170, vcc_lo
	v_cmp_ngt_f32_e32 vcc_lo, 0xc2ce8ed0, v161
	s_barrier
	buffer_gl0_inv
	v_cvt_f16_f32_e64 v170, v231
	v_cndmask_b32_e32 v160, 0, v171, vcc_lo
	v_cmp_nlt_f32_e32 vcc_lo, 0x42b17218, v161
	s_delay_alu instid0(VALU_DEP_3) | instskip(SKIP_1) | instid1(VALU_DEP_4)
	v_pk_mul_f16 v154, v170, v154 op_sel_hi:[0,1]
	v_pk_mul_f16 v156, v170, v156 op_sel_hi:[0,1]
	v_cndmask_b32_e32 v230, 0x7f800000, v160, vcc_lo
	v_pk_mul_f16 v152, v170, v152 op_sel_hi:[0,1]
	v_pk_mul_f16 v153, v170, v153 op_sel_hi:[0,1]
	;; [unrolled: 1-line block ×4, first 2 shown]
	v_cvt_f16_f32_e64 v160, v230
	v_pk_fma_f16 v154, v92, v52, v154 op_sel_hi:[1,0,1]
	v_add_co_u32 v172, vcc_lo, v213, s16
	v_add_co_ci_u32_e32 v173, vcc_lo, s17, v214, vcc_lo
	s_delay_alu instid0(VALU_DEP_4)
	v_pk_mul_f16 v146, v160, v146 op_sel_hi:[0,1]
	v_pk_mul_f16 v147, v160, v147 op_sel_hi:[0,1]
	;; [unrolled: 1-line block ×7, first 2 shown]
	v_pk_fma_f16 v92, v92, v52, v146 op_sel:[0,1,0]
	v_pk_fma_f16 v146, v93, v52, v156 op_sel_hi:[1,0,1]
	v_pk_fma_f16 v93, v93, v52, v147 op_sel:[0,1,0]
	v_pk_fma_f16 v147, v94, v52, v152 op_sel_hi:[1,0,1]
	;; [unrolled: 2-line block ×3, first 2 shown]
	v_pk_fma_f16 v95, v95, v52, v144 op_sel:[0,1,0]
	v_pk_mul_f16 v144, v88, v52 op_sel_hi:[1,0]
	v_pk_mul_f16 v88, v88, v52 op_sel:[0,1]
	v_pk_fma_f16 v151, v89, v52, v151 op_sel:[0,1,0]
	v_pk_fma_f16 v152, v90, v52, v158 op_sel_hi:[1,0,1]
	v_pk_fma_f16 v90, v90, v52, v148 op_sel:[0,1,0]
	v_pk_fma_f16 v148, v91, v52, v159 op_sel_hi:[1,0,1]
	v_pk_fma_f16 v91, v91, v52, v149 op_sel:[0,1,0]
	v_pk_mul_f16 v52, v89, v52 op_sel_hi:[1,0]
	v_pk_fma_f16 v89, v84, v53, v154 op_sel_hi:[1,0,1]
	v_pk_fma_f16 v84, v84, v53, v92 op_sel:[0,1,0]
	v_pk_fma_f16 v92, v85, v53, v146 op_sel_hi:[1,0,1]
	v_pk_fma_f16 v85, v85, v53, v93 op_sel:[0,1,0]
	;; [unrolled: 2-line block ×4, first 2 shown]
	v_pk_fma_f16 v88, v160, v150, v88 op_sel_hi:[0,1,1]
	v_pk_fma_f16 v95, v170, v155, v144 op_sel_hi:[0,1,1]
	;; [unrolled: 1-line block ×3, first 2 shown]
	v_pk_fma_f16 v144, v81, v53, v151 op_sel:[0,1,0]
	v_pk_fma_f16 v145, v82, v53, v152 op_sel_hi:[1,0,1]
	v_pk_fma_f16 v82, v82, v53, v90 op_sel:[0,1,0]
	v_pk_fma_f16 v90, v83, v53, v148 op_sel_hi:[1,0,1]
	;; [unrolled: 2-line block ×28, first 2 shown]
	v_pk_fma_f16 v189, v28, v1, v38 op_sel_hi:[1,0,1]
	v_pk_fma_f16 v190, v28, v1, v39 op_sel:[0,1,0]
	v_pk_fma_f16 v191, v29, v1, v44 op_sel_hi:[1,0,1]
	v_pk_fma_f16 v234, v29, v1, v45 op_sel:[0,1,0]
	;; [unrolled: 2-line block ×4, first 2 shown]
	ds_load_2addr_b64 v[184:187], v212 offset1:32
	ds_load_2addr_b64 v[176:179], v212 offset0:64 offset1:96
	ds_load_b128 v[80:83], v209 offset:64
	ds_load_b128 v[28:31], v209 offset:80
	ds_load_2addr_b64 v[168:171], v212 offset0:128 offset1:160
	ds_load_2addr_b64 v[160:163], v212 offset0:192 offset1:224
	ds_load_2addr_b64 v[152:155], v223 offset1:32
	ds_load_2addr_b64 v[144:147], v223 offset0:64 offset1:96
	ds_load_2addr_b64 v[92:95], v223 offset0:128 offset1:160
	ds_load_2addr_b64 v[88:91], v223 offset0:192 offset1:224
	ds_load_2addr_b64 v[84:87], v224 offset1:32
	ds_load_2addr_b64 v[76:79], v224 offset0:64 offset1:96
	;; [unrolled: 4-line block ×3, first 2 shown]
	ds_load_2addr_b64 v[44:47], v225 offset0:128 offset1:160
	ds_load_2addr_b64 v[36:39], v225 offset0:192 offset1:224
	s_waitcnt lgkmcnt(0)
	s_barrier
	buffer_gl0_inv
	s_clause 0x1
	global_load_b128 v[148:151], v[172:173], off
	global_load_b128 v[156:159], v[172:173], off offset:512
	v_pk_fma_f16 v164, v21, v1, v174 op_sel:[0,1,0]
	v_pk_fma_f16 v165, v22, v1, v175 op_sel_hi:[1,0,1]
	v_pk_fma_f16 v22, v22, v1, v180 op_sel:[0,1,0]
	v_pk_fma_f16 v166, v23, v1, v181 op_sel_hi:[1,0,1]
	;; [unrolled: 2-line block ×9, first 2 shown]
	v_pk_fma_f16 v23, v16, v2, v189 op_sel_hi:[1,0,1]
	v_pk_fma_f16 v16, v16, v2, v190 op_sel:[0,1,0]
	v_pk_fma_f16 v165, v18, v2, v235 op_sel_hi:[1,0,1]
	v_pk_fma_f16 v18, v18, v2, v236 op_sel:[0,1,0]
	;; [unrolled: 2-line block ×3, first 2 shown]
	v_pk_fma_f16 v1, v9, v3, v1 op_sel:[0,1,0]
	v_pk_fma_f16 v2, v10, v3, v21 op_sel_hi:[1,0,1]
	v_pk_fma_f16 v10, v10, v3, v14 op_sel:[0,1,0]
	v_pk_fma_f16 v13, v11, v3, v22 op_sel_hi:[1,0,1]
	;; [unrolled: 2-line block ×5, first 2 shown]
	v_pk_fma_f16 v14, v4, v3, v23 op_sel_hi:[1,0,1]
	v_pk_fma_f16 v4, v4, v3, v16 op_sel:[0,1,0]
	v_pk_fma_f16 v16, v6, v3, v165 op_sel_hi:[1,0,1]
	v_pk_fma_f16 v6, v6, v3, v18 op_sel:[0,1,0]
	;; [unrolled: 2-line block ×23, first 2 shown]
	s_or_b32 s16, s3, 32
	v_pk_fma_f16 v13, v120, v106, v13 op_sel_hi:[1,0,1]
	s_mul_hi_i32 s17, s16, s10
	s_mul_i32 s16, s16, s10
	v_pk_fma_f16 v4, v120, v106, v4 op_sel:[0,1,0]
	v_pk_fma_f16 v14, v121, v106, v14 op_sel_hi:[1,0,1]
	v_pk_fma_f16 v5, v121, v106, v5 op_sel:[0,1,0]
	v_pk_fma_f16 v15, v122, v106, v15 op_sel_hi:[1,0,1]
	;; [unrolled: 2-line block ×7, first 2 shown]
	v_pk_fma_f16 v11, v119, v107, v11 op_sel:[0,1,0]
	s_lshl_b64 s[16:17], s[16:17], 2
	v_pk_fma_f16 v13, v112, v107, v13 op_sel_hi:[1,0,1]
	v_add_co_u32 v232, vcc_lo, v213, s16
	v_add_co_ci_u32_e32 v233, vcc_lo, s17, v214, vcc_lo
	v_pk_fma_f16 v4, v112, v107, v4 op_sel:[0,1,0]
	v_pk_fma_f16 v14, v113, v107, v14 op_sel_hi:[1,0,1]
	v_pk_fma_f16 v5, v113, v107, v5 op_sel:[0,1,0]
	v_pk_fma_f16 v15, v114, v107, v15 op_sel_hi:[1,0,1]
	;; [unrolled: 2-line block ×31, first 2 shown]
	s_waitcnt vmcnt(1)
	ds_store_b128 v210, v[148:151]
	s_waitcnt vmcnt(0)
	ds_store_b128 v211, v[156:159]
	s_waitcnt lgkmcnt(0)
	s_barrier
	buffer_gl0_inv
	ds_load_2addr_b64 v[188:191], v212 offset1:32
	ds_load_2addr_b64 v[180:183], v212 offset0:64 offset1:96
	ds_load_b128 v[128:131], v209 offset:96
	ds_load_b128 v[0:3], v209 offset:112
	ds_load_2addr_b64 v[172:175], v212 offset0:128 offset1:160
	ds_load_2addr_b64 v[164:167], v212 offset0:192 offset1:224
	ds_load_2addr_b64 v[156:159], v223 offset1:32
	ds_load_2addr_b64 v[148:151], v223 offset0:64 offset1:96
	ds_load_2addr_b64 v[140:143], v223 offset0:128 offset1:160
	ds_load_2addr_b64 v[136:139], v223 offset0:192 offset1:224
	ds_load_2addr_b64 v[132:135], v224 offset1:32
	ds_load_2addr_b64 v[124:127], v224 offset0:64 offset1:96
	;; [unrolled: 4-line block ×3, first 2 shown]
	ds_load_2addr_b64 v[8:11], v225 offset0:128 offset1:160
	ds_load_2addr_b64 v[4:7], v225 offset0:192 offset1:224
	s_waitcnt lgkmcnt(0)
	s_barrier
	buffer_gl0_inv
	s_clause 0x1
	global_load_b128 v[96:99], v[232:233], off
	global_load_b128 v[100:103], v[232:233], off offset:512
	v_pk_fma_f16 v43, v43, v27, v59 op_sel:[0,1,0]
	v_pk_fma_f16 v57, v32, v27, v104 op_sel_hi:[1,0,1]
	v_pk_fma_f16 v32, v32, v27, v48 op_sel:[0,1,0]
	v_pk_fma_f16 v48, v33, v27, v64 op_sel_hi:[1,0,1]
	;; [unrolled: 2-line block ×24, first 2 shown]
	v_pk_fma_f16 v43, v155, v82, v43 op_sel:[0,1,0]
	s_or_b32 s16, s3, 40
	v_pk_fma_f16 v51, v144, v82, v51 op_sel_hi:[1,0,1]
	s_mul_hi_i32 s17, s16, s10
	s_mul_i32 s16, s16, s10
	v_pk_fma_f16 v32, v144, v82, v32 op_sel:[0,1,0]
	v_pk_fma_f16 v48, v145, v82, v48 op_sel_hi:[1,0,1]
	v_pk_fma_f16 v33, v145, v82, v33 op_sel:[0,1,0]
	v_pk_fma_f16 v49, v146, v82, v49 op_sel_hi:[1,0,1]
	;; [unrolled: 2-line block ×7, first 2 shown]
	v_pk_fma_f16 v43, v95, v83, v43 op_sel:[0,1,0]
	s_lshl_b64 s[16:17], s[16:17], 2
	v_pk_fma_f16 v51, v88, v83, v51 op_sel_hi:[1,0,1]
	v_add_co_u32 v232, vcc_lo, v213, s16
	v_add_co_ci_u32_e32 v233, vcc_lo, s17, v214, vcc_lo
	v_pk_fma_f16 v32, v88, v83, v32 op_sel:[0,1,0]
	v_pk_fma_f16 v48, v89, v83, v48 op_sel_hi:[1,0,1]
	v_pk_fma_f16 v33, v89, v83, v33 op_sel:[0,1,0]
	v_pk_fma_f16 v49, v90, v83, v49 op_sel_hi:[1,0,1]
	;; [unrolled: 2-line block ×42, first 2 shown]
	v_pk_fma_f16 v38, v182, v128, v38 op_sel:[0,1,0]
	s_waitcnt vmcnt(1)
	ds_store_b128 v210, v[96:99]
	s_waitcnt vmcnt(0)
	ds_store_b128 v211, v[100:103]
	s_waitcnt lgkmcnt(0)
	s_barrier
	buffer_gl0_inv
	ds_load_2addr_b64 v[116:119], v212 offset1:32
	ds_load_2addr_b64 v[112:115], v212 offset0:64 offset1:96
	ds_load_b128 v[80:83], v209 offset:128
	ds_load_b128 v[24:27], v209 offset:144
	ds_load_2addr_b64 v[108:111], v212 offset0:128 offset1:160
	ds_load_2addr_b64 v[104:107], v212 offset0:192 offset1:224
	ds_load_2addr_b64 v[100:103], v223 offset1:32
	ds_load_2addr_b64 v[96:99], v223 offset0:64 offset1:96
	ds_load_2addr_b64 v[92:95], v223 offset0:128 offset1:160
	ds_load_2addr_b64 v[88:91], v223 offset0:192 offset1:224
	ds_load_2addr_b64 v[84:87], v224 offset1:32
	ds_load_2addr_b64 v[76:79], v224 offset0:64 offset1:96
	;; [unrolled: 4-line block ×3, first 2 shown]
	ds_load_2addr_b64 v[40:43], v225 offset0:128 offset1:160
	ds_load_2addr_b64 v[32:35], v225 offset0:192 offset1:224
	s_waitcnt lgkmcnt(0)
	s_barrier
	buffer_gl0_inv
	s_clause 0x1
	global_load_b128 v[144:147], v[232:233], off
	global_load_b128 v[152:155], v[232:233], off offset:512
	v_pk_fma_f16 v54, v183, v128, v54 op_sel_hi:[1,0,1]
	v_pk_fma_f16 v28, v183, v128, v28 op_sel:[0,1,0]
	v_pk_fma_f16 v29, v172, v129, v29 op_sel_hi:[1,0,1]
	v_pk_fma_f16 v30, v172, v129, v30 op_sel:[0,1,0]
	;; [unrolled: 2-line block ×13, first 2 shown]
	s_or_b32 s16, s3, 48
	v_pk_fma_f16 v55, v148, v130, v55 op_sel_hi:[1,0,1]
	s_mul_hi_i32 s17, s16, s10
	s_mul_i32 s16, s16, s10
	v_pk_fma_f16 v36, v148, v130, v36 op_sel:[0,1,0]
	v_pk_fma_f16 v52, v149, v130, v52 op_sel_hi:[1,0,1]
	v_pk_fma_f16 v37, v149, v130, v37 op_sel:[0,1,0]
	v_pk_fma_f16 v53, v150, v130, v53 op_sel_hi:[1,0,1]
	;; [unrolled: 2-line block ×7, first 2 shown]
	v_pk_fma_f16 v47, v143, v131, v47 op_sel:[0,1,0]
	s_lshl_b64 s[16:17], s[16:17], 2
	v_pk_fma_f16 v55, v136, v131, v55 op_sel_hi:[1,0,1]
	v_add_co_u32 v168, vcc_lo, v213, s16
	v_add_co_ci_u32_e32 v169, vcc_lo, s17, v214, vcc_lo
	v_pk_fma_f16 v36, v136, v131, v36 op_sel:[0,1,0]
	v_pk_fma_f16 v52, v137, v131, v52 op_sel_hi:[1,0,1]
	v_pk_fma_f16 v37, v137, v131, v37 op_sel:[0,1,0]
	v_pk_fma_f16 v53, v138, v131, v53 op_sel_hi:[1,0,1]
	;; [unrolled: 2-line block ×50, first 2 shown]
	s_waitcnt vmcnt(1)
	ds_store_b128 v210, v[144:147]
	s_waitcnt vmcnt(0)
	ds_store_b128 v211, v[152:155]
	s_waitcnt lgkmcnt(0)
	s_barrier
	buffer_gl0_inv
	ds_load_2addr_b64 v[164:167], v212 offset1:32
	ds_load_2addr_b64 v[160:163], v212 offset0:64 offset1:96
	ds_load_b128 v[128:131], v209 offset:160
	ds_load_b128 v[28:31], v209 offset:176
	ds_load_2addr_b64 v[156:159], v212 offset0:128 offset1:160
	ds_load_2addr_b64 v[152:155], v212 offset0:192 offset1:224
	ds_load_2addr_b64 v[148:151], v223 offset1:32
	ds_load_2addr_b64 v[144:147], v223 offset0:64 offset1:96
	ds_load_2addr_b64 v[140:143], v223 offset0:128 offset1:160
	ds_load_2addr_b64 v[136:139], v223 offset0:192 offset1:224
	ds_load_2addr_b64 v[132:135], v224 offset1:32
	ds_load_2addr_b64 v[124:127], v224 offset0:64 offset1:96
	;; [unrolled: 4-line block ×3, first 2 shown]
	ds_load_2addr_b64 v[44:47], v225 offset0:128 offset1:160
	ds_load_2addr_b64 v[36:39], v225 offset0:192 offset1:224
	s_waitcnt lgkmcnt(0)
	s_barrier
	buffer_gl0_inv
	s_clause 0x1
	global_load_b128 v[185:188], v[168:169], off
	global_load_b128 v[232:235], v[168:169], off offset:512
	v_add_f32_e32 v168, v229, v228
	v_pk_fma_f16 v6, v106, v81, v6 op_sel:[0,1,0]
	v_pk_fma_f16 v14, v107, v81, v14 op_sel_hi:[1,0,1]
	v_pk_fma_f16 v0, v107, v81, v0 op_sel:[0,1,0]
	s_or_b32 s16, s3, 56
	v_pk_fma_f16 v1, v100, v82, v1 op_sel_hi:[1,0,1]
	s_mul_hi_i32 s17, s16, s10
	s_mul_i32 s16, s16, s10
	v_pk_fma_f16 v2, v100, v82, v2 op_sel:[0,1,0]
	v_pk_fma_f16 v3, v101, v82, v3 op_sel_hi:[1,0,1]
	v_pk_fma_f16 v7, v101, v82, v7 op_sel:[0,1,0]
	v_pk_fma_f16 v8, v102, v82, v8 op_sel_hi:[1,0,1]
	;; [unrolled: 2-line block ×7, first 2 shown]
	v_pk_fma_f16 v0, v99, v82, v0 op_sel:[0,1,0]
	s_lshl_b64 s[16:17], s[16:17], 2
	v_pk_fma_f16 v1, v92, v83, v1 op_sel_hi:[1,0,1]
	v_add_co_u32 v189, vcc_lo, v213, s16
	v_add_co_ci_u32_e32 v190, vcc_lo, s17, v214, vcc_lo
	v_pk_fma_f16 v2, v92, v83, v2 op_sel:[0,1,0]
	v_pk_fma_f16 v3, v93, v83, v3 op_sel_hi:[1,0,1]
	v_pk_fma_f16 v7, v93, v83, v7 op_sel:[0,1,0]
	v_pk_fma_f16 v8, v94, v83, v8 op_sel_hi:[1,0,1]
	;; [unrolled: 2-line block ×7, first 2 shown]
	v_pk_fma_f16 v0, v91, v83, v0 op_sel:[0,1,0]
	v_fmac_f32_e32 v168, v217, v231
	v_add_f32_e32 v169, v226, v227
	v_pk_fma_f16 v182, v84, v24, v1 op_sel_hi:[1,0,1]
	v_pk_fma_f16 v183, v84, v24, v2 op_sel:[0,1,0]
	v_pk_fma_f16 v184, v85, v24, v3 op_sel_hi:[1,0,1]
	v_pk_fma_f16 v191, v85, v24, v7 op_sel:[0,1,0]
	;; [unrolled: 2-line block ×11, first 2 shown]
	v_pk_fma_f16 v24, v67, v25, v24 op_sel:[0,1,0]
	v_fmac_f32_e32 v169, v216, v230
	s_waitcnt vmcnt(1)
	ds_store_b128 v210, v[185:188]
	s_waitcnt vmcnt(0)
	ds_store_b128 v211, v[232:235]
	s_waitcnt lgkmcnt(0)
	s_barrier
	buffer_gl0_inv
	ds_load_2addr_b64 v[4:7], v212 offset1:32
	ds_load_2addr_b64 v[8:11], v212 offset0:64 offset1:96
	ds_load_b128 v[12:15], v209 offset:192
	ds_load_b128 v[0:3], v209 offset:208
	ds_load_2addr_b64 v[16:19], v212 offset0:128 offset1:160
	ds_load_2addr_b64 v[20:23], v212 offset0:192 offset1:224
	ds_load_2addr_b64 v[76:79], v223 offset1:32
	ds_load_2addr_b64 v[80:83], v223 offset0:64 offset1:96
	ds_load_2addr_b64 v[84:87], v223 offset0:128 offset1:160
	ds_load_2addr_b64 v[88:91], v223 offset0:192 offset1:224
	ds_load_2addr_b64 v[92:95], v224 offset1:32
	ds_load_2addr_b64 v[96:99], v224 offset0:64 offset1:96
	;; [unrolled: 4-line block ×3, first 2 shown]
	ds_load_2addr_b64 v[116:119], v225 offset0:128 offset1:160
	ds_load_2addr_b64 v[170:173], v225 offset0:192 offset1:224
	s_waitcnt lgkmcnt(0)
	s_barrier
	buffer_gl0_inv
	s_clause 0x1
	global_load_b128 v[174:177], v[189:190], off
	global_load_b128 v[178:181], v[189:190], off offset:512
	v_pk_fma_f16 v185, v71, v25, v227 op_sel_hi:[1,0,1]
	v_pk_fma_f16 v71, v71, v25, v228 op_sel:[0,1,0]
	v_pk_fma_f16 v186, v64, v25, v229 op_sel_hi:[1,0,1]
	v_pk_fma_f16 v64, v64, v25, v231 op_sel:[0,1,0]
	;; [unrolled: 2-line block ×4, first 2 shown]
	v_pk_fma_f16 v189, v67, v25, v240 op_sel_hi:[1,0,1]
	v_pk_fma_f16 v25, v56, v26, v182 op_sel_hi:[1,0,1]
	v_pk_fma_f16 v56, v56, v26, v68 op_sel:[0,1,0]
	v_pk_fma_f16 v67, v57, v26, v183 op_sel_hi:[1,0,1]
	v_pk_fma_f16 v57, v57, v26, v69 op_sel:[0,1,0]
	;; [unrolled: 2-line block ×142, first 2 shown]
	v_pk_fma_f16 v88, v172, v3, v16 op_sel_hi:[1,0,1]
	s_waitcnt vmcnt(1)
	ds_store_b128 v210, v[174:177]
	s_waitcnt vmcnt(0)
	ds_store_b128 v211, v[178:181]
	s_waitcnt lgkmcnt(0)
	s_barrier
	buffer_gl0_inv
	ds_load_2addr_b64 v[4:7], v212 offset1:32
	ds_load_2addr_b64 v[8:11], v212 offset0:64 offset1:96
	ds_load_b128 v[12:15], v209 offset:224
	ds_load_b128 v[16:19], v209 offset:240
	ds_load_2addr_b64 v[20:23], v212 offset0:128 offset1:160
	ds_load_2addr_b64 v[24:27], v212 offset0:192 offset1:224
	ds_load_2addr_b64 v[28:31], v223 offset1:32
	ds_load_2addr_b64 v[32:35], v223 offset0:64 offset1:96
	ds_load_2addr_b64 v[36:39], v223 offset0:128 offset1:160
	ds_load_2addr_b64 v[40:43], v223 offset0:192 offset1:224
	ds_load_2addr_b64 v[44:47], v224 offset1:32
	ds_load_2addr_b64 v[48:51], v224 offset0:64 offset1:96
	;; [unrolled: 4-line block ×3, first 2 shown]
	ds_load_2addr_b64 v[68:71], v225 offset0:128 offset1:160
	ds_load_2addr_b64 v[72:75], v225 offset0:192 offset1:224
	v_pk_fma_f16 v76, v172, v3, v76 op_sel:[0,1,0]
	v_pk_fma_f16 v77, v173, v3, v77 op_sel_hi:[1,0,1]
	v_pk_fma_f16 v0, v173, v3, v0 op_sel:[0,1,0]
	s_waitcnt lgkmcnt(0)
	v_pk_fma_f16 v1, v4, v12, v1 op_sel_hi:[1,0,1]
	v_pk_fma_f16 v2, v4, v12, v2 op_sel:[0,1,0]
	v_pk_fma_f16 v3, v5, v12, v78 op_sel_hi:[1,0,1]
	v_pk_fma_f16 v4, v5, v12, v79 op_sel:[0,1,0]
	;; [unrolled: 2-line block ×24, first 2 shown]
	s_barrier
	buffer_gl0_inv
	s_load_b32 s16, s[4:5], 0x4
	v_pk_fma_f16 v1, v36, v15, v1 op_sel_hi:[1,0,1]
	v_pk_fma_f16 v2, v36, v15, v2 op_sel:[0,1,0]
	v_pk_fma_f16 v3, v37, v15, v3 op_sel_hi:[1,0,1]
	v_pk_fma_f16 v4, v37, v15, v4 op_sel:[0,1,0]
	;; [unrolled: 2-line block ×32, first 2 shown]
	s_waitcnt lgkmcnt(0)
	s_lshl_b32 s16, s16, 6
	v_pk_fma_f16 v155, v68, v19, v1 op_sel_hi:[1,0,1]
	v_pk_fma_f16 v150, v68, v19, v2 op_sel:[0,1,0]
	v_pk_fma_f16 v157, v69, v19, v3 op_sel_hi:[1,0,1]
	v_pk_fma_f16 v151, v69, v19, v4 op_sel:[0,1,0]
	;; [unrolled: 2-line block ×8, first 2 shown]
	s_add_i32 s3, s16, s3
	s_delay_alu instid0(SALU_CYCLE_1)
	s_cmp_ge_i32 s3, s2
	s_cbranch_scc1 .LBB30_27
; %bb.26:                               ;   in Loop: Header=BB30_9 Depth=1
	v_dual_mov_b32 v160, v199 :: v_dual_mov_b32 v161, v200
	v_dual_mov_b32 v217, v168 :: v_dual_mov_b32 v216, v169
	s_branch .LBB30_9
.LBB30_27:
	v_mov_b32_e32 v0, v203
.LBB30_28:
	v_cmp_lt_i32_e32 vcc_lo, v222, v204
	s_cmp_lg_u64 s[24:25], 0
	s_cselect_b32 s2, -1, 0
	s_cmp_eq_u32 s14, 0
	v_cndmask_b32_e32 v1, v0, v222, vcc_lo
	v_cmp_lt_i32_e32 vcc_lo, v218, v204
	s_cselect_b32 s3, -1, 0
	s_delay_alu instid0(SALU_CYCLE_1) | instskip(NEXT) | instid1(VALU_DEP_2)
	s_and_b32 s2, s3, s2
	v_lshlrev_b32_e32 v1, 2, v1
	v_cndmask_b32_e32 v3, v0, v218, vcc_lo
	v_cmp_lt_i32_e32 vcc_lo, v219, v204
	ds_bpermute_b32 v2, v1, v168
	v_lshlrev_b32_e32 v3, 2, v3
	v_cndmask_b32_e32 v5, v0, v219, vcc_lo
	v_cmp_lt_i32_e32 vcc_lo, v220, v204
	s_waitcnt lgkmcnt(0)
	s_delay_alu instid0(VALU_DEP_2)
	v_dual_add_f32 v2, v168, v2 :: v_dual_lshlrev_b32 v5, 2, v5
	ds_bpermute_b32 v1, v1, v169
	ds_bpermute_b32 v4, v3, v2
	s_waitcnt lgkmcnt(0)
	v_dual_add_f32 v2, v2, v4 :: v_dual_add_f32 v1, v169, v1
	ds_bpermute_b32 v3, v3, v1
	s_waitcnt lgkmcnt(0)
	v_add_f32_e32 v1, v1, v3
	ds_bpermute_b32 v3, v5, v2
	ds_bpermute_b32 v4, v5, v1
	v_cndmask_b32_e32 v5, v0, v220, vcc_lo
	v_cmp_lt_i32_e32 vcc_lo, v221, v204
	s_delay_alu instid0(VALU_DEP_2) | instskip(SKIP_2) | instid1(VALU_DEP_1)
	v_lshlrev_b32_e32 v5, 2, v5
	v_cndmask_b32_e32 v0, v0, v221, vcc_lo
	s_and_b32 vcc_lo, exec_lo, s2
	v_lshlrev_b32_e32 v0, 2, v0
	s_waitcnt lgkmcnt(0)
	v_dual_add_f32 v2, v2, v3 :: v_dual_add_f32 v1, v1, v4
	ds_bpermute_b32 v3, v5, v2
	ds_bpermute_b32 v4, v5, v1
	s_waitcnt lgkmcnt(0)
	v_dual_add_f32 v2, v2, v3 :: v_dual_add_f32 v1, v1, v4
	ds_bpermute_b32 v3, v0, v2
	ds_bpermute_b32 v0, v0, v1
	s_waitcnt lgkmcnt(0)
	v_dual_add_f32 v2, v2, v3 :: v_dual_add_f32 v3, v1, v0
	s_cbranch_vccz .LBB30_31
; %bb.29:
	v_add_nc_u32_e32 v0, s12, v202
	s_delay_alu instid0(VALU_DEP_1) | instskip(NEXT) | instid1(VALU_DEP_1)
	v_ashrrev_i32_e32 v1, 31, v0
	v_lshlrev_b64 v[0:1], 2, v[0:1]
	s_delay_alu instid0(VALU_DEP_1) | instskip(NEXT) | instid1(VALU_DEP_2)
	v_add_co_u32 v0, vcc_lo, s24, v0
	v_add_co_ci_u32_e32 v1, vcc_lo, s25, v1, vcc_lo
	global_load_b64 v[0:1], v[0:1], off
	v_max_f32_e32 v4, v199, v199
	v_max_f32_e32 v6, v200, v200
	s_waitcnt vmcnt(0)
	v_max_f32_e32 v5, v0, v0
	v_max_f32_e32 v7, v1, v1
	s_delay_alu instid0(VALU_DEP_1) | instskip(NEXT) | instid1(VALU_DEP_1)
	v_dual_max_f32 v4, v4, v5 :: v_dual_max_f32 v5, v6, v7
	v_dual_sub_f32 v6, v199, v4 :: v_dual_sub_f32 v7, v200, v5
	v_dual_sub_f32 v1, v1, v5 :: v_dual_sub_f32 v0, v0, v4
	v_mov_b32_e32 v200, v5
	s_delay_alu instid0(VALU_DEP_3) | instskip(SKIP_1) | instid1(VALU_DEP_4)
	v_cmp_ngt_f32_e32 vcc_lo, 0xc2ce8ed0, v6
	v_mov_b32_e32 v199, v4
	v_dual_mul_f32 v11, 0x3fb8aa3b, v1 :: v_dual_mul_f32 v8, 0x3fb8aa3b, v6
	v_mul_f32_e32 v9, 0x3fb8aa3b, v0
	s_delay_alu instid0(VALU_DEP_2) | instskip(NEXT) | instid1(VALU_DEP_3)
	v_fma_f32 v18, 0x3fb8aa3b, v1, -v11
	v_fma_f32 v12, 0x3fb8aa3b, v6, -v8
	v_rndne_f32_e32 v13, v8
	s_delay_alu instid0(VALU_DEP_4) | instskip(SKIP_4) | instid1(VALU_DEP_4)
	v_fma_f32 v14, 0x3fb8aa3b, v0, -v9
	v_rndne_f32_e32 v15, v9
	v_rndne_f32_e32 v19, v11
	v_fmac_f32_e32 v12, 0x32a5705f, v6
	v_sub_f32_e32 v8, v8, v13
	v_dual_fmac_f32 v18, 0x32a5705f, v1 :: v_dual_sub_f32 v9, v9, v15
	s_delay_alu instid0(VALU_DEP_4) | instskip(NEXT) | instid1(VALU_DEP_3)
	v_dual_sub_f32 v11, v11, v19 :: v_dual_fmac_f32 v14, 0x32a5705f, v0
	v_add_f32_e32 v8, v8, v12
	v_cvt_i32_f32_e32 v12, v13
	v_cvt_i32_f32_e32 v13, v15
	s_delay_alu instid0(VALU_DEP_4) | instskip(SKIP_3) | instid1(VALU_DEP_3)
	v_dual_add_f32 v11, v11, v18 :: v_dual_mul_f32 v10, 0x3fb8aa3b, v7
	v_add_f32_e32 v9, v9, v14
	v_exp_f32_e32 v8, v8
	v_cvt_i32_f32_e32 v15, v19
	v_exp_f32_e32 v11, v11
	v_fma_f32 v16, 0x3fb8aa3b, v7, -v10
	v_exp_f32_e32 v9, v9
	v_rndne_f32_e32 v17, v10
	s_delay_alu instid0(TRANS32_DEP_3) | instskip(NEXT) | instid1(VALU_DEP_2)
	v_ldexp_f32 v8, v8, v12
	v_cvt_i32_f32_e32 v14, v17
	s_waitcnt_depctr 0xfff
	v_ldexp_f32 v11, v11, v15
	v_sub_f32_e32 v10, v10, v17
	v_ldexp_f32 v9, v9, v13
	v_cndmask_b32_e32 v8, 0, v8, vcc_lo
	v_cmp_ngt_f32_e32 vcc_lo, 0xc2ce8ed0, v0
	s_delay_alu instid0(VALU_DEP_3) | instskip(NEXT) | instid1(VALU_DEP_1)
	v_dual_fmac_f32 v16, 0x32a5705f, v7 :: v_dual_cndmask_b32 v9, 0, v9
	v_add_f32_e32 v10, v10, v16
	v_cmp_ngt_f32_e32 vcc_lo, 0xc2ce8ed0, v7
	s_delay_alu instid0(VALU_DEP_2) | instskip(SKIP_2) | instid1(VALU_DEP_1)
	v_exp_f32_e32 v10, v10
	s_waitcnt_depctr 0xfff
	v_ldexp_f32 v10, v10, v14
	v_cndmask_b32_e32 v10, 0, v10, vcc_lo
	v_cmp_ngt_f32_e32 vcc_lo, 0xc2ce8ed0, v1
	v_cndmask_b32_e32 v11, 0, v11, vcc_lo
	v_cmp_nlt_f32_e32 vcc_lo, 0x42b17218, v6
	v_cndmask_b32_e32 v6, 0x7f800000, v8, vcc_lo
	v_cmp_nlt_f32_e32 vcc_lo, 0x42b17218, v0
	s_delay_alu instid0(VALU_DEP_2) | instskip(SKIP_2) | instid1(VALU_DEP_3)
	v_cvt_f16_f32_e32 v8, v6
	v_cndmask_b32_e32 v0, 0x7f800000, v9, vcc_lo
	v_cmp_nlt_f32_e32 vcc_lo, 0x42b17218, v7
	v_pk_mul_f16 v155, v8, v155 op_sel_hi:[0,1]
	s_delay_alu instid0(VALU_DEP_3)
	v_fmac_f32_e32 v0, v2, v6
	v_cndmask_b32_e32 v7, 0x7f800000, v10, vcc_lo
	v_cmp_nlt_f32_e32 vcc_lo, 0x42b17218, v1
	v_pk_mul_f16 v157, v8, v157 op_sel_hi:[0,1]
	v_pk_mul_f16 v158, v8, v158 op_sel_hi:[0,1]
	;; [unrolled: 1-line block ×3, first 2 shown]
	v_cvt_f16_f32_e32 v2, v7
	v_cndmask_b32_e32 v1, 0x7f800000, v11, vcc_lo
	v_pk_mul_f16 v154, v8, v154 op_sel_hi:[0,1]
	v_pk_mul_f16 v156, v8, v156 op_sel_hi:[0,1]
	;; [unrolled: 1-line block ×4, first 2 shown]
	v_fmac_f32_e32 v1, v3, v7
	v_pk_mul_f16 v150, v2, v150 op_sel_hi:[0,1]
	v_pk_mul_f16 v151, v2, v151 op_sel_hi:[0,1]
	;; [unrolled: 1-line block ×4, first 2 shown]
	v_mov_b32_e32 v3, v1
	v_pk_mul_f16 v146, v2, v146 op_sel_hi:[0,1]
	v_pk_mul_f16 v147, v2, v147 op_sel_hi:[0,1]
	;; [unrolled: 1-line block ×4, first 2 shown]
	v_mov_b32_e32 v2, v0
	s_mov_b32 s2, exec_lo
	v_cmpx_gt_i32_e64 s6, v192
	s_cbranch_execnz .LBB30_32
.LBB30_30:
	s_nop 0
	s_sendmsg sendmsg(MSG_DEALLOC_VGPRS)
	s_endpgm
.LBB30_31:
	s_delay_alu instid0(VALU_DEP_1)
	v_dual_mov_b32 v0, v2 :: v_dual_mov_b32 v1, v3
	s_mov_b32 s2, exec_lo
	v_cmpx_gt_i32_e64 s6, v192
	s_cbranch_execz .LBB30_30
.LBB30_32:
	s_load_b32 s1, s[0:1], 0xd4
	v_mov_b32_e32 v6, 1.0
	s_waitcnt lgkmcnt(0)
	s_cmp_lg_u32 s1, 1
	s_cselect_b32 s3, -1, 0
	s_cmp_eq_u32 s1, 1
	s_cselect_b32 s2, -1, 0
	s_and_b32 vcc_lo, exec_lo, s3
	s_cbranch_vccnz .LBB30_34
; %bb.33:
	v_div_scale_f32 v4, null, v2, v2, 1.0
	s_delay_alu instid0(VALU_DEP_1) | instskip(SKIP_2) | instid1(VALU_DEP_1)
	v_rcp_f32_e32 v5, v4
	s_waitcnt_depctr 0xfff
	v_fma_f32 v6, -v4, v5, 1.0
	v_fmac_f32_e32 v5, v6, v5
	v_div_scale_f32 v6, vcc_lo, 1.0, v2, 1.0
	s_delay_alu instid0(VALU_DEP_1) | instskip(NEXT) | instid1(VALU_DEP_1)
	v_mul_f32_e32 v7, v6, v5
	v_fma_f32 v8, -v4, v7, v6
	s_delay_alu instid0(VALU_DEP_1) | instskip(NEXT) | instid1(VALU_DEP_1)
	v_fmac_f32_e32 v7, v8, v5
	v_fma_f32 v4, -v4, v7, v6
	s_delay_alu instid0(VALU_DEP_1) | instskip(NEXT) | instid1(VALU_DEP_1)
	v_div_fmas_f32 v4, v4, v5, v7
	v_div_fixup_f32 v6, v4, v2, 1.0
.LBB30_34:
	v_mad_u64_u32 v[4:5], null, s33, s6, v[192:193]
	v_lshrrev_b32_e32 v2, 16, v157
	v_cvt_f32_f16_e64 v7, v157
	v_cvt_f32_f16_e64 v10, v155
	v_mov_b32_e32 v20, 0
	v_lshrrev_b32_e32 v11, 16, v159
	v_cvt_f32_f16_e64 v15, v158
	v_mul_lo_u32 v4, v4, s7
	v_cvt_f32_f16_e32 v2, v2
	v_lshrrev_b32_e32 v8, 16, v155
	v_lshrrev_b32_e32 v17, 16, v156
	v_cvt_f32_f16_e32 v21, v11
	v_mul_f32_e32 v11, v6, v15
	v_cvt_f32_f16_e64 v12, v159
	v_lshrrev_b32_e32 v14, 16, v158
	v_add3_u32 v9, s12, v202, v4
	v_cvt_f32_f16_e32 v29, v17
	v_lshrrev_b32_e32 v28, 16, v154
	v_cvt_f32_f16_e64 v27, v156
	v_cvt_f32_f16_e64 v31, v152
	v_mad_u64_u32 v[4:5], null, s1, v9, s[14:15]
	v_mul_f32_e32 v9, v6, v7
	v_dual_mul_f32 v7, v6, v10 :: v_dual_mov_b32 v16, v20
	v_cvt_f32_f16_e32 v5, v8
	v_dual_mul_f32 v13, v6, v12 :: v_dual_mov_b32 v22, v20
	v_lshl_add_u32 v19, v4, 9, v201
	v_mul_f32_e32 v10, v6, v2
	s_delay_alu instid0(VALU_DEP_4)
	v_mul_f32_e32 v8, v6, v5
	v_cvt_f32_f16_e64 v5, v154
	v_cvt_f32_f16_e32 v12, v14
	v_add_nc_u32_e32 v15, 0x80, v19
	v_lshlrev_b64 v[17:18], 2, v[19:20]
	v_dual_mul_f32 v14, v6, v21 :: v_dual_add_nc_u32 v21, 0x100, v19
	v_add_nc_u32_e32 v19, 0x180, v19
	s_delay_alu instid0(VALU_DEP_4) | instskip(SKIP_2) | instid1(VALU_DEP_1)
	v_lshlrev_b64 v[15:16], 2, v[15:16]
	v_cvt_f32_f16_e32 v2, v28
	v_add_co_u32 v23, s0, s28, v17
	v_add_co_ci_u32_e64 v24, s0, s29, v18, s0
	s_delay_alu instid0(VALU_DEP_4)
	v_add_co_u32 v25, s0, s28, v15
	v_mul_f32_e32 v15, v6, v5
	v_lshrrev_b32_e32 v5, 16, v152
	v_lshlrev_b64 v[21:22], 2, v[21:22]
	v_add_co_ci_u32_e64 v26, s0, s29, v16, s0
	v_mul_f32_e32 v16, v6, v2
	v_lshrrev_b32_e32 v2, 16, v153
	v_mul_f32_e32 v18, v6, v29
	v_lshlrev_b64 v[29:30], 2, v[19:20]
	v_cvt_f32_f16_e32 v5, v5
	v_mul_f32_e32 v17, v6, v27
	v_add_co_u32 v27, s0, s28, v21
	v_cvt_f32_f16_e32 v2, v2
	v_cvt_f32_f16_e64 v21, v153
	v_cmp_eq_u32_e32 vcc_lo, 0, v193
	v_add_co_ci_u32_e64 v28, s0, s29, v22, s0
	v_mul_f32_e32 v20, v6, v5
	v_add_co_u32 v5, s0, s28, v29
	v_mul_f32_e32 v12, v6, v12
	v_mul_f32_e32 v22, v6, v2
	;; [unrolled: 1-line block ×4, first 2 shown]
	v_add_co_ci_u32_e64 v6, s0, s29, v30, s0
	s_and_b32 s0, vcc_lo, s3
	s_clause 0x3
	global_store_b128 v[23:24], v[7:10], off
	global_store_b128 v[25:26], v[11:14], off
	;; [unrolled: 1-line block ×4, first 2 shown]
	s_and_saveexec_b32 s3, s0
	s_cbranch_execz .LBB30_36
; %bb.35:
	v_ashrrev_i32_e32 v5, 31, v4
	v_dual_mov_b32 v7, v199 :: v_dual_mov_b32 v8, v0
	s_delay_alu instid0(VALU_DEP_2) | instskip(NEXT) | instid1(VALU_DEP_1)
	v_lshlrev_b64 v[5:6], 3, v[4:5]
	v_add_co_u32 v5, vcc_lo, s30, v5
	s_delay_alu instid0(VALU_DEP_2)
	v_add_co_ci_u32_e32 v6, vcc_lo, s31, v6, vcc_lo
	global_store_b64 v[5:6], v[7:8], off
.LBB30_36:
	s_or_b32 exec_lo, exec_lo, s3
	v_mov_b32_e32 v0, 1.0
	s_and_not1_b32 vcc_lo, exec_lo, s2
	s_cbranch_vccnz .LBB30_38
; %bb.37:
	v_div_scale_f32 v0, null, v3, v3, 1.0
	s_delay_alu instid0(VALU_DEP_1) | instskip(SKIP_2) | instid1(VALU_DEP_1)
	v_rcp_f32_e32 v2, v0
	s_waitcnt_depctr 0xfff
	v_fma_f32 v5, -v0, v2, 1.0
	v_fmac_f32_e32 v2, v5, v2
	v_div_scale_f32 v5, vcc_lo, 1.0, v3, 1.0
	s_delay_alu instid0(VALU_DEP_1) | instskip(NEXT) | instid1(VALU_DEP_1)
	v_mul_f32_e32 v6, v5, v2
	v_fma_f32 v7, -v0, v6, v5
	s_delay_alu instid0(VALU_DEP_1) | instskip(NEXT) | instid1(VALU_DEP_1)
	v_fmac_f32_e32 v6, v7, v2
	v_fma_f32 v0, -v0, v6, v5
	s_delay_alu instid0(VALU_DEP_1) | instskip(NEXT) | instid1(VALU_DEP_1)
	v_div_fmas_f32 v0, v0, v2, v6
	v_div_fixup_f32 v0, v0, v3, 1.0
.LBB30_38:
	v_lshrrev_b32_e32 v3, 16, v151
	v_cvt_f32_f16_e64 v6, v150
	v_add_nc_u32_e32 v2, s1, v4
	v_cvt_f32_f16_e64 v4, v151
	v_lshrrev_b32_e32 v5, 16, v150
	v_mov_b32_e32 v16, 0
	v_cvt_f32_f16_e32 v10, v3
	v_mul_f32_e32 v3, v0, v6
	v_lshl_add_u32 v15, v2, 9, v201
	v_cvt_f32_f16_e32 v11, v5
	v_mul_f32_e32 v5, v0, v4
	v_lshrrev_b32_e32 v9, 16, v149
	v_mul_f32_e32 v6, v0, v10
	v_lshlrev_b64 v[7:8], 2, v[15:16]
	v_lshrrev_b32_e32 v10, 16, v148
	v_cvt_f32_f16_e64 v13, v149
	v_cvt_f32_f16_e32 v9, v9
	v_mul_f32_e32 v4, v0, v11
	v_cvt_f32_f16_e64 v17, v148
	v_add_co_u32 v19, vcc_lo, s28, v7
	v_add_nc_u32_e32 v7, 0x80, v15
	v_add_co_ci_u32_e32 v20, vcc_lo, s29, v8, vcc_lo
	v_mov_b32_e32 v8, v16
	v_cvt_f32_f16_e32 v14, v10
	v_mul_f32_e32 v10, v0, v9
	v_mul_f32_e32 v9, v0, v13
	v_lshrrev_b32_e32 v13, 16, v147
	v_lshlrev_b64 v[11:12], 2, v[7:8]
	v_mul_f32_e32 v8, v0, v14
	v_mul_f32_e32 v7, v0, v17
	v_lshrrev_b32_e32 v14, 16, v146
	v_cvt_f32_f16_e32 v13, v13
	v_cvt_f32_f16_e64 v17, v147
	v_add_co_u32 v21, vcc_lo, s28, v11
	v_add_co_ci_u32_e32 v22, vcc_lo, s29, v12, vcc_lo
	v_add_nc_u32_e32 v11, 0x100, v15
	v_dual_mov_b32 v12, v16 :: v_dual_add_nc_u32 v15, 0x180, v15
	v_cvt_f32_f16_e32 v23, v14
	v_mul_f32_e32 v14, v0, v13
	v_mul_f32_e32 v13, v0, v17
	v_lshrrev_b32_e32 v25, 16, v144
	v_lshlrev_b64 v[17:18], 2, v[11:12]
	v_lshrrev_b32_e32 v26, 16, v145
	v_cvt_f32_f16_e64 v24, v146
	v_mul_f32_e32 v12, v0, v23
	v_cvt_f32_f16_e64 v27, v144
	v_cvt_f32_f16_e64 v29, v145
	v_add_co_u32 v23, vcc_lo, s28, v17
	v_cvt_f32_f16_e32 v17, v25
	v_cvt_f32_f16_e32 v28, v26
	v_lshlrev_b64 v[25:26], 2, v[15:16]
	v_mul_f32_e32 v11, v0, v24
	v_add_co_ci_u32_e32 v24, vcc_lo, s29, v18, vcc_lo
	v_mul_f32_e32 v18, v0, v17
	v_mul_f32_e32 v17, v0, v27
	v_add_co_u32 v25, vcc_lo, s28, v25
	v_mul_f32_e32 v16, v0, v28
	v_mul_f32_e32 v15, v0, v29
	v_add_co_ci_u32_e32 v26, vcc_lo, s29, v26, vcc_lo
	s_clause 0x3
	global_store_b128 v[19:20], v[3:6], off
	global_store_b128 v[21:22], v[7:10], off
	;; [unrolled: 1-line block ×4, first 2 shown]
	s_and_b32 exec_lo, exec_lo, s0
	s_cbranch_execz .LBB30_30
; %bb.39:
	v_ashrrev_i32_e32 v3, 31, v2
	v_mov_b32_e32 v0, v200
	s_delay_alu instid0(VALU_DEP_2) | instskip(NEXT) | instid1(VALU_DEP_1)
	v_lshlrev_b64 v[2:3], 3, v[2:3]
	v_add_co_u32 v2, vcc_lo, s30, v2
	s_delay_alu instid0(VALU_DEP_2)
	v_add_co_ci_u32_e32 v3, vcc_lo, s31, v3, vcc_lo
	global_store_b64 v[2:3], v[0:1], off
	s_nop 0
	s_sendmsg sendmsg(MSG_DEALLOC_VGPRS)
	s_endpgm
	.section	.rodata,"a",@progbits
	.p2align	6, 0x0
	.amdhsa_kernel _ZL15flash_attn_tileILi512ELi512ELi4ELi4ELb1EEvPKcS1_S1_S1_S1_PKiPfP15HIP_vector_typeIfLj2EEffffjfiS5_IjLj3EEiiiiiiiiiiiliiliiiiil
		.amdhsa_group_segment_fixed_size 27648
		.amdhsa_private_segment_fixed_size 0
		.amdhsa_kernarg_size 464
		.amdhsa_user_sgpr_count 13
		.amdhsa_user_sgpr_dispatch_ptr 0
		.amdhsa_user_sgpr_queue_ptr 0
		.amdhsa_user_sgpr_kernarg_segment_ptr 1
		.amdhsa_user_sgpr_dispatch_id 0
		.amdhsa_user_sgpr_private_segment_size 0
		.amdhsa_wavefront_size32 1
		.amdhsa_uses_dynamic_stack 0
		.amdhsa_enable_private_segment 0
		.amdhsa_system_sgpr_workgroup_id_x 1
		.amdhsa_system_sgpr_workgroup_id_y 1
		.amdhsa_system_sgpr_workgroup_id_z 1
		.amdhsa_system_sgpr_workgroup_info 0
		.amdhsa_system_vgpr_workitem_id 1
		.amdhsa_next_free_vgpr 241
		.amdhsa_next_free_sgpr 40
		.amdhsa_reserve_vcc 1
		.amdhsa_float_round_mode_32 0
		.amdhsa_float_round_mode_16_64 0
		.amdhsa_float_denorm_mode_32 3
		.amdhsa_float_denorm_mode_16_64 3
		.amdhsa_dx10_clamp 1
		.amdhsa_ieee_mode 1
		.amdhsa_fp16_overflow 0
		.amdhsa_workgroup_processor_mode 1
		.amdhsa_memory_ordered 1
		.amdhsa_forward_progress 0
		.amdhsa_shared_vgpr_count 0
		.amdhsa_exception_fp_ieee_invalid_op 0
		.amdhsa_exception_fp_denorm_src 0
		.amdhsa_exception_fp_ieee_div_zero 0
		.amdhsa_exception_fp_ieee_overflow 0
		.amdhsa_exception_fp_ieee_underflow 0
		.amdhsa_exception_fp_ieee_inexact 0
		.amdhsa_exception_int_div_zero 0
	.end_amdhsa_kernel
	.section	.text._ZL15flash_attn_tileILi512ELi512ELi4ELi4ELb1EEvPKcS1_S1_S1_S1_PKiPfP15HIP_vector_typeIfLj2EEffffjfiS5_IjLj3EEiiiiiiiiiiiliiliiiiil,"axG",@progbits,_ZL15flash_attn_tileILi512ELi512ELi4ELi4ELb1EEvPKcS1_S1_S1_S1_PKiPfP15HIP_vector_typeIfLj2EEffffjfiS5_IjLj3EEiiiiiiiiiiiliiliiiiil,comdat
.Lfunc_end30:
	.size	_ZL15flash_attn_tileILi512ELi512ELi4ELi4ELb1EEvPKcS1_S1_S1_S1_PKiPfP15HIP_vector_typeIfLj2EEffffjfiS5_IjLj3EEiiiiiiiiiiiliiliiiiil, .Lfunc_end30-_ZL15flash_attn_tileILi512ELi512ELi4ELi4ELb1EEvPKcS1_S1_S1_S1_PKiPfP15HIP_vector_typeIfLj2EEffffjfiS5_IjLj3EEiiiiiiiiiiiliiliiiiil
                                        ; -- End function
	.section	.AMDGPU.csdata,"",@progbits
; Kernel info:
; codeLenInByte = 40696
; NumSgprs: 42
; NumVgprs: 241
; ScratchSize: 0
; MemoryBound: 0
; FloatMode: 240
; IeeeMode: 1
; LDSByteSize: 27648 bytes/workgroup (compile time only)
; SGPRBlocks: 5
; VGPRBlocks: 30
; NumSGPRsForWavesPerEU: 42
; NumVGPRsForWavesPerEU: 241
; Occupancy: 5
; WaveLimiterHint : 1
; COMPUTE_PGM_RSRC2:SCRATCH_EN: 0
; COMPUTE_PGM_RSRC2:USER_SGPR: 13
; COMPUTE_PGM_RSRC2:TRAP_HANDLER: 0
; COMPUTE_PGM_RSRC2:TGID_X_EN: 1
; COMPUTE_PGM_RSRC2:TGID_Y_EN: 1
; COMPUTE_PGM_RSRC2:TGID_Z_EN: 1
; COMPUTE_PGM_RSRC2:TIDIG_COMP_CNT: 1
	.section	.text._ZL15flash_attn_tileILi512ELi512ELi2ELi4ELb1EEvPKcS1_S1_S1_S1_PKiPfP15HIP_vector_typeIfLj2EEffffjfiS5_IjLj3EEiiiiiiiiiiiliiliiiiil,"axG",@progbits,_ZL15flash_attn_tileILi512ELi512ELi2ELi4ELb1EEvPKcS1_S1_S1_S1_PKiPfP15HIP_vector_typeIfLj2EEffffjfiS5_IjLj3EEiiiiiiiiiiiliiliiiiil,comdat
	.globl	_ZL15flash_attn_tileILi512ELi512ELi2ELi4ELb1EEvPKcS1_S1_S1_S1_PKiPfP15HIP_vector_typeIfLj2EEffffjfiS5_IjLj3EEiiiiiiiiiiiliiliiiiil ; -- Begin function _ZL15flash_attn_tileILi512ELi512ELi2ELi4ELb1EEvPKcS1_S1_S1_S1_PKiPfP15HIP_vector_typeIfLj2EEffffjfiS5_IjLj3EEiiiiiiiiiiiliiliiiiil
	.p2align	8
	.type	_ZL15flash_attn_tileILi512ELi512ELi2ELi4ELb1EEvPKcS1_S1_S1_S1_PKiPfP15HIP_vector_typeIfLj2EEffffjfiS5_IjLj3EEiiiiiiiiiiiliiliiiiil,@function
_ZL15flash_attn_tileILi512ELi512ELi2ELi4ELb1EEvPKcS1_S1_S1_S1_PKiPfP15HIP_vector_typeIfLj2EEffffjfiS5_IjLj3EEiiiiiiiiiiiliiliiiiil: ; @_ZL15flash_attn_tileILi512ELi512ELi2ELi4ELb1EEvPKcS1_S1_S1_S1_PKiPfP15HIP_vector_typeIfLj2EEffffjfiS5_IjLj3EEiiiiiiiiiiiliiliiiiil
; %bb.0:
	s_clause 0x3
	s_load_b128 s[4:7], s[0:1], 0x5c
	s_load_b64 s[2:3], s[0:1], 0x80
	s_load_b512 s[16:31], s[0:1], 0x0
	s_load_b64 s[36:37], s[0:1], 0xb8
	s_mov_b64 s[34:35], 0
	s_waitcnt lgkmcnt(0)
	s_ashr_i32 s8, s7, 31
	s_delay_alu instid0(SALU_CYCLE_1) | instskip(NEXT) | instid1(SALU_CYCLE_1)
	s_lshr_b32 s8, s8, 30
	s_add_i32 s8, s7, s8
	s_delay_alu instid0(SALU_CYCLE_1) | instskip(NEXT) | instid1(SALU_CYCLE_1)
	s_ashr_i32 s8, s8, 2
	v_cvt_f32_u32_e32 v1, s8
	s_sub_i32 s10, 0, s8
	s_delay_alu instid0(VALU_DEP_1) | instskip(SKIP_2) | instid1(VALU_DEP_1)
	v_rcp_iflag_f32_e32 v1, v1
	s_waitcnt_depctr 0xfff
	v_mul_f32_e32 v1, 0x4f7ffffe, v1
	v_cvt_u32_f32_e32 v1, v1
	s_delay_alu instid0(VALU_DEP_1) | instskip(NEXT) | instid1(VALU_DEP_1)
	v_readfirstlane_b32 s9, v1
	s_mul_i32 s10, s10, s9
	s_delay_alu instid0(SALU_CYCLE_1) | instskip(NEXT) | instid1(SALU_CYCLE_1)
	s_mul_hi_u32 s10, s9, s10
	s_add_i32 s9, s9, s10
	s_delay_alu instid0(SALU_CYCLE_1) | instskip(NEXT) | instid1(SALU_CYCLE_1)
	s_mul_hi_u32 s9, s15, s9
	s_mul_i32 s10, s9, s8
	s_add_i32 s11, s9, 1
	s_sub_i32 s10, s15, s10
	s_delay_alu instid0(SALU_CYCLE_1)
	s_sub_i32 s12, s10, s8
	s_cmp_ge_u32 s10, s8
	s_cselect_b32 s9, s11, s9
	s_cselect_b32 s10, s12, s10
	s_add_i32 s11, s9, 1
	s_cmp_ge_u32 s10, s8
	s_cselect_b32 s33, s11, s9
	s_abs_i32 s8, s3
	s_lshl_b32 s11, s15, 2
	v_cvt_f32_u32_e32 v1, s8
	s_sub_i32 s10, 0, s8
	s_abs_i32 s15, s7
	s_mul_i32 s12, s33, s7
	s_xor_b32 s3, s7, s3
	v_rcp_iflag_f32_e32 v1, v1
	s_sub_i32 s12, s11, s12
	s_ashr_i32 s3, s3, 31
	s_waitcnt_depctr 0xfff
	v_mul_f32_e32 v1, 0x4f7ffffe, v1
	s_delay_alu instid0(VALU_DEP_1) | instskip(NEXT) | instid1(VALU_DEP_1)
	v_cvt_u32_f32_e32 v1, v1
	v_readfirstlane_b32 s9, v1
	s_delay_alu instid0(VALU_DEP_1) | instskip(NEXT) | instid1(SALU_CYCLE_1)
	s_mul_i32 s10, s10, s9
	s_mul_hi_u32 s10, s9, s10
	s_delay_alu instid0(SALU_CYCLE_1) | instskip(NEXT) | instid1(SALU_CYCLE_1)
	s_add_i32 s9, s9, s10
	s_mul_hi_u32 s9, s15, s9
	s_delay_alu instid0(SALU_CYCLE_1) | instskip(SKIP_2) | instid1(SALU_CYCLE_1)
	s_mul_i32 s10, s9, s8
	s_add_i32 s11, s9, 1
	s_sub_i32 s10, s15, s10
	s_sub_i32 s15, s10, s8
	s_cmp_ge_u32 s10, s8
	s_cselect_b32 s9, s11, s9
	s_cselect_b32 s10, s15, s10
	s_add_i32 s11, s9, 1
	s_cmp_ge_u32 s10, s8
	s_cselect_b32 s8, s11, s9
	s_delay_alu instid0(SALU_CYCLE_1) | instskip(NEXT) | instid1(SALU_CYCLE_1)
	s_xor_b32 s8, s8, s3
	s_sub_i32 s38, s8, s3
	s_delay_alu instid0(SALU_CYCLE_1) | instskip(SKIP_2) | instid1(VALU_DEP_1)
	s_abs_i32 s15, s38
	s_cmp_eq_u64 s[22:23], 0
	v_cvt_f32_u32_e32 v1, s15
	v_rcp_iflag_f32_e32 v1, v1
	s_waitcnt_depctr 0xfff
	v_mul_f32_e32 v1, 0x4f7ffffe, v1
	s_delay_alu instid0(VALU_DEP_1) | instskip(NEXT) | instid1(VALU_DEP_1)
	v_cvt_u32_f32_e32 v1, v1
	v_readfirstlane_b32 s39, v1
	s_cbranch_scc1 .LBB31_2
; %bb.1:
	s_abs_i32 s3, s36
	s_abs_i32 s10, s33
	v_cvt_f32_u32_e32 v1, s3
	s_sub_i32 s9, 0, s3
	s_delay_alu instid0(VALU_DEP_1) | instskip(SKIP_2) | instid1(VALU_DEP_1)
	v_rcp_iflag_f32_e32 v1, v1
	s_waitcnt_depctr 0xfff
	v_mul_f32_e32 v1, 0x4f7ffffe, v1
	v_cvt_u32_f32_e32 v1, v1
	s_delay_alu instid0(VALU_DEP_1) | instskip(NEXT) | instid1(VALU_DEP_1)
	v_readfirstlane_b32 s8, v1
	s_mul_i32 s9, s9, s8
	s_delay_alu instid0(SALU_CYCLE_1) | instskip(NEXT) | instid1(SALU_CYCLE_1)
	s_mul_hi_u32 s9, s8, s9
	s_add_i32 s11, s8, s9
	s_load_b64 s[8:9], s[0:1], 0xc8
	s_mul_hi_u32 s11, s10, s11
	s_delay_alu instid0(SALU_CYCLE_1) | instskip(NEXT) | instid1(SALU_CYCLE_1)
	s_mul_i32 s11, s11, s3
	s_sub_i32 s10, s10, s11
	s_ashr_i32 s11, s33, 31
	s_sub_i32 s34, s10, s3
	s_cmp_ge_u32 s10, s3
	s_cselect_b32 s10, s34, s10
	s_delay_alu instid0(SALU_CYCLE_1) | instskip(SKIP_2) | instid1(SALU_CYCLE_1)
	s_sub_i32 s34, s10, s3
	s_cmp_ge_u32 s10, s3
	s_cselect_b32 s3, s34, s10
	s_xor_b32 s3, s3, s11
	s_delay_alu instid0(SALU_CYCLE_1)
	s_sub_i32 s3, s3, s11
	s_waitcnt lgkmcnt(0)
	s_mul_i32 s9, s3, s9
	s_mul_hi_u32 s10, s3, s8
	s_ashr_i32 s11, s3, 31
	s_add_i32 s9, s10, s9
	s_mul_i32 s11, s11, s8
	s_mul_i32 s3, s3, s8
	s_add_i32 s9, s9, s11
	s_add_u32 s34, s22, s3
	s_addc_u32 s35, s23, s9
.LBB31_2:
	v_bfe_u32 v1, v0, 10, 10
	s_load_b128 s[8:11], s[0:1], 0x70
	s_delay_alu instid0(VALU_DEP_1) | instskip(SKIP_1) | instid1(VALU_DEP_2)
	v_lshrrev_b32_e32 v2, 2, v1
	v_and_b32_e32 v17, 3, v1
	v_lshl_add_u32 v9, s13, 1, v2
	s_delay_alu instid0(VALU_DEP_1) | instskip(SKIP_3) | instid1(VALU_DEP_1)
	v_mul_hi_u32 v2, s4, v9
	s_waitcnt lgkmcnt(0)
	s_mul_i32 s3, s33, s10
	s_mul_i32 s4, s12, s9
	v_add_nc_u32_e32 v2, v9, v2
	s_delay_alu instid0(VALU_DEP_1)
	v_lshrrev_b32_e32 v2, s5, v2
	s_ashr_i32 s5, s3, 31
	s_add_u32 s3, s16, s3
	s_addc_u32 s5, s17, s5
	s_ashr_i32 s10, s4, 31
	v_mul_lo_u32 v2, v2, s6
	s_add_u32 s3, s3, s4
	s_addc_u32 s4, s5, s10
	s_ashr_i32 s5, s9, 31
	s_ashr_i32 s10, s8, 31
	v_alignbit_b32 v5, s5, s9, 2
	v_alignbit_b32 v7, s10, s8, 2
	s_lshr_b32 s5, s5, 2
	v_sub_nc_u32_e32 v2, v9, v2
	s_delay_alu instid0(VALU_DEP_3) | instskip(NEXT) | instid1(VALU_DEP_2)
	v_mad_u64_u32 v[3:4], null, v5, v17, 0
	v_mad_u64_u32 v[5:6], null, v7, v2, 0
	s_delay_alu instid0(VALU_DEP_1) | instskip(SKIP_3) | instid1(VALU_DEP_2)
	v_mad_u64_u32 v[7:8], null, s5, v17, v[4:5]
	s_lshr_b32 s5, s10, 2
	v_and_b32_e32 v8, 0x3ff, v0
	s_cmp_eq_u64 s[26:27], 0
	v_mov_b32_e32 v4, v7
	s_delay_alu instid0(VALU_DEP_4) | instskip(NEXT) | instid1(VALU_DEP_3)
	v_mad_u64_u32 v[10:11], null, s5, v2, v[6:7]
	v_lshlrev_b32_e32 v7, 1, v8
	s_delay_alu instid0(VALU_DEP_3) | instskip(NEXT) | instid1(VALU_DEP_3)
	v_lshlrev_b64 v[3:4], 2, v[3:4]
	v_mov_b32_e32 v6, v10
	s_delay_alu instid0(VALU_DEP_2) | instskip(NEXT) | instid1(VALU_DEP_3)
	v_add_co_u32 v0, vcc_lo, s3, v3
	v_add_co_ci_u32_e32 v3, vcc_lo, s4, v4, vcc_lo
	s_delay_alu instid0(VALU_DEP_3) | instskip(SKIP_2) | instid1(VALU_DEP_2)
	v_lshlrev_b64 v[5:6], 2, v[5:6]
	v_lshlrev_b32_e32 v4, 4, v8
	s_load_b32 s3, s[0:1], 0x40
	v_add_co_u32 v0, vcc_lo, v0, v5
	s_delay_alu instid0(VALU_DEP_3) | instskip(NEXT) | instid1(VALU_DEP_2)
	v_add_co_ci_u32_e32 v3, vcc_lo, v3, v6, vcc_lo
	v_add_co_u32 v14, vcc_lo, v0, v4
	s_delay_alu instid0(VALU_DEP_2)
	v_add_co_ci_u32_e32 v15, vcc_lo, 0, v3, vcc_lo
	v_lshlrev_b32_e32 v0, 8, v1
	s_clause 0x3
	global_load_b128 v[3:6], v[14:15], off
	global_load_b128 v[10:13], v[14:15], off offset:512
	global_load_b128 v[18:21], v[14:15], off offset:1024
	;; [unrolled: 1-line block ×3, first 2 shown]
	v_add_lshl_u32 v0, v7, v0, 2
	s_delay_alu instid0(VALU_DEP_1)
	v_add_nc_u32_e32 v0, 0x2000, v0
	s_waitcnt vmcnt(3) lgkmcnt(0)
	v_fma_mixlo_f16 v14, v3, s3, 0
	v_fma_mixlo_f16 v15, v5, s3, 0
	s_waitcnt vmcnt(2)
	v_fma_mixlo_f16 v26, v10, s3, 0
	v_fma_mixlo_f16 v27, v12, s3, 0
	s_waitcnt vmcnt(1)
	;; [unrolled: 3-line block ×3, first 2 shown]
	v_fma_mixlo_f16 v30, v22, s3, 0
	v_fma_mixlo_f16 v31, v24, s3, 0
	v_fma_mixhi_f16 v15, v6, s3, 0
	v_fma_mixhi_f16 v14, v4, s3, 0
	;; [unrolled: 1-line block ×8, first 2 shown]
	s_mov_b32 s3, 0
	ds_store_2addr_b64 v0, v[14:15], v[26:27] offset0:128 offset1:160
	ds_store_2addr_b64 v0, v[28:29], v[30:31] offset0:192 offset1:224
	s_waitcnt lgkmcnt(0)
	s_barrier
	buffer_gl0_inv
	s_cbranch_scc1 .LBB31_4
; %bb.3:
	s_load_b32 s2, s[0:1], 0xd0
	s_waitcnt lgkmcnt(0)
	s_mul_i32 s2, s2, s33
	s_delay_alu instid0(SALU_CYCLE_1) | instskip(NEXT) | instid1(SALU_CYCLE_1)
	s_add_i32 s2, s2, s13
	s_lshl_b64 s[2:3], s[2:3], 2
	s_delay_alu instid0(SALU_CYCLE_1)
	s_add_u32 s2, s26, s2
	s_addc_u32 s3, s27, s3
	s_load_b32 s2, s[2:3], 0x0
.LBB31_4:
	v_lshlrev_b32_e32 v18, 2, v8
	v_mbcnt_lo_u32_b32 v16, -1, 0
	s_lshl_b32 s3, s14, 6
	s_waitcnt lgkmcnt(0)
	s_cmp_lt_i32 s3, s2
	s_cbranch_scc1 .LBB31_6
; %bb.5:
	v_mbcnt_lo_u32_b32 v10, -1, 0
	v_mov_b32_e32 v3, 32
	s_mov_b32 s4, 0
	s_mov_b32 s5, 0xfeffffff
	s_delay_alu instid0(VALU_DEP_2)
	v_xor_b32_e32 v37, 16, v10
	v_xor_b32_e32 v38, 8, v10
	;; [unrolled: 1-line block ×5, first 2 shown]
	s_branch .LBB31_7
.LBB31_6:
	s_mov_b32 s4, -1
                                        ; implicit-def: $sgpr5
                                        ; implicit-def: $vgpr10
                                        ; implicit-def: $vgpr3
                                        ; implicit-def: $vgpr37
                                        ; implicit-def: $vgpr38
                                        ; implicit-def: $vgpr39
                                        ; implicit-def: $vgpr40
                                        ; implicit-def: $vgpr41
.LBB31_7:
	s_delay_alu instid0(SALU_CYCLE_1) | instskip(SKIP_2) | instid1(VALU_DEP_3)
	v_cndmask_b32_e64 v4, 0, 1, s4
	v_dual_mov_b32 v33, s4 :: v_dual_mov_b32 v0, s4
	v_dual_mov_b32 v15, s5 :: v_dual_mov_b32 v32, s4
	v_cmp_ne_u32_e32 vcc_lo, 1, v4
	v_dual_mov_b32 v35, s4 :: v_dual_mov_b32 v34, s4
	v_dual_mov_b32 v6, s4 :: v_dual_mov_b32 v7, s4
	;; [unrolled: 1-line block ×3, first 2 shown]
	s_cbranch_vccnz .LBB31_20
; %bb.8:
	s_clause 0x1
	s_load_b128 s[8:11], s[0:1], 0x98
	s_load_b64 s[4:5], s[0:1], 0x8c
	s_sub_i32 s13, 0, s15
	s_abs_i32 s22, s12
	s_mul_i32 s13, s13, s39
	s_ashr_i32 s27, s37, 1
	s_mul_hi_u32 s13, s39, s13
	s_ashr_i32 s37, s33, 31
	s_add_i32 s39, s39, s13
	s_ashr_i32 s23, s12, 31
	s_mul_hi_u32 s36, s22, s39
	s_ashr_i32 s26, s38, 31
	s_load_b64 s[16:17], s[0:1], 0xa8
	s_mul_i32 s38, s36, s15
	v_lshrrev_b32_e32 v0, 3, v8
	v_and_b32_e32 v3, 28, v18
	v_dual_mov_b32 v36, 0xfeffffff :: v_dual_lshlrev_b32 v7, 10, v1
	v_lshl_add_u32 v23, v1, 7, 0x4400
	s_delay_alu instid0(VALU_DEP_4)
	v_lshl_add_u32 v0, v1, 2, v0
	s_waitcnt lgkmcnt(0)
	s_mul_i32 s39, s37, s8
	s_ashr_i32 s13, s4, 2
	s_mul_i32 s4, s33, s9
	s_mul_hi_u32 s9, s33, s8
	s_mul_i32 s8, s33, s8
	s_add_i32 s4, s9, s4
	s_ashr_i32 s10, s10, 2
	s_add_i32 s4, s4, s39
	s_add_u32 s9, s18, s8
	s_addc_u32 s4, s19, s4
	s_sub_i32 s8, s22, s38
	s_xor_b32 s18, s23, s26
	s_add_i32 s19, s36, 1
	s_sub_i32 s22, s8, s15
	s_cmp_ge_u32 s8, s15
	v_mul_lo_u32 v10, s10, v1
	s_cselect_b32 s19, s19, s36
	s_cselect_b32 s8, s22, s8
	s_add_i32 s22, s19, 1
	s_cmp_ge_u32 s8, s15
	v_mul_lo_u32 v5, s13, v0
	s_cselect_b32 s15, s22, s19
	v_lshlrev_b32_e32 v4, 2, v3
	s_xor_b32 s15, s15, s18
	v_ashrrev_i32_e32 v11, 31, v10
	s_sub_i32 s18, s15, s18
	s_load_b32 s8, s[0:1], 0x54
	s_mul_i32 s5, s18, s5
	s_mul_i32 s17, s33, s17
	s_mul_hi_u32 s19, s33, s16
	s_ashr_i32 s15, s5, 31
	s_add_u32 s9, s9, s5
	s_mul_i32 s37, s37, s16
	s_addc_u32 s15, s4, s15
	s_add_i32 s4, s19, s17
	s_mul_i32 s5, s33, s16
	v_mad_u32_u24 v19, 0x90, v0, v4
	v_lshlrev_b64 v[0:1], 2, v[10:11]
	s_add_i32 s4, s4, s37
	s_mul_i32 s18, s18, s11
	s_add_u32 s5, s20, s5
	v_lshl_add_u32 v13, s13, 5, v5
	s_addc_u32 s4, s21, s4
	s_ashr_i32 s11, s18, 31
	v_dual_mov_b32 v35, 0 :: v_dual_lshlrev_b32 v12, 2, v18
	s_add_u32 s5, s5, s18
	s_addc_u32 s4, s4, s11
	v_add_co_u32 v0, vcc_lo, s5, v0
	v_ashrrev_i32_e32 v6, 31, v5
	v_ashrrev_i32_e32 v14, 31, v13
	v_dual_mov_b32 v34, 0 :: v_dual_add_nc_u32 v25, v7, v12
	v_add_co_ci_u32_e32 v1, vcc_lo, s4, v1, vcc_lo
	v_mad_u64_u32 v[10:11], null, v2, s27, v[8:9]
	v_add_co_u32 v28, vcc_lo, v0, v12
	v_lshlrev_b64 v[11:12], 2, v[5:6]
	v_lshlrev_b64 v[13:14], 2, v[13:14]
	v_mov_b32_e32 v4, 0
	v_add_nc_u32_e32 v20, 0x1200, v19
	v_dual_mov_b32 v6, 0 :: v_dual_add_nc_u32 v21, 0x2400, v7
	v_mul_u32_u24_e32 v22, 0x90, v8
	v_lshl_add_u32 v24, v8, 1, v23
	v_dual_mov_b32 v33, 0 :: v_dual_add_nc_u32 v26, 0x200, v25
	v_dual_mov_b32 v32, 0 :: v_dual_lshlrev_b32 v27, 3, v8
	v_add_co_ci_u32_e32 v29, vcc_lo, 0, v1, vcc_lo
	v_dual_mov_b32 v31, 0 :: v_dual_lshlrev_b32 v30, 2, v3
	v_mov_b32_e32 v5, 0
	v_mov_b32_e32 v7, 0
	s_add_u32 s4, s0, 0xd0
	s_addc_u32 s5, s1, 0
	s_mov_b32 s11, 0xbbbac73d
.LBB31_9:                               ; =>This Inner Loop Header: Depth=1
	s_mul_hi_i32 s17, s3, s13
	s_mul_i32 s16, s3, s13
	v_mov_b32_e32 v15, 0
	s_lshl_b64 s[16:17], s[16:17], 2
	s_delay_alu instid0(SALU_CYCLE_1)
	s_add_u32 s16, s9, s16
	s_addc_u32 s17, s15, s17
	v_add_co_u32 v0, vcc_lo, s16, v11
	v_add_co_ci_u32_e32 v1, vcc_lo, s17, v12, vcc_lo
	v_add_co_u32 v2, vcc_lo, s16, v13
	v_add_co_ci_u32_e32 v3, vcc_lo, s17, v14, vcc_lo
	s_delay_alu instid0(VALU_DEP_4) | instskip(NEXT) | instid1(VALU_DEP_4)
	v_add_co_u32 v0, vcc_lo, v0, v30
	v_add_co_ci_u32_e32 v1, vcc_lo, 0, v1, vcc_lo
	s_delay_alu instid0(VALU_DEP_4) | instskip(NEXT) | instid1(VALU_DEP_4)
	v_add_co_u32 v2, vcc_lo, v2, v30
	v_add_co_ci_u32_e32 v3, vcc_lo, 0, v3, vcc_lo
	s_clause 0x1
	global_load_b128 v[37:40], v[0:1], off
	global_load_b128 v[41:44], v[2:3], off
	s_waitcnt vmcnt(1)
	ds_store_b128 v19, v[37:40]
	s_waitcnt vmcnt(0)
	ds_store_b128 v20, v[41:44]
	s_waitcnt lgkmcnt(0)
	s_barrier
	buffer_gl0_inv
	ds_load_b128 v[38:41], v22
	ds_load_b128 v[42:45], v21
	ds_load_b128 v[46:49], v22 offset:4608
	v_mov_b32_e32 v37, 0
	s_waitcnt lgkmcnt(1)
	;;#ASMSTART
	v_dot2_f32_f16 v15, v38, v42, v15
	;;#ASMEND
	;;#ASMSTART
	v_dot2_f32_f16 v15, v39, v43, v15
	;;#ASMEND
	;;#ASMSTART
	v_dot2_f32_f16 v15, v40, v44, v15
	;;#ASMEND
	;;#ASMSTART
	v_dot2_f32_f16 v15, v41, v45, v15
	;;#ASMEND
	s_waitcnt lgkmcnt(0)
	;;#ASMSTART
	v_dot2_f32_f16 v37, v46, v42, v37
	;;#ASMEND
	;;#ASMSTART
	v_dot2_f32_f16 v37, v47, v43, v37
	;;#ASMEND
	;;#ASMSTART
	v_dot2_f32_f16 v37, v48, v44, v37
	;;#ASMEND
	;;#ASMSTART
	v_dot2_f32_f16 v37, v49, v45, v37
	;;#ASMEND
	ds_load_b128 v[38:41], v22 offset:16
	ds_load_b128 v[42:45], v21 offset:16
	ds_load_b128 v[46:49], v22 offset:4624
	s_waitcnt lgkmcnt(1)
	;;#ASMSTART
	v_dot2_f32_f16 v15, v38, v42, v15
	;;#ASMEND
	;;#ASMSTART
	v_dot2_f32_f16 v15, v39, v43, v15
	;;#ASMEND
	;;#ASMSTART
	v_dot2_f32_f16 v15, v40, v44, v15
	;;#ASMEND
	;;#ASMSTART
	v_dot2_f32_f16 v15, v41, v45, v15
	;;#ASMEND
	s_waitcnt lgkmcnt(0)
	;;#ASMSTART
	v_dot2_f32_f16 v37, v46, v42, v37
	;;#ASMEND
	;;#ASMSTART
	v_dot2_f32_f16 v37, v47, v43, v37
	;;#ASMEND
	;;#ASMSTART
	v_dot2_f32_f16 v37, v48, v44, v37
	;;#ASMEND
	;;#ASMSTART
	v_dot2_f32_f16 v37, v49, v45, v37
	;;#ASMEND
	ds_load_b128 v[38:41], v22 offset:32
	ds_load_b128 v[42:45], v21 offset:32
	ds_load_b128 v[46:49], v22 offset:4640
	;; [unrolled: 29-line block ×7, first 2 shown]
	s_waitcnt lgkmcnt(1)
	;;#ASMSTART
	v_dot2_f32_f16 v15, v38, v42, v15
	;;#ASMEND
	;;#ASMSTART
	v_dot2_f32_f16 v15, v39, v43, v15
	;;#ASMEND
	;; [unrolled: 3-line block ×4, first 2 shown]
	s_waitcnt lgkmcnt(0)
	;;#ASMSTART
	v_dot2_f32_f16 v37, v46, v42, v37
	;;#ASMEND
	;;#ASMSTART
	v_dot2_f32_f16 v37, v47, v43, v37
	;;#ASMEND
	;; [unrolled: 3-line block ×4, first 2 shown]
	s_barrier
	buffer_gl0_inv
	s_clause 0x1
	global_load_b128 v[38:41], v[0:1], off offset:128
	global_load_b128 v[42:45], v[2:3], off offset:128
	s_waitcnt vmcnt(1)
	ds_store_b128 v19, v[38:41]
	s_waitcnt vmcnt(0)
	ds_store_b128 v20, v[42:45]
	s_waitcnt lgkmcnt(0)
	s_barrier
	buffer_gl0_inv
	ds_load_b128 v[38:41], v22
	ds_load_b128 v[42:45], v21 offset:128
	ds_load_b128 v[46:49], v22 offset:4608
	s_waitcnt lgkmcnt(1)
	;;#ASMSTART
	v_dot2_f32_f16 v15, v38, v42, v15
	;;#ASMEND
	;;#ASMSTART
	v_dot2_f32_f16 v15, v39, v43, v15
	;;#ASMEND
	;;#ASMSTART
	v_dot2_f32_f16 v15, v40, v44, v15
	;;#ASMEND
	;;#ASMSTART
	v_dot2_f32_f16 v15, v41, v45, v15
	;;#ASMEND
	s_waitcnt lgkmcnt(0)
	;;#ASMSTART
	v_dot2_f32_f16 v37, v46, v42, v37
	;;#ASMEND
	;;#ASMSTART
	v_dot2_f32_f16 v37, v47, v43, v37
	;;#ASMEND
	;;#ASMSTART
	v_dot2_f32_f16 v37, v48, v44, v37
	;;#ASMEND
	;;#ASMSTART
	v_dot2_f32_f16 v37, v49, v45, v37
	;;#ASMEND
	ds_load_b128 v[38:41], v22 offset:16
	ds_load_b128 v[42:45], v21 offset:144
	ds_load_b128 v[46:49], v22 offset:4624
	s_waitcnt lgkmcnt(1)
	;;#ASMSTART
	v_dot2_f32_f16 v15, v38, v42, v15
	;;#ASMEND
	;;#ASMSTART
	v_dot2_f32_f16 v15, v39, v43, v15
	;;#ASMEND
	;;#ASMSTART
	v_dot2_f32_f16 v15, v40, v44, v15
	;;#ASMEND
	;;#ASMSTART
	v_dot2_f32_f16 v15, v41, v45, v15
	;;#ASMEND
	s_waitcnt lgkmcnt(0)
	;;#ASMSTART
	v_dot2_f32_f16 v37, v46, v42, v37
	;;#ASMEND
	;;#ASMSTART
	v_dot2_f32_f16 v37, v47, v43, v37
	;;#ASMEND
	;;#ASMSTART
	v_dot2_f32_f16 v37, v48, v44, v37
	;;#ASMEND
	;;#ASMSTART
	v_dot2_f32_f16 v37, v49, v45, v37
	;;#ASMEND
	ds_load_b128 v[38:41], v22 offset:32
	;; [unrolled: 29-line block ×7, first 2 shown]
	ds_load_b128 v[42:45], v21 offset:240
	ds_load_b128 v[46:49], v22 offset:4720
	s_waitcnt lgkmcnt(1)
	;;#ASMSTART
	v_dot2_f32_f16 v15, v38, v42, v15
	;;#ASMEND
	;;#ASMSTART
	v_dot2_f32_f16 v15, v39, v43, v15
	;;#ASMEND
	;; [unrolled: 3-line block ×4, first 2 shown]
	s_waitcnt lgkmcnt(0)
	;;#ASMSTART
	v_dot2_f32_f16 v37, v46, v42, v37
	;;#ASMEND
	;;#ASMSTART
	v_dot2_f32_f16 v37, v47, v43, v37
	;;#ASMEND
	;; [unrolled: 3-line block ×4, first 2 shown]
	s_barrier
	buffer_gl0_inv
	s_clause 0x1
	global_load_b128 v[38:41], v[0:1], off offset:256
	global_load_b128 v[42:45], v[2:3], off offset:256
	s_waitcnt vmcnt(1)
	ds_store_b128 v19, v[38:41]
	s_waitcnt vmcnt(0)
	ds_store_b128 v20, v[42:45]
	s_waitcnt lgkmcnt(0)
	s_barrier
	buffer_gl0_inv
	ds_load_b128 v[38:41], v22
	ds_load_b128 v[42:45], v21 offset:256
	ds_load_b128 v[46:49], v22 offset:4608
	s_waitcnt lgkmcnt(1)
	;;#ASMSTART
	v_dot2_f32_f16 v15, v38, v42, v15
	;;#ASMEND
	;;#ASMSTART
	v_dot2_f32_f16 v15, v39, v43, v15
	;;#ASMEND
	;;#ASMSTART
	v_dot2_f32_f16 v15, v40, v44, v15
	;;#ASMEND
	;;#ASMSTART
	v_dot2_f32_f16 v15, v41, v45, v15
	;;#ASMEND
	s_waitcnt lgkmcnt(0)
	;;#ASMSTART
	v_dot2_f32_f16 v37, v46, v42, v37
	;;#ASMEND
	;;#ASMSTART
	v_dot2_f32_f16 v37, v47, v43, v37
	;;#ASMEND
	;;#ASMSTART
	v_dot2_f32_f16 v37, v48, v44, v37
	;;#ASMEND
	;;#ASMSTART
	v_dot2_f32_f16 v37, v49, v45, v37
	;;#ASMEND
	ds_load_b128 v[38:41], v22 offset:16
	ds_load_b128 v[42:45], v21 offset:272
	ds_load_b128 v[46:49], v22 offset:4624
	s_waitcnt lgkmcnt(1)
	;;#ASMSTART
	v_dot2_f32_f16 v15, v38, v42, v15
	;;#ASMEND
	;;#ASMSTART
	v_dot2_f32_f16 v15, v39, v43, v15
	;;#ASMEND
	;;#ASMSTART
	v_dot2_f32_f16 v15, v40, v44, v15
	;;#ASMEND
	;;#ASMSTART
	v_dot2_f32_f16 v15, v41, v45, v15
	;;#ASMEND
	s_waitcnt lgkmcnt(0)
	;;#ASMSTART
	v_dot2_f32_f16 v37, v46, v42, v37
	;;#ASMEND
	;;#ASMSTART
	v_dot2_f32_f16 v37, v47, v43, v37
	;;#ASMEND
	;;#ASMSTART
	v_dot2_f32_f16 v37, v48, v44, v37
	;;#ASMEND
	;;#ASMSTART
	v_dot2_f32_f16 v37, v49, v45, v37
	;;#ASMEND
	ds_load_b128 v[38:41], v22 offset:32
	;; [unrolled: 29-line block ×7, first 2 shown]
	ds_load_b128 v[42:45], v21 offset:368
	ds_load_b128 v[46:49], v22 offset:4720
	s_waitcnt lgkmcnt(1)
	;;#ASMSTART
	v_dot2_f32_f16 v15, v38, v42, v15
	;;#ASMEND
	;;#ASMSTART
	v_dot2_f32_f16 v15, v39, v43, v15
	;;#ASMEND
	;; [unrolled: 3-line block ×4, first 2 shown]
	s_waitcnt lgkmcnt(0)
	;;#ASMSTART
	v_dot2_f32_f16 v37, v46, v42, v37
	;;#ASMEND
	;;#ASMSTART
	v_dot2_f32_f16 v37, v47, v43, v37
	;;#ASMEND
	;; [unrolled: 3-line block ×4, first 2 shown]
	s_barrier
	buffer_gl0_inv
	s_clause 0x1
	global_load_b128 v[38:41], v[0:1], off offset:384
	global_load_b128 v[42:45], v[2:3], off offset:384
	s_waitcnt vmcnt(1)
	ds_store_b128 v19, v[38:41]
	s_waitcnt vmcnt(0)
	ds_store_b128 v20, v[42:45]
	s_waitcnt lgkmcnt(0)
	s_barrier
	buffer_gl0_inv
	ds_load_b128 v[38:41], v22
	ds_load_b128 v[42:45], v21 offset:384
	ds_load_b128 v[46:49], v22 offset:4608
	s_waitcnt lgkmcnt(1)
	;;#ASMSTART
	v_dot2_f32_f16 v15, v38, v42, v15
	;;#ASMEND
	;;#ASMSTART
	v_dot2_f32_f16 v15, v39, v43, v15
	;;#ASMEND
	;;#ASMSTART
	v_dot2_f32_f16 v15, v40, v44, v15
	;;#ASMEND
	;;#ASMSTART
	v_dot2_f32_f16 v15, v41, v45, v15
	;;#ASMEND
	s_waitcnt lgkmcnt(0)
	;;#ASMSTART
	v_dot2_f32_f16 v37, v46, v42, v37
	;;#ASMEND
	;;#ASMSTART
	v_dot2_f32_f16 v37, v47, v43, v37
	;;#ASMEND
	;;#ASMSTART
	v_dot2_f32_f16 v37, v48, v44, v37
	;;#ASMEND
	;;#ASMSTART
	v_dot2_f32_f16 v37, v49, v45, v37
	;;#ASMEND
	ds_load_b128 v[38:41], v22 offset:16
	ds_load_b128 v[42:45], v21 offset:400
	ds_load_b128 v[46:49], v22 offset:4624
	s_waitcnt lgkmcnt(1)
	;;#ASMSTART
	v_dot2_f32_f16 v15, v38, v42, v15
	;;#ASMEND
	;;#ASMSTART
	v_dot2_f32_f16 v15, v39, v43, v15
	;;#ASMEND
	;;#ASMSTART
	v_dot2_f32_f16 v15, v40, v44, v15
	;;#ASMEND
	;;#ASMSTART
	v_dot2_f32_f16 v15, v41, v45, v15
	;;#ASMEND
	s_waitcnt lgkmcnt(0)
	;;#ASMSTART
	v_dot2_f32_f16 v37, v46, v42, v37
	;;#ASMEND
	;;#ASMSTART
	v_dot2_f32_f16 v37, v47, v43, v37
	;;#ASMEND
	;;#ASMSTART
	v_dot2_f32_f16 v37, v48, v44, v37
	;;#ASMEND
	;;#ASMSTART
	v_dot2_f32_f16 v37, v49, v45, v37
	;;#ASMEND
	ds_load_b128 v[38:41], v22 offset:32
	;; [unrolled: 29-line block ×7, first 2 shown]
	ds_load_b128 v[42:45], v21 offset:496
	ds_load_b128 v[46:49], v22 offset:4720
	s_waitcnt lgkmcnt(1)
	;;#ASMSTART
	v_dot2_f32_f16 v15, v38, v42, v15
	;;#ASMEND
	;;#ASMSTART
	v_dot2_f32_f16 v15, v39, v43, v15
	;;#ASMEND
	;; [unrolled: 3-line block ×4, first 2 shown]
	s_waitcnt lgkmcnt(0)
	;;#ASMSTART
	v_dot2_f32_f16 v37, v46, v42, v37
	;;#ASMEND
	;;#ASMSTART
	v_dot2_f32_f16 v37, v47, v43, v37
	;;#ASMEND
	;; [unrolled: 3-line block ×4, first 2 shown]
	s_barrier
	buffer_gl0_inv
	s_clause 0x1
	global_load_b128 v[38:41], v[0:1], off offset:512
	global_load_b128 v[42:45], v[2:3], off offset:512
	s_waitcnt vmcnt(1)
	ds_store_b128 v19, v[38:41]
	s_waitcnt vmcnt(0)
	ds_store_b128 v20, v[42:45]
	s_waitcnt lgkmcnt(0)
	s_barrier
	buffer_gl0_inv
	ds_load_b128 v[38:41], v22
	ds_load_b128 v[42:45], v21 offset:512
	ds_load_b128 v[46:49], v22 offset:4608
	s_waitcnt lgkmcnt(1)
	;;#ASMSTART
	v_dot2_f32_f16 v15, v38, v42, v15
	;;#ASMEND
	;;#ASMSTART
	v_dot2_f32_f16 v15, v39, v43, v15
	;;#ASMEND
	;;#ASMSTART
	v_dot2_f32_f16 v15, v40, v44, v15
	;;#ASMEND
	;;#ASMSTART
	v_dot2_f32_f16 v15, v41, v45, v15
	;;#ASMEND
	s_waitcnt lgkmcnt(0)
	;;#ASMSTART
	v_dot2_f32_f16 v37, v46, v42, v37
	;;#ASMEND
	;;#ASMSTART
	v_dot2_f32_f16 v37, v47, v43, v37
	;;#ASMEND
	;;#ASMSTART
	v_dot2_f32_f16 v37, v48, v44, v37
	;;#ASMEND
	;;#ASMSTART
	v_dot2_f32_f16 v37, v49, v45, v37
	;;#ASMEND
	ds_load_b128 v[38:41], v22 offset:16
	ds_load_b128 v[42:45], v21 offset:528
	ds_load_b128 v[46:49], v22 offset:4624
	s_waitcnt lgkmcnt(1)
	;;#ASMSTART
	v_dot2_f32_f16 v15, v38, v42, v15
	;;#ASMEND
	;;#ASMSTART
	v_dot2_f32_f16 v15, v39, v43, v15
	;;#ASMEND
	;;#ASMSTART
	v_dot2_f32_f16 v15, v40, v44, v15
	;;#ASMEND
	;;#ASMSTART
	v_dot2_f32_f16 v15, v41, v45, v15
	;;#ASMEND
	s_waitcnt lgkmcnt(0)
	;;#ASMSTART
	v_dot2_f32_f16 v37, v46, v42, v37
	;;#ASMEND
	;;#ASMSTART
	v_dot2_f32_f16 v37, v47, v43, v37
	;;#ASMEND
	;;#ASMSTART
	v_dot2_f32_f16 v37, v48, v44, v37
	;;#ASMEND
	;;#ASMSTART
	v_dot2_f32_f16 v37, v49, v45, v37
	;;#ASMEND
	ds_load_b128 v[38:41], v22 offset:32
	;; [unrolled: 29-line block ×7, first 2 shown]
	ds_load_b128 v[42:45], v21 offset:624
	ds_load_b128 v[46:49], v22 offset:4720
	s_waitcnt lgkmcnt(1)
	;;#ASMSTART
	v_dot2_f32_f16 v15, v38, v42, v15
	;;#ASMEND
	;;#ASMSTART
	v_dot2_f32_f16 v15, v39, v43, v15
	;;#ASMEND
	;; [unrolled: 3-line block ×4, first 2 shown]
	s_waitcnt lgkmcnt(0)
	;;#ASMSTART
	v_dot2_f32_f16 v37, v46, v42, v37
	;;#ASMEND
	;;#ASMSTART
	v_dot2_f32_f16 v37, v47, v43, v37
	;;#ASMEND
	;; [unrolled: 3-line block ×4, first 2 shown]
	s_barrier
	buffer_gl0_inv
	s_clause 0x1
	global_load_b128 v[38:41], v[0:1], off offset:640
	global_load_b128 v[42:45], v[2:3], off offset:640
	s_waitcnt vmcnt(1)
	ds_store_b128 v19, v[38:41]
	s_waitcnt vmcnt(0)
	ds_store_b128 v20, v[42:45]
	s_waitcnt lgkmcnt(0)
	s_barrier
	buffer_gl0_inv
	ds_load_b128 v[38:41], v22
	ds_load_b128 v[42:45], v21 offset:640
	ds_load_b128 v[46:49], v22 offset:4608
	s_waitcnt lgkmcnt(1)
	;;#ASMSTART
	v_dot2_f32_f16 v15, v38, v42, v15
	;;#ASMEND
	;;#ASMSTART
	v_dot2_f32_f16 v15, v39, v43, v15
	;;#ASMEND
	;;#ASMSTART
	v_dot2_f32_f16 v15, v40, v44, v15
	;;#ASMEND
	;;#ASMSTART
	v_dot2_f32_f16 v15, v41, v45, v15
	;;#ASMEND
	s_waitcnt lgkmcnt(0)
	;;#ASMSTART
	v_dot2_f32_f16 v37, v46, v42, v37
	;;#ASMEND
	;;#ASMSTART
	v_dot2_f32_f16 v37, v47, v43, v37
	;;#ASMEND
	;;#ASMSTART
	v_dot2_f32_f16 v37, v48, v44, v37
	;;#ASMEND
	;;#ASMSTART
	v_dot2_f32_f16 v37, v49, v45, v37
	;;#ASMEND
	ds_load_b128 v[38:41], v22 offset:16
	ds_load_b128 v[42:45], v21 offset:656
	ds_load_b128 v[46:49], v22 offset:4624
	s_waitcnt lgkmcnt(1)
	;;#ASMSTART
	v_dot2_f32_f16 v15, v38, v42, v15
	;;#ASMEND
	;;#ASMSTART
	v_dot2_f32_f16 v15, v39, v43, v15
	;;#ASMEND
	;;#ASMSTART
	v_dot2_f32_f16 v15, v40, v44, v15
	;;#ASMEND
	;;#ASMSTART
	v_dot2_f32_f16 v15, v41, v45, v15
	;;#ASMEND
	s_waitcnt lgkmcnt(0)
	;;#ASMSTART
	v_dot2_f32_f16 v37, v46, v42, v37
	;;#ASMEND
	;;#ASMSTART
	v_dot2_f32_f16 v37, v47, v43, v37
	;;#ASMEND
	;;#ASMSTART
	v_dot2_f32_f16 v37, v48, v44, v37
	;;#ASMEND
	;;#ASMSTART
	v_dot2_f32_f16 v37, v49, v45, v37
	;;#ASMEND
	ds_load_b128 v[38:41], v22 offset:32
	;; [unrolled: 29-line block ×7, first 2 shown]
	ds_load_b128 v[42:45], v21 offset:752
	ds_load_b128 v[46:49], v22 offset:4720
	s_waitcnt lgkmcnt(1)
	;;#ASMSTART
	v_dot2_f32_f16 v15, v38, v42, v15
	;;#ASMEND
	;;#ASMSTART
	v_dot2_f32_f16 v15, v39, v43, v15
	;;#ASMEND
	;; [unrolled: 3-line block ×4, first 2 shown]
	s_waitcnt lgkmcnt(0)
	;;#ASMSTART
	v_dot2_f32_f16 v37, v46, v42, v37
	;;#ASMEND
	;;#ASMSTART
	v_dot2_f32_f16 v37, v47, v43, v37
	;;#ASMEND
	;; [unrolled: 3-line block ×4, first 2 shown]
	s_barrier
	buffer_gl0_inv
	s_clause 0x1
	global_load_b128 v[38:41], v[0:1], off offset:768
	global_load_b128 v[42:45], v[2:3], off offset:768
	s_waitcnt vmcnt(1)
	ds_store_b128 v19, v[38:41]
	s_waitcnt vmcnt(0)
	ds_store_b128 v20, v[42:45]
	s_waitcnt lgkmcnt(0)
	s_barrier
	buffer_gl0_inv
	ds_load_b128 v[38:41], v22
	ds_load_b128 v[42:45], v21 offset:768
	ds_load_b128 v[46:49], v22 offset:4608
	s_waitcnt lgkmcnt(1)
	;;#ASMSTART
	v_dot2_f32_f16 v15, v38, v42, v15
	;;#ASMEND
	;;#ASMSTART
	v_dot2_f32_f16 v15, v39, v43, v15
	;;#ASMEND
	;;#ASMSTART
	v_dot2_f32_f16 v15, v40, v44, v15
	;;#ASMEND
	;;#ASMSTART
	v_dot2_f32_f16 v15, v41, v45, v15
	;;#ASMEND
	s_waitcnt lgkmcnt(0)
	;;#ASMSTART
	v_dot2_f32_f16 v37, v46, v42, v37
	;;#ASMEND
	;;#ASMSTART
	v_dot2_f32_f16 v37, v47, v43, v37
	;;#ASMEND
	;;#ASMSTART
	v_dot2_f32_f16 v37, v48, v44, v37
	;;#ASMEND
	;;#ASMSTART
	v_dot2_f32_f16 v37, v49, v45, v37
	;;#ASMEND
	ds_load_b128 v[38:41], v22 offset:16
	ds_load_b128 v[42:45], v21 offset:784
	ds_load_b128 v[46:49], v22 offset:4624
	s_waitcnt lgkmcnt(1)
	;;#ASMSTART
	v_dot2_f32_f16 v15, v38, v42, v15
	;;#ASMEND
	;;#ASMSTART
	v_dot2_f32_f16 v15, v39, v43, v15
	;;#ASMEND
	;;#ASMSTART
	v_dot2_f32_f16 v15, v40, v44, v15
	;;#ASMEND
	;;#ASMSTART
	v_dot2_f32_f16 v15, v41, v45, v15
	;;#ASMEND
	s_waitcnt lgkmcnt(0)
	;;#ASMSTART
	v_dot2_f32_f16 v37, v46, v42, v37
	;;#ASMEND
	;;#ASMSTART
	v_dot2_f32_f16 v37, v47, v43, v37
	;;#ASMEND
	;;#ASMSTART
	v_dot2_f32_f16 v37, v48, v44, v37
	;;#ASMEND
	;;#ASMSTART
	v_dot2_f32_f16 v37, v49, v45, v37
	;;#ASMEND
	ds_load_b128 v[38:41], v22 offset:32
	ds_load_b128 v[42:45], v21 offset:800
	ds_load_b128 v[46:49], v22 offset:4640
	s_waitcnt lgkmcnt(1)
	;;#ASMSTART
	v_dot2_f32_f16 v15, v38, v42, v15
	;;#ASMEND
	;;#ASMSTART
	v_dot2_f32_f16 v15, v39, v43, v15
	;;#ASMEND
	;;#ASMSTART
	v_dot2_f32_f16 v15, v40, v44, v15
	;;#ASMEND
	;;#ASMSTART
	v_dot2_f32_f16 v15, v41, v45, v15
	;;#ASMEND
	s_waitcnt lgkmcnt(0)
	;;#ASMSTART
	v_dot2_f32_f16 v37, v46, v42, v37
	;;#ASMEND
	;;#ASMSTART
	v_dot2_f32_f16 v37, v47, v43, v37
	;;#ASMEND
	;;#ASMSTART
	v_dot2_f32_f16 v37, v48, v44, v37
	;;#ASMEND
	;;#ASMSTART
	v_dot2_f32_f16 v37, v49, v45, v37
	;;#ASMEND
	ds_load_b128 v[38:41], v22 offset:48
	ds_load_b128 v[42:45], v21 offset:816
	ds_load_b128 v[46:49], v22 offset:4656
	s_waitcnt lgkmcnt(1)
	;;#ASMSTART
	v_dot2_f32_f16 v15, v38, v42, v15
	;;#ASMEND
	;;#ASMSTART
	v_dot2_f32_f16 v15, v39, v43, v15
	;;#ASMEND
	;;#ASMSTART
	v_dot2_f32_f16 v15, v40, v44, v15
	;;#ASMEND
	;;#ASMSTART
	v_dot2_f32_f16 v15, v41, v45, v15
	;;#ASMEND
	s_waitcnt lgkmcnt(0)
	;;#ASMSTART
	v_dot2_f32_f16 v37, v46, v42, v37
	;;#ASMEND
	;;#ASMSTART
	v_dot2_f32_f16 v37, v47, v43, v37
	;;#ASMEND
	;;#ASMSTART
	v_dot2_f32_f16 v37, v48, v44, v37
	;;#ASMEND
	;;#ASMSTART
	v_dot2_f32_f16 v37, v49, v45, v37
	;;#ASMEND
	ds_load_b128 v[38:41], v22 offset:64
	ds_load_b128 v[42:45], v21 offset:832
	ds_load_b128 v[46:49], v22 offset:4672
	s_waitcnt lgkmcnt(1)
	;;#ASMSTART
	v_dot2_f32_f16 v15, v38, v42, v15
	;;#ASMEND
	;;#ASMSTART
	v_dot2_f32_f16 v15, v39, v43, v15
	;;#ASMEND
	;;#ASMSTART
	v_dot2_f32_f16 v15, v40, v44, v15
	;;#ASMEND
	;;#ASMSTART
	v_dot2_f32_f16 v15, v41, v45, v15
	;;#ASMEND
	s_waitcnt lgkmcnt(0)
	;;#ASMSTART
	v_dot2_f32_f16 v37, v46, v42, v37
	;;#ASMEND
	;;#ASMSTART
	v_dot2_f32_f16 v37, v47, v43, v37
	;;#ASMEND
	;;#ASMSTART
	v_dot2_f32_f16 v37, v48, v44, v37
	;;#ASMEND
	;;#ASMSTART
	v_dot2_f32_f16 v37, v49, v45, v37
	;;#ASMEND
	ds_load_b128 v[38:41], v22 offset:80
	ds_load_b128 v[42:45], v21 offset:848
	ds_load_b128 v[46:49], v22 offset:4688
	s_waitcnt lgkmcnt(1)
	;;#ASMSTART
	v_dot2_f32_f16 v15, v38, v42, v15
	;;#ASMEND
	;;#ASMSTART
	v_dot2_f32_f16 v15, v39, v43, v15
	;;#ASMEND
	;;#ASMSTART
	v_dot2_f32_f16 v15, v40, v44, v15
	;;#ASMEND
	;;#ASMSTART
	v_dot2_f32_f16 v15, v41, v45, v15
	;;#ASMEND
	s_waitcnt lgkmcnt(0)
	;;#ASMSTART
	v_dot2_f32_f16 v37, v46, v42, v37
	;;#ASMEND
	;;#ASMSTART
	v_dot2_f32_f16 v37, v47, v43, v37
	;;#ASMEND
	;;#ASMSTART
	v_dot2_f32_f16 v37, v48, v44, v37
	;;#ASMEND
	;;#ASMSTART
	v_dot2_f32_f16 v37, v49, v45, v37
	;;#ASMEND
	ds_load_b128 v[38:41], v22 offset:96
	ds_load_b128 v[42:45], v21 offset:864
	ds_load_b128 v[46:49], v22 offset:4704
	s_waitcnt lgkmcnt(1)
	;;#ASMSTART
	v_dot2_f32_f16 v15, v38, v42, v15
	;;#ASMEND
	;;#ASMSTART
	v_dot2_f32_f16 v15, v39, v43, v15
	;;#ASMEND
	;;#ASMSTART
	v_dot2_f32_f16 v15, v40, v44, v15
	;;#ASMEND
	;;#ASMSTART
	v_dot2_f32_f16 v15, v41, v45, v15
	;;#ASMEND
	s_waitcnt lgkmcnt(0)
	;;#ASMSTART
	v_dot2_f32_f16 v37, v46, v42, v37
	;;#ASMEND
	;;#ASMSTART
	v_dot2_f32_f16 v37, v47, v43, v37
	;;#ASMEND
	;;#ASMSTART
	v_dot2_f32_f16 v37, v48, v44, v37
	;;#ASMEND
	;;#ASMSTART
	v_dot2_f32_f16 v37, v49, v45, v37
	;;#ASMEND
	ds_load_b128 v[38:41], v22 offset:112
	ds_load_b128 v[42:45], v21 offset:880
	ds_load_b128 v[46:49], v22 offset:4720
	s_waitcnt lgkmcnt(1)
	;;#ASMSTART
	v_dot2_f32_f16 v15, v38, v42, v15
	;;#ASMEND
	;;#ASMSTART
	v_dot2_f32_f16 v15, v39, v43, v15
	;;#ASMEND
	;; [unrolled: 3-line block ×4, first 2 shown]
	s_waitcnt lgkmcnt(0)
	;;#ASMSTART
	v_dot2_f32_f16 v37, v46, v42, v37
	;;#ASMEND
	;;#ASMSTART
	v_dot2_f32_f16 v37, v47, v43, v37
	;;#ASMEND
	;; [unrolled: 3-line block ×4, first 2 shown]
	s_barrier
	buffer_gl0_inv
	s_clause 0x1
	global_load_b128 v[38:41], v[0:1], off offset:896
	global_load_b128 v[0:3], v[2:3], off offset:896
	s_waitcnt vmcnt(1)
	ds_store_b128 v19, v[38:41]
	s_waitcnt vmcnt(0)
	ds_store_b128 v20, v[0:3]
	s_waitcnt lgkmcnt(0)
	s_barrier
	buffer_gl0_inv
	ds_load_b128 v[0:3], v22
	ds_load_b128 v[38:41], v21 offset:896
	ds_load_b128 v[42:45], v22 offset:4608
	s_waitcnt lgkmcnt(1)
	;;#ASMSTART
	v_dot2_f32_f16 v15, v0, v38, v15
	;;#ASMEND
	;;#ASMSTART
	v_dot2_f32_f16 v15, v1, v39, v15
	;;#ASMEND
	;;#ASMSTART
	v_dot2_f32_f16 v15, v2, v40, v15
	;;#ASMEND
	;;#ASMSTART
	v_dot2_f32_f16 v15, v3, v41, v15
	;;#ASMEND
	s_waitcnt lgkmcnt(0)
	;;#ASMSTART
	v_dot2_f32_f16 v37, v42, v38, v37
	;;#ASMEND
	;;#ASMSTART
	v_dot2_f32_f16 v37, v43, v39, v37
	;;#ASMEND
	;;#ASMSTART
	v_dot2_f32_f16 v37, v44, v40, v37
	;;#ASMEND
	;;#ASMSTART
	v_dot2_f32_f16 v37, v45, v41, v37
	;;#ASMEND
	ds_load_b128 v[0:3], v22 offset:16
	ds_load_b128 v[38:41], v21 offset:912
	ds_load_b128 v[42:45], v22 offset:4624
	s_waitcnt lgkmcnt(1)
	;;#ASMSTART
	v_dot2_f32_f16 v15, v0, v38, v15
	;;#ASMEND
	;;#ASMSTART
	v_dot2_f32_f16 v15, v1, v39, v15
	;;#ASMEND
	;;#ASMSTART
	v_dot2_f32_f16 v15, v2, v40, v15
	;;#ASMEND
	;;#ASMSTART
	v_dot2_f32_f16 v15, v3, v41, v15
	;;#ASMEND
	s_waitcnt lgkmcnt(0)
	;;#ASMSTART
	v_dot2_f32_f16 v37, v42, v38, v37
	;;#ASMEND
	;;#ASMSTART
	v_dot2_f32_f16 v37, v43, v39, v37
	;;#ASMEND
	;;#ASMSTART
	v_dot2_f32_f16 v37, v44, v40, v37
	;;#ASMEND
	;;#ASMSTART
	v_dot2_f32_f16 v37, v45, v41, v37
	;;#ASMEND
	ds_load_b128 v[0:3], v22 offset:32
	;; [unrolled: 29-line block ×7, first 2 shown]
	ds_load_b128 v[38:41], v21 offset:1008
	ds_load_b128 v[42:45], v22 offset:4720
	s_waitcnt lgkmcnt(1)
	;;#ASMSTART
	v_dot2_f32_f16 v15, v0, v38, v15
	;;#ASMEND
	;;#ASMSTART
	v_dot2_f32_f16 v15, v1, v39, v15
	;;#ASMEND
	;; [unrolled: 3-line block ×4, first 2 shown]
	v_cmp_ngt_f32_e64 s16, 0x3f200000, |v15|
	s_waitcnt lgkmcnt(0)
	;;#ASMSTART
	v_dot2_f32_f16 v37, v42, v38, v37
	;;#ASMEND
	;;#ASMSTART
	v_dot2_f32_f16 v37, v43, v39, v37
	;;#ASMEND
	;;#ASMSTART
	v_dot2_f32_f16 v37, v44, v40, v37
	;;#ASMEND
	;;#ASMSTART
	v_dot2_f32_f16 v37, v45, v41, v37
	;;#ASMEND
                                        ; implicit-def: $vgpr2
	s_and_saveexec_b32 s17, s16
	s_delay_alu instid0(SALU_CYCLE_1)
	s_xor_b32 s16, exec_lo, s17
	s_cbranch_execz .LBB31_11
; %bb.10:                               ;   in Loop: Header=BB31_9 Depth=1
	v_add_f32_e64 v0, |v15|, |v15|
	s_delay_alu instid0(VALU_DEP_1) | instskip(SKIP_1) | instid1(VALU_DEP_2)
	v_mul_f32_e32 v1, 0x3fb8aa3b, v0
	v_cmp_ngt_f32_e32 vcc_lo, 0xc2ce8ed0, v0
	v_rndne_f32_e32 v2, v1
	v_fma_f32 v3, 0x3fb8aa3b, v0, -v1
	s_delay_alu instid0(VALU_DEP_2) | instskip(NEXT) | instid1(VALU_DEP_2)
	v_sub_f32_e32 v1, v1, v2
	v_fmac_f32_e32 v3, 0x32a5705f, v0
	v_cvt_i32_f32_e32 v2, v2
	s_delay_alu instid0(VALU_DEP_2) | instskip(NEXT) | instid1(VALU_DEP_1)
	v_add_f32_e32 v1, v1, v3
	v_exp_f32_e32 v1, v1
	s_waitcnt_depctr 0xfff
	v_ldexp_f32 v1, v1, v2
	s_delay_alu instid0(VALU_DEP_1) | instskip(SKIP_1) | instid1(VALU_DEP_2)
	v_cndmask_b32_e32 v1, 0, v1, vcc_lo
	v_cmp_nlt_f32_e32 vcc_lo, 0x42b17218, v0
	v_cndmask_b32_e32 v0, 0x7f800000, v1, vcc_lo
	s_delay_alu instid0(VALU_DEP_1) | instskip(NEXT) | instid1(VALU_DEP_1)
	v_add_f32_e32 v0, 1.0, v0
	v_rcp_f32_e32 v0, v0
	s_waitcnt_depctr 0xfff
	v_fma_f32 v2, v0, -2.0, 1.0
.LBB31_11:                              ;   in Loop: Header=BB31_9 Depth=1
	s_and_not1_saveexec_b32 s16, s16
; %bb.12:                               ;   in Loop: Header=BB31_9 Depth=1
	v_mul_f32_e32 v0, v15, v15
	s_delay_alu instid0(VALU_DEP_1) | instskip(NEXT) | instid1(VALU_DEP_1)
	v_fmaak_f32 v1, s11, v0, 0x3ca908c9
	v_fmaak_f32 v1, v0, v1, 0xbd5c1c4e
	s_delay_alu instid0(VALU_DEP_1) | instskip(NEXT) | instid1(VALU_DEP_1)
	v_fmaak_f32 v1, v0, v1, 0x3e088382
	v_fmaak_f32 v1, v0, v1, 0xbeaaaa99
	s_delay_alu instid0(VALU_DEP_1) | instskip(NEXT) | instid1(VALU_DEP_1)
	v_mul_f32_e64 v1, |v15|, v1
	v_fma_f32 v2, v0, v1, |v15|
; %bb.13:                               ;   in Loop: Header=BB31_9 Depth=1
	s_or_b32 exec_lo, exec_lo, s16
	v_add_nc_u32_e32 v0, s3, v10
	v_cmp_ngt_f32_e64 s16, 0x3f200000, |v37|
                                        ; implicit-def: $vgpr38
	s_delay_alu instid0(VALU_DEP_2) | instskip(NEXT) | instid1(VALU_DEP_1)
	v_ashrrev_i32_e32 v1, 31, v0
	v_lshlrev_b64 v[0:1], 1, v[0:1]
	s_delay_alu instid0(VALU_DEP_1) | instskip(NEXT) | instid1(VALU_DEP_2)
	v_add_co_u32 v0, vcc_lo, s34, v0
	v_add_co_ci_u32_e32 v1, vcc_lo, s35, v1, vcc_lo
	flat_load_u16 v3, v[0:1]
	s_and_saveexec_b32 s17, s16
	s_delay_alu instid0(SALU_CYCLE_1)
	s_xor_b32 s16, exec_lo, s17
	s_cbranch_execz .LBB31_15
; %bb.14:                               ;   in Loop: Header=BB31_9 Depth=1
	v_add_f32_e64 v38, |v37|, |v37|
	s_delay_alu instid0(VALU_DEP_1) | instskip(SKIP_1) | instid1(VALU_DEP_2)
	v_mul_f32_e32 v39, 0x3fb8aa3b, v38
	v_cmp_ngt_f32_e32 vcc_lo, 0xc2ce8ed0, v38
	v_rndne_f32_e32 v40, v39
	v_fma_f32 v41, 0x3fb8aa3b, v38, -v39
	s_delay_alu instid0(VALU_DEP_2) | instskip(NEXT) | instid1(VALU_DEP_2)
	v_sub_f32_e32 v39, v39, v40
	v_fmac_f32_e32 v41, 0x32a5705f, v38
	v_cvt_i32_f32_e32 v40, v40
	s_delay_alu instid0(VALU_DEP_2) | instskip(NEXT) | instid1(VALU_DEP_1)
	v_add_f32_e32 v39, v39, v41
	v_exp_f32_e32 v39, v39
	s_waitcnt_depctr 0xfff
	v_ldexp_f32 v39, v39, v40
	s_delay_alu instid0(VALU_DEP_1) | instskip(SKIP_1) | instid1(VALU_DEP_2)
	v_cndmask_b32_e32 v39, 0, v39, vcc_lo
	v_cmp_nlt_f32_e32 vcc_lo, 0x42b17218, v38
	v_cndmask_b32_e32 v38, 0x7f800000, v39, vcc_lo
	s_delay_alu instid0(VALU_DEP_1) | instskip(NEXT) | instid1(VALU_DEP_1)
	v_add_f32_e32 v38, 1.0, v38
	v_rcp_f32_e32 v38, v38
	s_waitcnt_depctr 0xfff
	v_fma_f32 v38, v38, -2.0, 1.0
.LBB31_15:                              ;   in Loop: Header=BB31_9 Depth=1
	s_and_not1_saveexec_b32 s16, s16
; %bb.16:                               ;   in Loop: Header=BB31_9 Depth=1
	v_mul_f32_e32 v38, v37, v37
	s_delay_alu instid0(VALU_DEP_1) | instskip(NEXT) | instid1(VALU_DEP_1)
	v_fmaak_f32 v39, s11, v38, 0x3ca908c9
	v_fmaak_f32 v39, v38, v39, 0xbd5c1c4e
	s_delay_alu instid0(VALU_DEP_1) | instskip(NEXT) | instid1(VALU_DEP_1)
	v_fmaak_f32 v39, v38, v39, 0x3e088382
	v_fmaak_f32 v39, v38, v39, 0xbeaaaa99
	s_delay_alu instid0(VALU_DEP_1) | instskip(NEXT) | instid1(VALU_DEP_1)
	v_mul_f32_e64 v39, |v37|, v39
	v_fma_f32 v38, v38, v39, |v37|
; %bb.17:                               ;   in Loop: Header=BB31_9 Depth=1
	s_or_b32 exec_lo, exec_lo, s16
	flat_load_u16 v39, v[0:1] offset:64
	s_mul_hi_i32 s17, s3, s10
	s_mul_i32 s16, s3, s10
	s_waitcnt vmcnt(0) lgkmcnt(0)
	s_lshl_b64 s[16:17], s[16:17], 2
	s_barrier
	v_add_co_u32 v0, vcc_lo, v28, s16
	v_add_co_ci_u32_e32 v1, vcc_lo, s17, v29, vcc_lo
	buffer_gl0_inv
	s_clause 0x1
	global_load_b128 v[47:50], v[0:1], off
	global_load_b128 v[51:54], v[0:1], off offset:512
	v_bfi_b32 v0, 0x7fffffff, v2, v15
	v_bfi_b32 v1, 0x7fffffff, v38, v37
	v_xor_b32_e32 v37, 16, v16
	v_xor_b32_e32 v38, 8, v16
	;; [unrolled: 1-line block ×3, first 2 shown]
	v_fma_mix_f32 v0, v0, s8, v3 op_sel_hi:[0,0,1]
	v_xor_b32_e32 v41, 1, v16
	v_cmp_gt_i32_e32 vcc_lo, 32, v37
	s_or_b32 s16, s3, 8
	s_delay_alu instid0(VALU_DEP_3) | instskip(SKIP_4) | instid1(SALU_CYCLE_1)
	v_add_f32_e32 v3, 0x40051340, v0
	s_mul_hi_i32 s17, s16, s10
	v_cndmask_b32_e32 v2, v16, v37, vcc_lo
	v_cmp_gt_i32_e32 vcc_lo, 32, v38
	s_mul_i32 s16, s16, s10
	s_lshl_b64 s[16:17], s[16:17], 2
	s_delay_alu instid0(VALU_DEP_2) | instskip(SKIP_2) | instid1(VALU_DEP_2)
	v_lshlrev_b32_e32 v2, 2, v2
	v_fma_mix_f32 v1, v1, s8, v39 op_sel_hi:[0,0,1]
	v_xor_b32_e32 v39, 4, v16
	v_add_f32_e32 v15, 0x40051340, v1
	s_delay_alu instid0(VALU_DEP_1) | instskip(SKIP_3) | instid1(VALU_DEP_1)
	v_max3_f32 v3, v36, v3, v15
	ds_bpermute_b32 v2, v2, v3
	s_waitcnt lgkmcnt(0)
	v_max_f32_e32 v2, v2, v2
	v_max_f32_e32 v2, v3, v2
	v_cndmask_b32_e32 v15, v16, v38, vcc_lo
	v_cmp_gt_i32_e32 vcc_lo, 32, v39
	s_delay_alu instid0(VALU_DEP_2) | instskip(SKIP_3) | instid1(VALU_DEP_2)
	v_lshlrev_b32_e32 v15, 2, v15
	ds_bpermute_b32 v3, v15, v2
	v_cndmask_b32_e32 v15, v16, v39, vcc_lo
	v_cmp_gt_i32_e32 vcc_lo, 32, v40
	v_lshlrev_b32_e32 v15, 2, v15
	s_waitcnt lgkmcnt(0)
	v_max_f32_e32 v3, v3, v3
	s_delay_alu instid0(VALU_DEP_1)
	v_max_f32_e32 v2, v2, v3
	ds_bpermute_b32 v3, v15, v2
	s_waitcnt lgkmcnt(0)
	v_max_f32_e32 v3, v3, v3
	v_cndmask_b32_e32 v15, v16, v40, vcc_lo
	v_cmp_gt_i32_e32 vcc_lo, 32, v41
	s_delay_alu instid0(VALU_DEP_3) | instskip(NEXT) | instid1(VALU_DEP_3)
	v_max_f32_e32 v2, v2, v3
	v_lshlrev_b32_e32 v15, 2, v15
	ds_bpermute_b32 v3, v15, v2
	s_waitcnt lgkmcnt(0)
	v_max_f32_e32 v3, v3, v3
	s_delay_alu instid0(VALU_DEP_1) | instskip(NEXT) | instid1(VALU_DEP_1)
	v_dual_cndmask_b32 v15, v16, v41 :: v_dual_max_f32 v2, v2, v3
	v_lshlrev_b32_e32 v15, 2, v15
	ds_bpermute_b32 v3, v15, v2
	s_waitcnt lgkmcnt(0)
	v_max_f32_e32 v3, v3, v3
	s_delay_alu instid0(VALU_DEP_1) | instskip(NEXT) | instid1(VALU_DEP_1)
	v_max_f32_e32 v15, v2, v3
	v_sub_f32_e32 v1, v1, v15
	v_sub_f32_e32 v0, v0, v15
	s_delay_alu instid0(VALU_DEP_2) | instskip(NEXT) | instid1(VALU_DEP_2)
	v_dual_sub_f32 v36, v36, v15 :: v_dual_mul_f32 v3, 0x3fb8aa3b, v1
	v_mul_f32_e32 v2, 0x3fb8aa3b, v0
	v_cmp_ngt_f32_e32 vcc_lo, 0xc2ce8ed0, v0
	s_delay_alu instid0(VALU_DEP_3) | instskip(NEXT) | instid1(VALU_DEP_4)
	v_mul_f32_e32 v119, 0x3fb8aa3b, v36
	v_fma_f32 v44, 0x3fb8aa3b, v1, -v3
	s_delay_alu instid0(VALU_DEP_4)
	v_fma_f32 v42, 0x3fb8aa3b, v0, -v2
	v_rndne_f32_e32 v43, v2
	v_rndne_f32_e32 v45, v3
	v_fma_f32 v120, 0x3fb8aa3b, v36, -v119
	v_fmac_f32_e32 v44, 0x32a5705f, v1
	v_fmac_f32_e32 v42, 0x32a5705f, v0
	s_delay_alu instid0(VALU_DEP_4) | instskip(SKIP_3) | instid1(VALU_DEP_4)
	v_dual_sub_f32 v2, v2, v43 :: v_dual_sub_f32 v3, v3, v45
	v_cvt_i32_f32_e32 v45, v45
	v_rndne_f32_e32 v121, v119
	v_fmac_f32_e32 v120, 0x32a5705f, v36
	v_dual_add_f32 v2, v2, v42 :: v_dual_add_f32 v3, v3, v44
	v_add_nc_u32_e32 v44, 0x800, v27
	v_cvt_i32_f32_e32 v42, v43
	v_sub_f32_e32 v119, v119, v121
	s_delay_alu instid0(VALU_DEP_4) | instskip(SKIP_2) | instid1(VALU_DEP_2)
	v_exp_f32_e32 v2, v2
	v_exp_f32_e32 v3, v3
	v_add_nc_u32_e32 v43, 0x1000, v27
	v_add_f32_e32 v119, v119, v120
	v_cvt_i32_f32_e32 v120, v121
	s_delay_alu instid0(VALU_DEP_2) | instskip(NEXT) | instid1(TRANS32_DEP_3)
	v_exp_f32_e32 v119, v119
	v_ldexp_f32 v2, v2, v42
	s_waitcnt_depctr 0xfff
	v_ldexp_f32 v3, v3, v45
	v_add_nc_u32_e32 v42, 0x1800, v27
	v_cndmask_b32_e32 v2, 0, v2, vcc_lo
	v_cmp_ngt_f32_e32 vcc_lo, 0xc2ce8ed0, v1
	v_ldexp_f32 v119, v119, v120
	v_cndmask_b32_e32 v3, 0, v3, vcc_lo
	v_cmp_nlt_f32_e32 vcc_lo, 0x42b17218, v0
	v_cndmask_b32_e32 v45, 0x7f800000, v2, vcc_lo
	v_cmp_nlt_f32_e32 vcc_lo, 0x42b17218, v1
	s_delay_alu instid0(VALU_DEP_2) | instskip(SKIP_3) | instid1(VALU_DEP_3)
	v_cvt_f16_f32_e32 v0, v45
	v_cndmask_b32_e32 v46, 0x7f800000, v3, vcc_lo
	v_add_co_u32 v115, vcc_lo, v28, s16
	v_add_co_ci_u32_e32 v116, vcc_lo, s17, v29, vcc_lo
	v_cvt_f16_f32_e32 v1, v46
	ds_store_b16 v24, v0
	ds_store_b16 v24, v1 offset:64
	s_waitcnt vmcnt(1)
	ds_store_b128 v25, v[47:50]
	s_waitcnt vmcnt(0)
	ds_store_b128 v26, v[51:54]
	s_waitcnt lgkmcnt(0)
	s_barrier
	buffer_gl0_inv
	ds_load_2addr_b64 v[0:3], v27 offset1:32
	ds_load_b128 v[47:50], v23
	ds_load_2addr_b64 v[51:54], v27 offset0:64 offset1:96
	ds_load_2addr_b64 v[55:58], v27 offset0:128 offset1:160
	ds_load_2addr_b64 v[59:62], v27 offset0:192 offset1:224
	ds_load_2addr_b64 v[63:66], v44 offset1:32
	ds_load_2addr_b64 v[67:70], v44 offset0:64 offset1:96
	ds_load_2addr_b64 v[71:74], v44 offset0:128 offset1:160
	ds_load_2addr_b64 v[75:78], v44 offset0:192 offset1:224
	ds_load_2addr_b64 v[79:82], v43 offset1:32
	;; [unrolled: 4-line block ×3, first 2 shown]
	ds_load_2addr_b64 v[99:102], v42 offset0:64 offset1:96
	ds_load_2addr_b64 v[103:106], v42 offset0:128 offset1:160
	;; [unrolled: 1-line block ×3, first 2 shown]
	s_waitcnt lgkmcnt(0)
	s_barrier
	buffer_gl0_inv
	s_clause 0x1
	global_load_b128 v[111:114], v[115:116], off
	global_load_b128 v[115:118], v[115:116], off offset:512
	v_cmp_ngt_f32_e32 vcc_lo, 0xc2ce8ed0, v36
	v_pk_mul_f16 v0, v0, v47 op_sel_hi:[1,0]
	v_pk_mul_f16 v1, v1, v47 op_sel_hi:[1,0]
	s_or_b32 s16, s3, 16
	s_waitcnt vmcnt(1)
	ds_store_b128 v25, v[111:114]
	s_waitcnt vmcnt(0)
	ds_store_b128 v26, v[115:118]
	v_cndmask_b32_e32 v119, 0, v119, vcc_lo
	v_cmp_nlt_f32_e32 vcc_lo, 0x42b17218, v36
	s_mul_hi_i32 s17, s16, s10
	s_mul_i32 s16, s16, s10
	s_waitcnt lgkmcnt(0)
	s_lshl_b64 s[16:17], s[16:17], 2
	v_cndmask_b32_e32 v36, 0x7f800000, v119, vcc_lo
	v_add_co_u32 v119, vcc_lo, v28, s16
	v_add_co_ci_u32_e32 v120, vcc_lo, s17, v29, vcc_lo
	s_delay_alu instid0(VALU_DEP_3)
	v_cvt_f16_f32_e32 v121, v36
	s_barrier
	buffer_gl0_inv
	s_or_b32 s16, s3, 24
	v_pk_mul_f16 v32, v121, v32 op_sel_hi:[0,1]
	v_pk_mul_f16 v34, v121, v34 op_sel_hi:[0,1]
	;; [unrolled: 1-line block ×6, first 2 shown]
	v_pk_fma_f16 v2, v2, v47, v32 op_sel_hi:[1,0,1]
	v_pk_fma_f16 v3, v3, v47, v34 op_sel_hi:[1,0,1]
	v_pk_fma_f16 v0, v33, v121, v0 op_sel_hi:[1,0,1]
	v_pk_fma_f16 v1, v35, v121, v1 op_sel_hi:[1,0,1]
	v_pk_fma_f16 v6, v51, v47, v6 op_sel_hi:[1,0,1]
	v_pk_fma_f16 v7, v52, v47, v7 op_sel_hi:[1,0,1]
	v_pk_fma_f16 v5, v53, v47, v5 op_sel_hi:[1,0,1]
	v_pk_fma_f16 v4, v54, v47, v4 op_sel_hi:[1,0,1]
	v_pk_fma_f16 v2, v57, v47, v2 op_sel:[0,1,0]
	v_pk_fma_f16 v3, v58, v47, v3 op_sel:[0,1,0]
	v_pk_fma_f16 v0, v55, v47, v0 op_sel:[0,1,0]
	v_pk_fma_f16 v1, v56, v47, v1 op_sel:[0,1,0]
	v_pk_fma_f16 v6, v59, v47, v6 op_sel:[0,1,0]
	v_pk_fma_f16 v7, v60, v47, v7 op_sel:[0,1,0]
	v_pk_fma_f16 v5, v61, v47, v5 op_sel:[0,1,0]
	v_pk_fma_f16 v4, v62, v47, v4 op_sel:[0,1,0]
	v_pk_fma_f16 v2, v65, v48, v2 op_sel_hi:[1,0,1]
	v_pk_fma_f16 v3, v66, v48, v3 op_sel_hi:[1,0,1]
	v_pk_fma_f16 v0, v63, v48, v0 op_sel_hi:[1,0,1]
	v_pk_fma_f16 v1, v64, v48, v1 op_sel_hi:[1,0,1]
	v_pk_fma_f16 v6, v67, v48, v6 op_sel_hi:[1,0,1]
	v_pk_fma_f16 v7, v68, v48, v7 op_sel_hi:[1,0,1]
	v_pk_fma_f16 v5, v69, v48, v5 op_sel_hi:[1,0,1]
	v_pk_fma_f16 v4, v70, v48, v4 op_sel_hi:[1,0,1]
	v_pk_fma_f16 v2, v73, v48, v2 op_sel:[0,1,0]
	v_pk_fma_f16 v3, v74, v48, v3 op_sel:[0,1,0]
	v_pk_fma_f16 v0, v71, v48, v0 op_sel:[0,1,0]
	v_pk_fma_f16 v1, v72, v48, v1 op_sel:[0,1,0]
	v_pk_fma_f16 v6, v75, v48, v6 op_sel:[0,1,0]
	v_pk_fma_f16 v7, v76, v48, v7 op_sel:[0,1,0]
	v_pk_fma_f16 v5, v77, v48, v5 op_sel:[0,1,0]
	v_pk_fma_f16 v4, v78, v48, v4 op_sel:[0,1,0]
	;; [unrolled: 16-line block ×3, first 2 shown]
	v_pk_fma_f16 v2, v97, v50, v2 op_sel_hi:[1,0,1]
	v_pk_fma_f16 v3, v98, v50, v3 op_sel_hi:[1,0,1]
	;; [unrolled: 1-line block ×8, first 2 shown]
	v_pk_fma_f16 v122, v105, v50, v2 op_sel:[0,1,0]
	v_pk_fma_f16 v123, v106, v50, v3 op_sel:[0,1,0]
	;; [unrolled: 1-line block ×4, first 2 shown]
	ds_load_2addr_b64 v[0:3], v27 offset1:32
	ds_load_b128 v[4:7], v23 offset:16
	ds_load_2addr_b64 v[32:35], v27 offset0:64 offset1:96
	ds_load_2addr_b64 v[51:54], v27 offset0:128 offset1:160
	ds_load_2addr_b64 v[55:58], v27 offset0:192 offset1:224
	ds_load_2addr_b64 v[59:62], v44 offset1:32
	ds_load_2addr_b64 v[63:66], v44 offset0:64 offset1:96
	ds_load_2addr_b64 v[67:70], v44 offset0:128 offset1:160
	ds_load_2addr_b64 v[71:74], v44 offset0:192 offset1:224
	ds_load_2addr_b64 v[75:78], v43 offset1:32
	;; [unrolled: 4-line block ×3, first 2 shown]
	ds_load_2addr_b64 v[95:98], v42 offset0:64 offset1:96
	ds_load_2addr_b64 v[99:102], v42 offset0:128 offset1:160
	ds_load_2addr_b64 v[103:106], v42 offset0:192 offset1:224
	s_waitcnt lgkmcnt(0)
	s_barrier
	buffer_gl0_inv
	s_clause 0x1
	global_load_b128 v[111:114], v[119:120], off
	global_load_b128 v[115:118], v[119:120], off offset:512
	v_pk_fma_f16 v47, v107, v50, v47 op_sel:[0,1,0]
	v_pk_fma_f16 v48, v108, v50, v48 op_sel:[0,1,0]
	;; [unrolled: 1-line block ×4, first 2 shown]
	v_pk_fma_f16 v0, v0, v4, v124 op_sel_hi:[1,0,1]
	v_pk_fma_f16 v1, v1, v4, v125 op_sel_hi:[1,0,1]
	;; [unrolled: 1-line block ×8, first 2 shown]
	v_pk_fma_f16 v0, v51, v4, v0 op_sel:[0,1,0]
	v_pk_fma_f16 v1, v52, v4, v1 op_sel:[0,1,0]
	;; [unrolled: 1-line block ×8, first 2 shown]
	v_pk_fma_f16 v0, v59, v5, v0 op_sel_hi:[1,0,1]
	v_pk_fma_f16 v1, v60, v5, v1 op_sel_hi:[1,0,1]
	;; [unrolled: 1-line block ×8, first 2 shown]
	v_pk_fma_f16 v0, v67, v5, v0 op_sel:[0,1,0]
	v_pk_fma_f16 v1, v68, v5, v1 op_sel:[0,1,0]
	;; [unrolled: 1-line block ×8, first 2 shown]
	v_pk_fma_f16 v0, v75, v6, v0 op_sel_hi:[1,0,1]
	v_pk_fma_f16 v1, v76, v6, v1 op_sel_hi:[1,0,1]
	v_pk_fma_f16 v2, v77, v6, v2 op_sel_hi:[1,0,1]
	v_pk_fma_f16 v3, v78, v6, v3 op_sel_hi:[1,0,1]
	s_mul_hi_i32 s17, s16, s10
	s_mul_i32 s16, s16, s10
	v_pk_fma_f16 v5, v79, v6, v32 op_sel_hi:[1,0,1]
	v_pk_fma_f16 v32, v80, v6, v33 op_sel_hi:[1,0,1]
	;; [unrolled: 1-line block ×4, first 2 shown]
	v_pk_fma_f16 v0, v83, v6, v0 op_sel:[0,1,0]
	v_pk_fma_f16 v1, v84, v6, v1 op_sel:[0,1,0]
	;; [unrolled: 1-line block ×4, first 2 shown]
	s_lshl_b64 s[16:17], s[16:17], 2
	v_pk_fma_f16 v5, v87, v6, v5 op_sel:[0,1,0]
	v_add_co_u32 v119, vcc_lo, v28, s16
	v_add_co_ci_u32_e32 v120, vcc_lo, s17, v29, vcc_lo
	v_pk_fma_f16 v32, v88, v6, v32 op_sel:[0,1,0]
	v_pk_fma_f16 v33, v89, v6, v33 op_sel:[0,1,0]
	;; [unrolled: 1-line block ×3, first 2 shown]
	v_pk_fma_f16 v0, v91, v7, v0 op_sel_hi:[1,0,1]
	v_pk_fma_f16 v1, v92, v7, v1 op_sel_hi:[1,0,1]
	;; [unrolled: 1-line block ×8, first 2 shown]
	v_pk_fma_f16 v122, v99, v7, v0 op_sel:[0,1,0]
	v_pk_fma_f16 v123, v100, v7, v1 op_sel:[0,1,0]
	;; [unrolled: 1-line block ×8, first 2 shown]
	s_or_b32 s16, s3, 32
	s_waitcnt vmcnt(1)
	ds_store_b128 v25, v[111:114]
	s_waitcnt vmcnt(0)
	ds_store_b128 v26, v[115:118]
	s_waitcnt lgkmcnt(0)
	s_barrier
	buffer_gl0_inv
	ds_load_2addr_b64 v[0:3], v27 offset1:32
	ds_load_b128 v[32:35], v23 offset:32
	ds_load_2addr_b64 v[47:50], v27 offset0:64 offset1:96
	ds_load_2addr_b64 v[51:54], v27 offset0:128 offset1:160
	ds_load_2addr_b64 v[55:58], v27 offset0:192 offset1:224
	ds_load_2addr_b64 v[59:62], v44 offset1:32
	ds_load_2addr_b64 v[63:66], v44 offset0:64 offset1:96
	ds_load_2addr_b64 v[67:70], v44 offset0:128 offset1:160
	ds_load_2addr_b64 v[71:74], v44 offset0:192 offset1:224
	ds_load_2addr_b64 v[75:78], v43 offset1:32
	;; [unrolled: 4-line block ×3, first 2 shown]
	ds_load_2addr_b64 v[95:98], v42 offset0:64 offset1:96
	ds_load_2addr_b64 v[99:102], v42 offset0:128 offset1:160
	;; [unrolled: 1-line block ×3, first 2 shown]
	s_waitcnt lgkmcnt(0)
	s_barrier
	buffer_gl0_inv
	s_clause 0x1
	global_load_b128 v[111:114], v[119:120], off
	global_load_b128 v[115:118], v[119:120], off offset:512
	v_pk_fma_f16 v0, v0, v32, v122 op_sel_hi:[1,0,1]
	v_pk_fma_f16 v1, v1, v32, v123 op_sel_hi:[1,0,1]
	;; [unrolled: 1-line block ×8, first 2 shown]
	v_pk_fma_f16 v0, v51, v32, v0 op_sel:[0,1,0]
	v_pk_fma_f16 v1, v52, v32, v1 op_sel:[0,1,0]
	;; [unrolled: 1-line block ×8, first 2 shown]
	v_pk_fma_f16 v0, v59, v33, v0 op_sel_hi:[1,0,1]
	v_pk_fma_f16 v1, v60, v33, v1 op_sel_hi:[1,0,1]
	;; [unrolled: 1-line block ×8, first 2 shown]
	v_pk_fma_f16 v0, v67, v33, v0 op_sel:[0,1,0]
	v_pk_fma_f16 v1, v68, v33, v1 op_sel:[0,1,0]
	;; [unrolled: 1-line block ×8, first 2 shown]
	v_pk_fma_f16 v0, v75, v34, v0 op_sel_hi:[1,0,1]
	v_pk_fma_f16 v1, v76, v34, v1 op_sel_hi:[1,0,1]
	;; [unrolled: 1-line block ×4, first 2 shown]
	s_mul_hi_i32 s17, s16, s10
	s_mul_i32 s16, s16, s10
	v_pk_fma_f16 v5, v79, v34, v5 op_sel_hi:[1,0,1]
	v_pk_fma_f16 v6, v80, v34, v6 op_sel_hi:[1,0,1]
	;; [unrolled: 1-line block ×4, first 2 shown]
	v_pk_fma_f16 v0, v83, v34, v0 op_sel:[0,1,0]
	v_pk_fma_f16 v1, v84, v34, v1 op_sel:[0,1,0]
	;; [unrolled: 1-line block ×4, first 2 shown]
	s_lshl_b64 s[16:17], s[16:17], 2
	v_pk_fma_f16 v5, v87, v34, v5 op_sel:[0,1,0]
	v_add_co_u32 v119, vcc_lo, v28, s16
	v_add_co_ci_u32_e32 v120, vcc_lo, s17, v29, vcc_lo
	v_pk_fma_f16 v6, v88, v34, v6 op_sel:[0,1,0]
	v_pk_fma_f16 v7, v89, v34, v7 op_sel:[0,1,0]
	;; [unrolled: 1-line block ×3, first 2 shown]
	v_pk_fma_f16 v0, v91, v35, v0 op_sel_hi:[1,0,1]
	v_pk_fma_f16 v1, v92, v35, v1 op_sel_hi:[1,0,1]
	;; [unrolled: 1-line block ×8, first 2 shown]
	v_pk_fma_f16 v122, v99, v35, v0 op_sel:[0,1,0]
	v_pk_fma_f16 v123, v100, v35, v1 op_sel:[0,1,0]
	;; [unrolled: 1-line block ×8, first 2 shown]
	s_or_b32 s16, s3, 40
	s_waitcnt vmcnt(1)
	ds_store_b128 v25, v[111:114]
	s_waitcnt vmcnt(0)
	ds_store_b128 v26, v[115:118]
	s_waitcnt lgkmcnt(0)
	s_barrier
	buffer_gl0_inv
	ds_load_2addr_b64 v[0:3], v27 offset1:32
	ds_load_b128 v[47:50], v23 offset:48
	ds_load_2addr_b64 v[4:7], v27 offset0:64 offset1:96
	ds_load_2addr_b64 v[51:54], v27 offset0:128 offset1:160
	ds_load_2addr_b64 v[55:58], v27 offset0:192 offset1:224
	ds_load_2addr_b64 v[59:62], v44 offset1:32
	ds_load_2addr_b64 v[63:66], v44 offset0:64 offset1:96
	ds_load_2addr_b64 v[67:70], v44 offset0:128 offset1:160
	ds_load_2addr_b64 v[71:74], v44 offset0:192 offset1:224
	ds_load_2addr_b64 v[75:78], v43 offset1:32
	;; [unrolled: 4-line block ×3, first 2 shown]
	ds_load_2addr_b64 v[95:98], v42 offset0:64 offset1:96
	ds_load_2addr_b64 v[99:102], v42 offset0:128 offset1:160
	;; [unrolled: 1-line block ×3, first 2 shown]
	s_waitcnt lgkmcnt(0)
	s_barrier
	buffer_gl0_inv
	s_clause 0x1
	global_load_b128 v[111:114], v[119:120], off
	global_load_b128 v[115:118], v[119:120], off offset:512
	v_pk_fma_f16 v0, v0, v47, v122 op_sel_hi:[1,0,1]
	v_pk_fma_f16 v1, v1, v47, v123 op_sel_hi:[1,0,1]
	v_pk_fma_f16 v2, v2, v47, v124 op_sel_hi:[1,0,1]
	v_pk_fma_f16 v3, v3, v47, v125 op_sel_hi:[1,0,1]
	v_pk_fma_f16 v4, v4, v47, v32 op_sel_hi:[1,0,1]
	v_pk_fma_f16 v5, v5, v47, v33 op_sel_hi:[1,0,1]
	v_pk_fma_f16 v6, v6, v47, v34 op_sel_hi:[1,0,1]
	v_pk_fma_f16 v7, v7, v47, v35 op_sel_hi:[1,0,1]
	v_pk_fma_f16 v0, v51, v47, v0 op_sel:[0,1,0]
	v_pk_fma_f16 v1, v52, v47, v1 op_sel:[0,1,0]
	;; [unrolled: 1-line block ×8, first 2 shown]
	v_pk_fma_f16 v0, v59, v48, v0 op_sel_hi:[1,0,1]
	v_pk_fma_f16 v1, v60, v48, v1 op_sel_hi:[1,0,1]
	v_pk_fma_f16 v2, v61, v48, v2 op_sel_hi:[1,0,1]
	v_pk_fma_f16 v3, v62, v48, v3 op_sel_hi:[1,0,1]
	v_pk_fma_f16 v4, v63, v48, v4 op_sel_hi:[1,0,1]
	v_pk_fma_f16 v5, v64, v48, v5 op_sel_hi:[1,0,1]
	v_pk_fma_f16 v6, v65, v48, v6 op_sel_hi:[1,0,1]
	v_pk_fma_f16 v7, v66, v48, v7 op_sel_hi:[1,0,1]
	v_pk_fma_f16 v0, v67, v48, v0 op_sel:[0,1,0]
	v_pk_fma_f16 v1, v68, v48, v1 op_sel:[0,1,0]
	;; [unrolled: 1-line block ×8, first 2 shown]
	v_pk_fma_f16 v0, v75, v49, v0 op_sel_hi:[1,0,1]
	v_pk_fma_f16 v1, v76, v49, v1 op_sel_hi:[1,0,1]
	;; [unrolled: 1-line block ×4, first 2 shown]
	s_mul_hi_i32 s17, s16, s10
	s_mul_i32 s16, s16, s10
	v_pk_fma_f16 v4, v79, v49, v4 op_sel_hi:[1,0,1]
	v_pk_fma_f16 v5, v80, v49, v5 op_sel_hi:[1,0,1]
	v_pk_fma_f16 v6, v81, v49, v6 op_sel_hi:[1,0,1]
	v_pk_fma_f16 v7, v82, v49, v7 op_sel_hi:[1,0,1]
	v_pk_fma_f16 v0, v83, v49, v0 op_sel:[0,1,0]
	v_pk_fma_f16 v1, v84, v49, v1 op_sel:[0,1,0]
	;; [unrolled: 1-line block ×4, first 2 shown]
	s_lshl_b64 s[16:17], s[16:17], 2
	v_pk_fma_f16 v4, v87, v49, v4 op_sel:[0,1,0]
	v_add_co_u32 v119, vcc_lo, v28, s16
	v_add_co_ci_u32_e32 v120, vcc_lo, s17, v29, vcc_lo
	v_pk_fma_f16 v5, v88, v49, v5 op_sel:[0,1,0]
	v_pk_fma_f16 v6, v89, v49, v6 op_sel:[0,1,0]
	;; [unrolled: 1-line block ×3, first 2 shown]
	v_pk_fma_f16 v0, v91, v50, v0 op_sel_hi:[1,0,1]
	v_pk_fma_f16 v1, v92, v50, v1 op_sel_hi:[1,0,1]
	;; [unrolled: 1-line block ×8, first 2 shown]
	v_pk_fma_f16 v122, v99, v50, v0 op_sel:[0,1,0]
	v_pk_fma_f16 v123, v100, v50, v1 op_sel:[0,1,0]
	;; [unrolled: 1-line block ×8, first 2 shown]
	s_or_b32 s16, s3, 48
	s_waitcnt vmcnt(1)
	ds_store_b128 v25, v[111:114]
	s_waitcnt vmcnt(0)
	ds_store_b128 v26, v[115:118]
	s_waitcnt lgkmcnt(0)
	s_barrier
	buffer_gl0_inv
	ds_load_2addr_b64 v[32:35], v27 offset1:32
	ds_load_b128 v[0:3], v23 offset:64
	ds_load_2addr_b64 v[51:54], v27 offset0:64 offset1:96
	ds_load_2addr_b64 v[55:58], v27 offset0:128 offset1:160
	ds_load_2addr_b64 v[59:62], v27 offset0:192 offset1:224
	ds_load_2addr_b64 v[63:66], v44 offset1:32
	ds_load_2addr_b64 v[67:70], v44 offset0:64 offset1:96
	ds_load_2addr_b64 v[71:74], v44 offset0:128 offset1:160
	ds_load_2addr_b64 v[75:78], v44 offset0:192 offset1:224
	ds_load_2addr_b64 v[79:82], v43 offset1:32
	;; [unrolled: 4-line block ×3, first 2 shown]
	ds_load_2addr_b64 v[99:102], v42 offset0:64 offset1:96
	ds_load_2addr_b64 v[107:110], v42 offset0:128 offset1:160
	;; [unrolled: 1-line block ×3, first 2 shown]
	s_waitcnt lgkmcnt(0)
	s_barrier
	buffer_gl0_inv
	s_clause 0x1
	global_load_b128 v[111:114], v[119:120], off
	global_load_b128 v[115:118], v[119:120], off offset:512
	v_pk_fma_f16 v32, v32, v0, v122 op_sel_hi:[1,0,1]
	v_pk_fma_f16 v33, v33, v0, v123 op_sel_hi:[1,0,1]
	;; [unrolled: 1-line block ×8, first 2 shown]
	v_pk_fma_f16 v32, v55, v0, v32 op_sel:[0,1,0]
	v_pk_fma_f16 v33, v56, v0, v33 op_sel:[0,1,0]
	;; [unrolled: 1-line block ×8, first 2 shown]
	v_pk_fma_f16 v32, v63, v1, v32 op_sel_hi:[1,0,1]
	v_pk_fma_f16 v33, v64, v1, v33 op_sel_hi:[1,0,1]
	;; [unrolled: 1-line block ×8, first 2 shown]
	v_pk_fma_f16 v32, v71, v1, v32 op_sel:[0,1,0]
	v_pk_fma_f16 v33, v72, v1, v33 op_sel:[0,1,0]
	;; [unrolled: 1-line block ×8, first 2 shown]
	v_pk_fma_f16 v1, v79, v2, v32 op_sel_hi:[1,0,1]
	v_pk_fma_f16 v32, v80, v2, v33 op_sel_hi:[1,0,1]
	;; [unrolled: 1-line block ×4, first 2 shown]
	s_mul_hi_i32 s17, s16, s10
	s_mul_i32 s16, s16, s10
	v_pk_fma_f16 v35, v83, v2, v47 op_sel_hi:[1,0,1]
	v_pk_fma_f16 v47, v84, v2, v48 op_sel_hi:[1,0,1]
	;; [unrolled: 1-line block ×4, first 2 shown]
	v_pk_fma_f16 v1, v87, v2, v1 op_sel:[0,1,0]
	v_pk_fma_f16 v32, v88, v2, v32 op_sel:[0,1,0]
	;; [unrolled: 1-line block ×4, first 2 shown]
	s_lshl_b64 s[16:17], s[16:17], 2
	v_pk_fma_f16 v35, v91, v2, v35 op_sel:[0,1,0]
	v_add_co_u32 v119, vcc_lo, v28, s16
	v_add_co_ci_u32_e32 v120, vcc_lo, s17, v29, vcc_lo
	v_pk_fma_f16 v47, v92, v2, v47 op_sel:[0,1,0]
	v_pk_fma_f16 v48, v93, v2, v48 op_sel:[0,1,0]
	;; [unrolled: 1-line block ×3, first 2 shown]
	v_pk_fma_f16 v1, v95, v3, v1 op_sel_hi:[1,0,1]
	v_pk_fma_f16 v2, v96, v3, v32 op_sel_hi:[1,0,1]
	;; [unrolled: 1-line block ×8, first 2 shown]
	v_pk_fma_f16 v1, v107, v3, v1 op_sel:[0,1,0]
	v_pk_fma_f16 v2, v108, v3, v2 op_sel:[0,1,0]
	;; [unrolled: 1-line block ×4, first 2 shown]
	v_add_f32_e32 v0, v45, v46
	v_pk_fma_f16 v4, v4, v3, v121 op_sel:[0,1,0]
	v_pk_fma_f16 v5, v5, v3, v122 op_sel:[0,1,0]
	;; [unrolled: 1-line block ×4, first 2 shown]
	v_fmac_f32_e32 v0, v31, v36
	s_or_b32 s16, s3, 56
	s_waitcnt vmcnt(1)
	ds_store_b128 v25, v[111:114]
	s_waitcnt vmcnt(0)
	ds_store_b128 v26, v[115:118]
	s_waitcnt lgkmcnt(0)
	s_barrier
	buffer_gl0_inv
	ds_load_2addr_b64 v[32:35], v27 offset1:32
	ds_load_b128 v[47:50], v23 offset:80
	ds_load_2addr_b64 v[51:54], v27 offset0:64 offset1:96
	ds_load_2addr_b64 v[55:58], v27 offset0:128 offset1:160
	ds_load_2addr_b64 v[59:62], v27 offset0:192 offset1:224
	ds_load_2addr_b64 v[63:66], v44 offset1:32
	ds_load_2addr_b64 v[67:70], v44 offset0:64 offset1:96
	ds_load_2addr_b64 v[71:74], v44 offset0:128 offset1:160
	ds_load_2addr_b64 v[75:78], v44 offset0:192 offset1:224
	ds_load_2addr_b64 v[79:82], v43 offset1:32
	;; [unrolled: 4-line block ×3, first 2 shown]
	ds_load_2addr_b64 v[99:102], v42 offset0:64 offset1:96
	ds_load_2addr_b64 v[103:106], v42 offset0:128 offset1:160
	;; [unrolled: 1-line block ×3, first 2 shown]
	s_waitcnt lgkmcnt(0)
	s_barrier
	buffer_gl0_inv
	s_clause 0x1
	global_load_b128 v[111:114], v[119:120], off
	global_load_b128 v[115:118], v[119:120], off offset:512
	v_pk_fma_f16 v1, v32, v47, v1 op_sel_hi:[1,0,1]
	v_pk_fma_f16 v2, v33, v47, v2 op_sel_hi:[1,0,1]
	;; [unrolled: 1-line block ×8, first 2 shown]
	v_pk_fma_f16 v1, v55, v47, v1 op_sel:[0,1,0]
	v_pk_fma_f16 v2, v56, v47, v2 op_sel:[0,1,0]
	;; [unrolled: 1-line block ×8, first 2 shown]
	v_pk_fma_f16 v1, v63, v48, v1 op_sel_hi:[1,0,1]
	v_pk_fma_f16 v2, v64, v48, v2 op_sel_hi:[1,0,1]
	;; [unrolled: 1-line block ×8, first 2 shown]
	v_pk_fma_f16 v1, v71, v48, v1 op_sel:[0,1,0]
	v_pk_fma_f16 v2, v72, v48, v2 op_sel:[0,1,0]
	;; [unrolled: 1-line block ×8, first 2 shown]
	s_mul_hi_i32 s17, s16, s10
	s_mul_i32 s16, s16, s10
	v_pk_fma_f16 v1, v79, v49, v1 op_sel_hi:[1,0,1]
	v_pk_fma_f16 v2, v80, v49, v2 op_sel_hi:[1,0,1]
	v_pk_fma_f16 v7, v81, v49, v7 op_sel_hi:[1,0,1]
	v_pk_fma_f16 v31, v82, v49, v31 op_sel_hi:[1,0,1]
	v_pk_fma_f16 v4, v83, v49, v4 op_sel_hi:[1,0,1]
	v_pk_fma_f16 v5, v84, v49, v5 op_sel_hi:[1,0,1]
	v_pk_fma_f16 v6, v85, v49, v6 op_sel_hi:[1,0,1]
	v_pk_fma_f16 v3, v86, v49, v3 op_sel_hi:[1,0,1]
	s_lshl_b64 s[16:17], s[16:17], 2
	v_pk_fma_f16 v1, v87, v49, v1 op_sel:[0,1,0]
	v_add_co_u32 v119, vcc_lo, v28, s16
	v_add_co_ci_u32_e32 v120, vcc_lo, s17, v29, vcc_lo
	v_pk_fma_f16 v2, v88, v49, v2 op_sel:[0,1,0]
	v_pk_fma_f16 v7, v89, v49, v7 op_sel:[0,1,0]
	;; [unrolled: 1-line block ×7, first 2 shown]
	v_pk_fma_f16 v35, v95, v50, v1 op_sel_hi:[1,0,1]
	v_pk_fma_f16 v36, v96, v50, v2 op_sel_hi:[1,0,1]
	;; [unrolled: 1-line block ×8, first 2 shown]
	v_pk_fma_f16 v35, v103, v50, v35 op_sel:[0,1,0]
	v_pk_fma_f16 v36, v104, v50, v36 op_sel:[0,1,0]
	;; [unrolled: 1-line block ×8, first 2 shown]
	s_waitcnt vmcnt(1)
	ds_store_b128 v25, v[111:114]
	s_waitcnt vmcnt(0)
	ds_store_b128 v26, v[115:118]
	s_waitcnt lgkmcnt(0)
	s_barrier
	buffer_gl0_inv
	ds_load_2addr_b64 v[1:4], v27 offset1:32
	ds_load_b128 v[31:34], v23 offset:96
	ds_load_2addr_b64 v[45:48], v27 offset0:64 offset1:96
	ds_load_2addr_b64 v[51:54], v27 offset0:128 offset1:160
	ds_load_2addr_b64 v[55:58], v27 offset0:192 offset1:224
	ds_load_2addr_b64 v[59:62], v44 offset1:32
	ds_load_2addr_b64 v[63:66], v44 offset0:64 offset1:96
	ds_load_2addr_b64 v[67:70], v44 offset0:128 offset1:160
	ds_load_2addr_b64 v[71:74], v44 offset0:192 offset1:224
	ds_load_2addr_b64 v[75:78], v43 offset1:32
	;; [unrolled: 4-line block ×3, first 2 shown]
	ds_load_2addr_b64 v[95:98], v42 offset0:64 offset1:96
	ds_load_2addr_b64 v[99:102], v42 offset0:128 offset1:160
	;; [unrolled: 1-line block ×3, first 2 shown]
	s_waitcnt lgkmcnt(0)
	s_barrier
	buffer_gl0_inv
	s_clause 0x1
	global_load_b128 v[115:118], v[119:120], off
	global_load_b128 v[119:122], v[119:120], off offset:512
	v_pk_fma_f16 v1, v1, v31, v35 op_sel_hi:[1,0,1]
	v_pk_fma_f16 v2, v2, v31, v36 op_sel_hi:[1,0,1]
	v_pk_fma_f16 v3, v3, v31, v7 op_sel_hi:[1,0,1]
	v_pk_fma_f16 v4, v4, v31, v49 op_sel_hi:[1,0,1]
	v_pk_fma_f16 v7, v45, v31, v103 op_sel_hi:[1,0,1]
	v_pk_fma_f16 v5, v46, v31, v5 op_sel_hi:[1,0,1]
	v_pk_fma_f16 v6, v47, v31, v6 op_sel_hi:[1,0,1]
	v_pk_fma_f16 v35, v48, v31, v50 op_sel_hi:[1,0,1]
	v_pk_fma_f16 v1, v51, v31, v1 op_sel:[0,1,0]
	v_pk_fma_f16 v2, v52, v31, v2 op_sel:[0,1,0]
	v_pk_fma_f16 v3, v53, v31, v3 op_sel:[0,1,0]
	v_pk_fma_f16 v4, v54, v31, v4 op_sel:[0,1,0]
	v_pk_fma_f16 v7, v55, v31, v7 op_sel:[0,1,0]
	v_pk_fma_f16 v5, v56, v31, v5 op_sel:[0,1,0]
	v_pk_fma_f16 v6, v57, v31, v6 op_sel:[0,1,0]
	v_pk_fma_f16 v31, v58, v31, v35 op_sel:[0,1,0]
	v_pk_fma_f16 v1, v59, v32, v1 op_sel_hi:[1,0,1]
	v_pk_fma_f16 v2, v60, v32, v2 op_sel_hi:[1,0,1]
	v_pk_fma_f16 v3, v61, v32, v3 op_sel_hi:[1,0,1]
	v_pk_fma_f16 v4, v62, v32, v4 op_sel_hi:[1,0,1]
	v_pk_fma_f16 v7, v63, v32, v7 op_sel_hi:[1,0,1]
	v_pk_fma_f16 v5, v64, v32, v5 op_sel_hi:[1,0,1]
	v_pk_fma_f16 v6, v65, v32, v6 op_sel_hi:[1,0,1]
	v_pk_fma_f16 v31, v66, v32, v31 op_sel_hi:[1,0,1]
	v_pk_fma_f16 v1, v67, v32, v1 op_sel:[0,1,0]
	v_pk_fma_f16 v2, v68, v32, v2 op_sel:[0,1,0]
	v_pk_fma_f16 v3, v69, v32, v3 op_sel:[0,1,0]
	v_pk_fma_f16 v4, v70, v32, v4 op_sel:[0,1,0]
	v_pk_fma_f16 v7, v71, v32, v7 op_sel:[0,1,0]
	v_pk_fma_f16 v5, v72, v32, v5 op_sel:[0,1,0]
	v_pk_fma_f16 v6, v73, v32, v6 op_sel:[0,1,0]
	v_pk_fma_f16 v31, v74, v32, v31 op_sel:[0,1,0]
	;; [unrolled: 16-line block ×4, first 2 shown]
	s_waitcnt vmcnt(1)
	ds_store_b128 v25, v[115:118]
	s_waitcnt vmcnt(0)
	ds_store_b128 v26, v[119:122]
	s_waitcnt lgkmcnt(0)
	s_barrier
	buffer_gl0_inv
	ds_load_2addr_b64 v[1:4], v27 offset1:32
	ds_load_b128 v[45:48], v23 offset:112
	ds_load_2addr_b64 v[49:52], v27 offset0:64 offset1:96
	ds_load_2addr_b64 v[53:56], v27 offset0:128 offset1:160
	ds_load_2addr_b64 v[57:60], v27 offset0:192 offset1:224
	ds_load_2addr_b64 v[61:64], v44 offset1:32
	ds_load_2addr_b64 v[65:68], v44 offset0:64 offset1:96
	ds_load_2addr_b64 v[69:72], v44 offset0:128 offset1:160
	ds_load_2addr_b64 v[73:76], v44 offset0:192 offset1:224
	ds_load_2addr_b64 v[77:80], v43 offset1:32
	;; [unrolled: 4-line block ×3, first 2 shown]
	ds_load_2addr_b64 v[107:110], v42 offset0:64 offset1:96
	ds_load_2addr_b64 v[115:118], v42 offset0:128 offset1:160
	;; [unrolled: 1-line block ×3, first 2 shown]
	s_waitcnt lgkmcnt(0)
	s_barrier
	buffer_gl0_inv
	s_load_b32 s16, s[4:5], 0x4
	v_pk_fma_f16 v1, v1, v45, v32 op_sel_hi:[1,0,1]
	v_pk_fma_f16 v2, v2, v45, v33 op_sel_hi:[1,0,1]
	v_pk_fma_f16 v3, v3, v45, v35 op_sel_hi:[1,0,1]
	v_pk_fma_f16 v4, v4, v45, v36 op_sel_hi:[1,0,1]
	v_pk_fma_f16 v7, v49, v45, v7 op_sel_hi:[1,0,1]
	v_pk_fma_f16 v5, v50, v45, v5 op_sel_hi:[1,0,1]
	v_pk_fma_f16 v6, v51, v45, v6 op_sel_hi:[1,0,1]
	v_pk_fma_f16 v31, v52, v45, v31 op_sel_hi:[1,0,1]
	v_pk_fma_f16 v1, v53, v45, v1 op_sel:[0,1,0]
	v_pk_fma_f16 v2, v54, v45, v2 op_sel:[0,1,0]
	v_pk_fma_f16 v3, v55, v45, v3 op_sel:[0,1,0]
	v_pk_fma_f16 v4, v56, v45, v4 op_sel:[0,1,0]
	v_pk_fma_f16 v7, v57, v45, v7 op_sel:[0,1,0]
	v_pk_fma_f16 v5, v58, v45, v5 op_sel:[0,1,0]
	v_pk_fma_f16 v6, v59, v45, v6 op_sel:[0,1,0]
	v_pk_fma_f16 v31, v60, v45, v31 op_sel:[0,1,0]
	v_pk_fma_f16 v1, v61, v46, v1 op_sel_hi:[1,0,1]
	v_pk_fma_f16 v2, v62, v46, v2 op_sel_hi:[1,0,1]
	v_pk_fma_f16 v3, v63, v46, v3 op_sel_hi:[1,0,1]
	v_pk_fma_f16 v4, v64, v46, v4 op_sel_hi:[1,0,1]
	v_pk_fma_f16 v7, v65, v46, v7 op_sel_hi:[1,0,1]
	v_pk_fma_f16 v5, v66, v46, v5 op_sel_hi:[1,0,1]
	v_pk_fma_f16 v6, v67, v46, v6 op_sel_hi:[1,0,1]
	v_pk_fma_f16 v31, v68, v46, v31 op_sel_hi:[1,0,1]
	v_pk_fma_f16 v1, v69, v46, v1 op_sel:[0,1,0]
	v_pk_fma_f16 v2, v70, v46, v2 op_sel:[0,1,0]
	v_pk_fma_f16 v3, v71, v46, v3 op_sel:[0,1,0]
	v_pk_fma_f16 v4, v72, v46, v4 op_sel:[0,1,0]
	v_pk_fma_f16 v7, v73, v46, v7 op_sel:[0,1,0]
	v_pk_fma_f16 v5, v74, v46, v5 op_sel:[0,1,0]
	v_pk_fma_f16 v6, v75, v46, v6 op_sel:[0,1,0]
	v_pk_fma_f16 v31, v76, v46, v31 op_sel:[0,1,0]
	;; [unrolled: 16-line block ×3, first 2 shown]
	v_pk_fma_f16 v1, v103, v48, v1 op_sel_hi:[1,0,1]
	v_pk_fma_f16 v2, v104, v48, v2 op_sel_hi:[1,0,1]
	;; [unrolled: 1-line block ×8, first 2 shown]
	s_waitcnt lgkmcnt(0)
	s_lshl_b32 s16, s16, 6
	v_pk_fma_f16 v33, v115, v48, v1 op_sel:[0,1,0]
	v_pk_fma_f16 v35, v116, v48, v2 op_sel:[0,1,0]
	;; [unrolled: 1-line block ×8, first 2 shown]
	s_add_i32 s3, s16, s3
	s_delay_alu instid0(SALU_CYCLE_1)
	s_cmp_lt_i32 s3, s2
	s_cbranch_scc0 .LBB31_19
; %bb.18:                               ;   in Loop: Header=BB31_9 Depth=1
	v_dual_mov_b32 v36, v15 :: v_dual_mov_b32 v31, v0
	s_branch .LBB31_9
.LBB31_19:
	v_dual_mov_b32 v3, 32 :: v_dual_mov_b32 v10, v16
.LBB31_20:
	s_delay_alu instid0(VALU_DEP_1)
	v_cmp_lt_i32_e32 vcc_lo, v37, v3
	s_cmp_eq_u64 s[24:25], 0
	s_cselect_b32 s2, -1, 0
	s_cmp_lg_u32 s14, 0
	v_cndmask_b32_e32 v1, v10, v37, vcc_lo
	v_cmp_lt_i32_e32 vcc_lo, v38, v3
	s_cselect_b32 s3, -1, 0
	s_delay_alu instid0(SALU_CYCLE_1) | instskip(SKIP_2) | instid1(VALU_DEP_2)
	s_or_b32 s2, s3, s2
	v_cndmask_b32_e32 v2, v10, v38, vcc_lo
	v_cmp_lt_i32_e32 vcc_lo, v39, v3
	v_lshlrev_b32_e32 v2, 2, v2
	v_lshlrev_b32_e32 v1, 2, v1
	ds_bpermute_b32 v1, v1, v0
	s_waitcnt lgkmcnt(0)
	v_add_f32_e32 v0, v0, v1
	ds_bpermute_b32 v1, v2, v0
	v_cndmask_b32_e32 v2, v10, v39, vcc_lo
	v_cmp_lt_i32_e32 vcc_lo, v40, v3
	s_delay_alu instid0(VALU_DEP_2)
	v_lshlrev_b32_e32 v2, 2, v2
	s_waitcnt lgkmcnt(0)
	v_add_f32_e32 v0, v0, v1
	ds_bpermute_b32 v1, v2, v0
	v_cndmask_b32_e32 v2, v10, v40, vcc_lo
	v_cmp_lt_i32_e32 vcc_lo, v41, v3
	s_delay_alu instid0(VALU_DEP_2)
	v_lshlrev_b32_e32 v2, 2, v2
	s_waitcnt lgkmcnt(0)
	v_add_f32_e32 v0, v0, v1
	ds_bpermute_b32 v1, v2, v0
	v_cndmask_b32_e32 v2, v10, v41, vcc_lo
	s_and_b32 vcc_lo, exec_lo, s2
	s_delay_alu instid0(VALU_DEP_1)
	v_lshlrev_b32_e32 v2, 2, v2
	s_waitcnt lgkmcnt(0)
	v_add_f32_e32 v0, v0, v1
	ds_bpermute_b32 v1, v2, v0
	s_waitcnt lgkmcnt(0)
	v_add_f32_e32 v16, v0, v1
	s_cbranch_vccnz .LBB31_22
; %bb.21:
	v_add_nc_u32_e32 v0, s12, v17
	s_delay_alu instid0(VALU_DEP_1) | instskip(NEXT) | instid1(VALU_DEP_1)
	v_ashrrev_i32_e32 v1, 31, v0
	v_lshlrev_b64 v[0:1], 2, v[0:1]
	s_delay_alu instid0(VALU_DEP_1) | instskip(NEXT) | instid1(VALU_DEP_2)
	v_add_co_u32 v0, vcc_lo, s24, v0
	v_add_co_ci_u32_e32 v1, vcc_lo, s25, v1, vcc_lo
	global_load_b32 v0, v[0:1], off
	s_waitcnt vmcnt(0)
	v_dual_max_f32 v1, v15, v15 :: v_dual_max_f32 v2, v0, v0
	s_delay_alu instid0(VALU_DEP_1) | instskip(NEXT) | instid1(VALU_DEP_1)
	v_max_f32_e32 v1, v1, v2
	v_sub_f32_e32 v0, v0, v1
	s_delay_alu instid0(VALU_DEP_1) | instskip(NEXT) | instid1(VALU_DEP_1)
	v_mul_f32_e32 v10, 0x3fb8aa3b, v0
	v_fma_f32 v13, 0x3fb8aa3b, v0, -v10
	v_sub_f32_e32 v2, v15, v1
	v_rndne_f32_e32 v14, v10
	v_mov_b32_e32 v15, v1
	s_delay_alu instid0(VALU_DEP_4) | instskip(NEXT) | instid1(VALU_DEP_4)
	v_fmac_f32_e32 v13, 0x32a5705f, v0
	v_mul_f32_e32 v3, 0x3fb8aa3b, v2
	s_delay_alu instid0(VALU_DEP_4) | instskip(SKIP_1) | instid1(VALU_DEP_3)
	v_sub_f32_e32 v10, v10, v14
	v_cmp_ngt_f32_e32 vcc_lo, 0xc2ce8ed0, v2
	v_fma_f32 v11, 0x3fb8aa3b, v2, -v3
	v_rndne_f32_e32 v12, v3
	s_delay_alu instid0(VALU_DEP_2) | instskip(NEXT) | instid1(VALU_DEP_2)
	v_dual_add_f32 v10, v10, v13 :: v_dual_fmac_f32 v11, 0x32a5705f, v2
	v_sub_f32_e32 v3, v3, v12
	s_delay_alu instid0(VALU_DEP_2) | instskip(NEXT) | instid1(VALU_DEP_1)
	v_exp_f32_e32 v10, v10
	v_add_f32_e32 v3, v3, v11
	v_cvt_i32_f32_e32 v11, v12
	v_cvt_i32_f32_e32 v12, v14
	s_delay_alu instid0(VALU_DEP_3) | instskip(SKIP_3) | instid1(VALU_DEP_1)
	v_exp_f32_e32 v3, v3
	s_waitcnt_depctr 0xfff
	v_ldexp_f32 v10, v10, v12
	v_ldexp_f32 v3, v3, v11
	v_cndmask_b32_e32 v3, 0, v3, vcc_lo
	v_cmp_ngt_f32_e32 vcc_lo, 0xc2ce8ed0, v0
	s_delay_alu instid0(VALU_DEP_4) | instskip(SKIP_1) | instid1(VALU_DEP_4)
	v_cndmask_b32_e32 v10, 0, v10, vcc_lo
	v_cmp_nlt_f32_e32 vcc_lo, 0x42b17218, v2
	v_cndmask_b32_e32 v2, 0x7f800000, v3, vcc_lo
	v_cmp_nlt_f32_e32 vcc_lo, 0x42b17218, v0
	s_delay_alu instid0(VALU_DEP_2) | instskip(SKIP_1) | instid1(VALU_DEP_2)
	v_cvt_f16_f32_e32 v3, v2
	v_cndmask_b32_e32 v0, 0x7f800000, v10, vcc_lo
	v_pk_mul_f16 v33, v3, v33 op_sel_hi:[0,1]
	s_delay_alu instid0(VALU_DEP_2)
	v_fmac_f32_e32 v0, v16, v2
	v_pk_mul_f16 v35, v3, v35 op_sel_hi:[0,1]
	v_pk_mul_f16 v32, v3, v32 op_sel_hi:[0,1]
	;; [unrolled: 1-line block ×7, first 2 shown]
	v_mov_b32_e32 v16, v0
.LBB31_22:
	s_mov_b32 s2, exec_lo
	v_cmpx_gt_i32_e64 s6, v9
	s_cbranch_execz .LBB31_25
; %bb.23:
	s_delay_alu instid0(VALU_DEP_2) | instskip(SKIP_2) | instid1(VALU_DEP_2)
	v_div_scale_f32 v3, null, v16, v16, 1.0
	v_mad_u64_u32 v[0:1], null, s33, s6, v[9:10]
	s_load_b32 s0, s[0:1], 0xd4
	v_rcp_f32_e32 v11, v3
	v_div_scale_f32 v9, vcc_lo, 1.0, v16, 1.0
	v_lshrrev_b32_e32 v10, 16, v35
	v_lshrrev_b32_e32 v12, 16, v33
	s_delay_alu instid0(VALU_DEP_4) | instskip(SKIP_4) | instid1(TRANS32_DEP_1)
	v_mul_lo_u32 v0, v0, s7
	v_lshrrev_b32_e32 v13, 16, v34
	v_lshrrev_b32_e32 v22, 16, v32
	v_cvt_f32_f16_e32 v27, v10
	v_cvt_f32_f16_e32 v28, v12
	v_fma_f32 v1, -v3, v11, 1.0
	v_cvt_f32_f16_e32 v19, v35
	v_cvt_f32_f16_e32 v20, v33
	v_add3_u32 v14, s12, v17, v0
	v_cvt_f32_f16_e32 v21, v34
	v_dual_fmac_f32 v11, v1, v11 :: v_dual_mov_b32 v2, 0
	v_lshrrev_b32_e32 v24, 16, v6
	v_cvt_f32_f16_e32 v22, v22
	s_waitcnt lgkmcnt(0)
	v_mad_u64_u32 v[0:1], null, s0, v14, s[14:15]
	v_dual_mul_f32 v17, v9, v11 :: v_dual_mov_b32 v10, v2
	s_cmp_lg_u32 s0, 1
	v_lshrrev_b32_e32 v14, 16, v7
	s_cselect_b32 s1, -1, 0
	s_delay_alu instid0(VALU_DEP_2) | instskip(SKIP_1) | instid1(VALU_DEP_3)
	v_fma_f32 v1, -v3, v17, v9
	v_cvt_f32_f16_e32 v23, v32
	v_cvt_f32_f16_e32 v29, v14
	s_delay_alu instid0(VALU_DEP_3) | instskip(SKIP_2) | instid1(VALU_DEP_3)
	v_fmac_f32_e32 v17, v1, v11
	v_lshl_add_u32 v1, v0, 9, v18
	v_cvt_f32_f16_e32 v18, v13
	v_fma_f32 v3, -v3, v17, v9
	s_delay_alu instid0(VALU_DEP_1) | instskip(NEXT) | instid1(VALU_DEP_4)
	v_div_fmas_f32 v3, v3, v11, v17
	v_lshlrev_b64 v[11:12], 2, v[1:2]
	s_delay_alu instid0(VALU_DEP_2) | instskip(NEXT) | instid1(VALU_DEP_2)
	v_div_fixup_f32 v3, v3, v16, 1.0
	v_add_co_u32 v13, vcc_lo, s28, v11
	s_delay_alu instid0(VALU_DEP_3) | instskip(NEXT) | instid1(VALU_DEP_3)
	v_add_co_ci_u32_e32 v14, vcc_lo, s29, v12, vcc_lo
	v_cndmask_b32_e64 v30, v3, 1.0, s1
	v_add_nc_u32_e32 v9, 0x80, v1
	v_cvt_f32_f16_e32 v3, v7
	s_delay_alu instid0(VALU_DEP_3) | instskip(NEXT) | instid1(VALU_DEP_3)
	v_mul_f32_e32 v12, v30, v27
	v_lshlrev_b64 v[9:10], 2, v[9:10]
	v_mul_f32_e32 v11, v30, v19
	v_mul_f32_e32 v19, v30, v21
	v_add_nc_u32_e32 v21, 0x100, v1
	v_cvt_f32_f16_e32 v27, v24
	v_add_nc_u32_e32 v1, 0x180, v1
	v_add_co_u32 v25, vcc_lo, s28, v9
	v_mul_f32_e32 v9, v30, v20
	v_mul_f32_e32 v20, v30, v18
	v_mul_f32_e32 v18, v30, v22
	v_mov_b32_e32 v22, v2
	v_add_co_ci_u32_e32 v26, vcc_lo, s29, v10, vcc_lo
	v_mul_f32_e32 v10, v30, v28
	v_cvt_f32_f16_e32 v28, v6
	s_delay_alu instid0(VALU_DEP_4)
	v_lshlrev_b64 v[6:7], 2, v[21:22]
	v_mul_f32_e32 v22, v30, v27
	v_lshrrev_b32_e32 v27, 16, v5
	v_mul_f32_e32 v17, v30, v23
	v_mul_f32_e32 v23, v30, v3
	v_lshrrev_b32_e32 v3, 16, v4
	v_mul_f32_e32 v21, v30, v28
	v_cvt_f32_f16_e32 v31, v27
	v_lshlrev_b64 v[27:28], 2, v[1:2]
	v_add_co_u32 v6, vcc_lo, s28, v6
	v_mul_f32_e32 v24, v30, v29
	v_cvt_f32_f16_e32 v3, v3
	v_cvt_f32_f16_e32 v29, v4
	;; [unrolled: 1-line block ×3, first 2 shown]
	v_add_co_ci_u32_e32 v7, vcc_lo, s29, v7, vcc_lo
	v_cmp_eq_u32_e32 vcc_lo, 0, v8
	v_add_co_u32 v27, s0, s28, v27
	v_mul_f32_e32 v4, v30, v3
	v_mul_f32_e32 v3, v30, v29
	;; [unrolled: 1-line block ×4, first 2 shown]
	v_add_co_ci_u32_e64 v28, s0, s29, v28, s0
	s_and_b32 s0, vcc_lo, s1
	s_clause 0x3
	global_store_b128 v[13:14], v[9:12], off
	global_store_b128 v[25:26], v[17:20], off
	;; [unrolled: 1-line block ×4, first 2 shown]
	s_and_b32 exec_lo, exec_lo, s0
	s_cbranch_execz .LBB31_25
; %bb.24:
	v_ashrrev_i32_e32 v1, 31, v0
	s_delay_alu instid0(VALU_DEP_1) | instskip(NEXT) | instid1(VALU_DEP_1)
	v_lshlrev_b64 v[0:1], 3, v[0:1]
	v_add_co_u32 v0, vcc_lo, s30, v0
	s_delay_alu instid0(VALU_DEP_2)
	v_add_co_ci_u32_e32 v1, vcc_lo, s31, v1, vcc_lo
	global_store_b64 v[0:1], v[15:16], off
.LBB31_25:
	s_nop 0
	s_sendmsg sendmsg(MSG_DEALLOC_VGPRS)
	s_endpgm
	.section	.rodata,"a",@progbits
	.p2align	6, 0x0
	.amdhsa_kernel _ZL15flash_attn_tileILi512ELi512ELi2ELi4ELb1EEvPKcS1_S1_S1_S1_PKiPfP15HIP_vector_typeIfLj2EEffffjfiS5_IjLj3EEiiiiiiiiiiiliiliiiiil
		.amdhsa_group_segment_fixed_size 18432
		.amdhsa_private_segment_fixed_size 0
		.amdhsa_kernarg_size 464
		.amdhsa_user_sgpr_count 13
		.amdhsa_user_sgpr_dispatch_ptr 0
		.amdhsa_user_sgpr_queue_ptr 0
		.amdhsa_user_sgpr_kernarg_segment_ptr 1
		.amdhsa_user_sgpr_dispatch_id 0
		.amdhsa_user_sgpr_private_segment_size 0
		.amdhsa_wavefront_size32 1
		.amdhsa_uses_dynamic_stack 0
		.amdhsa_enable_private_segment 0
		.amdhsa_system_sgpr_workgroup_id_x 1
		.amdhsa_system_sgpr_workgroup_id_y 1
		.amdhsa_system_sgpr_workgroup_id_z 1
		.amdhsa_system_sgpr_workgroup_info 0
		.amdhsa_system_vgpr_workitem_id 1
		.amdhsa_next_free_vgpr 127
		.amdhsa_next_free_sgpr 40
		.amdhsa_reserve_vcc 1
		.amdhsa_float_round_mode_32 0
		.amdhsa_float_round_mode_16_64 0
		.amdhsa_float_denorm_mode_32 3
		.amdhsa_float_denorm_mode_16_64 3
		.amdhsa_dx10_clamp 1
		.amdhsa_ieee_mode 1
		.amdhsa_fp16_overflow 0
		.amdhsa_workgroup_processor_mode 1
		.amdhsa_memory_ordered 1
		.amdhsa_forward_progress 0
		.amdhsa_shared_vgpr_count 0
		.amdhsa_exception_fp_ieee_invalid_op 0
		.amdhsa_exception_fp_denorm_src 0
		.amdhsa_exception_fp_ieee_div_zero 0
		.amdhsa_exception_fp_ieee_overflow 0
		.amdhsa_exception_fp_ieee_underflow 0
		.amdhsa_exception_fp_ieee_inexact 0
		.amdhsa_exception_int_div_zero 0
	.end_amdhsa_kernel
	.section	.text._ZL15flash_attn_tileILi512ELi512ELi2ELi4ELb1EEvPKcS1_S1_S1_S1_PKiPfP15HIP_vector_typeIfLj2EEffffjfiS5_IjLj3EEiiiiiiiiiiiliiliiiiil,"axG",@progbits,_ZL15flash_attn_tileILi512ELi512ELi2ELi4ELb1EEvPKcS1_S1_S1_S1_PKiPfP15HIP_vector_typeIfLj2EEffffjfiS5_IjLj3EEiiiiiiiiiiiliiliiiiil,comdat
.Lfunc_end31:
	.size	_ZL15flash_attn_tileILi512ELi512ELi2ELi4ELb1EEvPKcS1_S1_S1_S1_PKiPfP15HIP_vector_typeIfLj2EEffffjfiS5_IjLj3EEiiiiiiiiiiiliiliiiiil, .Lfunc_end31-_ZL15flash_attn_tileILi512ELi512ELi2ELi4ELb1EEvPKcS1_S1_S1_S1_PKiPfP15HIP_vector_typeIfLj2EEffffjfiS5_IjLj3EEiiiiiiiiiiiliiliiiiil
                                        ; -- End function
	.section	.AMDGPU.csdata,"",@progbits
; Kernel info:
; codeLenInByte = 23136
; NumSgprs: 42
; NumVgprs: 127
; ScratchSize: 0
; MemoryBound: 0
; FloatMode: 240
; IeeeMode: 1
; LDSByteSize: 18432 bytes/workgroup (compile time only)
; SGPRBlocks: 5
; VGPRBlocks: 15
; NumSGPRsForWavesPerEU: 42
; NumVGPRsForWavesPerEU: 127
; Occupancy: 10
; WaveLimiterHint : 1
; COMPUTE_PGM_RSRC2:SCRATCH_EN: 0
; COMPUTE_PGM_RSRC2:USER_SGPR: 13
; COMPUTE_PGM_RSRC2:TRAP_HANDLER: 0
; COMPUTE_PGM_RSRC2:TGID_X_EN: 1
; COMPUTE_PGM_RSRC2:TGID_Y_EN: 1
; COMPUTE_PGM_RSRC2:TGID_Z_EN: 1
; COMPUTE_PGM_RSRC2:TIDIG_COMP_CNT: 1
	.section	.text._ZL15flash_attn_tileILi512ELi512ELi1ELi4ELb1EEvPKcS1_S1_S1_S1_PKiPfP15HIP_vector_typeIfLj2EEffffjfiS5_IjLj3EEiiiiiiiiiiiliiliiiiil,"axG",@progbits,_ZL15flash_attn_tileILi512ELi512ELi1ELi4ELb1EEvPKcS1_S1_S1_S1_PKiPfP15HIP_vector_typeIfLj2EEffffjfiS5_IjLj3EEiiiiiiiiiiiliiliiiiil,comdat
	.globl	_ZL15flash_attn_tileILi512ELi512ELi1ELi4ELb1EEvPKcS1_S1_S1_S1_PKiPfP15HIP_vector_typeIfLj2EEffffjfiS5_IjLj3EEiiiiiiiiiiiliiliiiiil ; -- Begin function _ZL15flash_attn_tileILi512ELi512ELi1ELi4ELb1EEvPKcS1_S1_S1_S1_PKiPfP15HIP_vector_typeIfLj2EEffffjfiS5_IjLj3EEiiiiiiiiiiiliiliiiiil
	.p2align	8
	.type	_ZL15flash_attn_tileILi512ELi512ELi1ELi4ELb1EEvPKcS1_S1_S1_S1_PKiPfP15HIP_vector_typeIfLj2EEffffjfiS5_IjLj3EEiiiiiiiiiiiliiliiiiil,@function
_ZL15flash_attn_tileILi512ELi512ELi1ELi4ELb1EEvPKcS1_S1_S1_S1_PKiPfP15HIP_vector_typeIfLj2EEffffjfiS5_IjLj3EEiiiiiiiiiiiliiliiiiil: ; @_ZL15flash_attn_tileILi512ELi512ELi1ELi4ELb1EEvPKcS1_S1_S1_S1_PKiPfP15HIP_vector_typeIfLj2EEffffjfiS5_IjLj3EEiiiiiiiiiiiliiliiiiil
; %bb.0:
	s_clause 0x1
	s_load_b128 s[4:7], s[0:1], 0x5c
	s_load_b64 s[2:3], s[0:1], 0x80
	s_mov_b64 s[34:35], 0
	s_waitcnt lgkmcnt(0)
	s_ashr_i32 s8, s7, 31
	s_delay_alu instid0(SALU_CYCLE_1) | instskip(NEXT) | instid1(SALU_CYCLE_1)
	s_lshr_b32 s8, s8, 30
	s_add_i32 s8, s7, s8
	s_delay_alu instid0(SALU_CYCLE_1) | instskip(NEXT) | instid1(SALU_CYCLE_1)
	s_ashr_i32 s8, s8, 2
	v_cvt_f32_u32_e32 v1, s8
	s_sub_i32 s10, 0, s8
	s_delay_alu instid0(VALU_DEP_1) | instskip(SKIP_2) | instid1(VALU_DEP_1)
	v_rcp_iflag_f32_e32 v1, v1
	s_waitcnt_depctr 0xfff
	v_mul_f32_e32 v1, 0x4f7ffffe, v1
	v_cvt_u32_f32_e32 v1, v1
	s_delay_alu instid0(VALU_DEP_1) | instskip(NEXT) | instid1(VALU_DEP_1)
	v_readfirstlane_b32 s9, v1
	s_mul_i32 s10, s10, s9
	s_delay_alu instid0(SALU_CYCLE_1) | instskip(NEXT) | instid1(SALU_CYCLE_1)
	s_mul_hi_u32 s10, s9, s10
	s_add_i32 s9, s9, s10
	s_delay_alu instid0(SALU_CYCLE_1) | instskip(NEXT) | instid1(SALU_CYCLE_1)
	s_mul_hi_u32 s9, s15, s9
	s_mul_i32 s10, s9, s8
	s_add_i32 s11, s9, 1
	s_sub_i32 s10, s15, s10
	s_delay_alu instid0(SALU_CYCLE_1)
	s_sub_i32 s12, s10, s8
	s_cmp_ge_u32 s10, s8
	s_cselect_b32 s9, s11, s9
	s_cselect_b32 s10, s12, s10
	s_add_i32 s11, s9, 1
	s_cmp_ge_u32 s10, s8
	s_cselect_b32 s12, s11, s9
	s_abs_i32 s8, s3
	s_abs_i32 s16, s7
	v_cvt_f32_u32_e32 v1, s8
	s_sub_i32 s10, 0, s8
	s_lshl_b32 s11, s15, 2
	s_mul_i32 s15, s12, s7
	s_xor_b32 s3, s7, s3
	v_rcp_iflag_f32_e32 v1, v1
	s_sub_i32 s15, s11, s15
	s_ashr_i32 s3, s3, 31
	s_waitcnt_depctr 0xfff
	v_mul_f32_e32 v1, 0x4f7ffffe, v1
	s_delay_alu instid0(VALU_DEP_1) | instskip(NEXT) | instid1(VALU_DEP_1)
	v_cvt_u32_f32_e32 v1, v1
	v_readfirstlane_b32 s9, v1
	s_delay_alu instid0(VALU_DEP_1) | instskip(NEXT) | instid1(SALU_CYCLE_1)
	s_mul_i32 s10, s10, s9
	s_mul_hi_u32 s10, s9, s10
	s_delay_alu instid0(SALU_CYCLE_1) | instskip(NEXT) | instid1(SALU_CYCLE_1)
	s_add_i32 s9, s9, s10
	s_mul_hi_u32 s9, s16, s9
	s_delay_alu instid0(SALU_CYCLE_1) | instskip(SKIP_2) | instid1(SALU_CYCLE_1)
	s_mul_i32 s10, s9, s8
	s_add_i32 s11, s9, 1
	s_sub_i32 s10, s16, s10
	s_sub_i32 s16, s10, s8
	s_cmp_ge_u32 s10, s8
	s_cselect_b32 s9, s11, s9
	s_cselect_b32 s10, s16, s10
	s_add_i32 s11, s9, 1
	s_cmp_ge_u32 s10, s8
	s_clause 0x1
	s_load_b512 s[16:31], s[0:1], 0x0
	s_load_b64 s[36:37], s[0:1], 0xb8
	s_cselect_b32 s8, s11, s9
	s_delay_alu instid0(SALU_CYCLE_1) | instskip(NEXT) | instid1(SALU_CYCLE_1)
	s_xor_b32 s8, s8, s3
	s_sub_i32 s38, s8, s3
	s_delay_alu instid0(SALU_CYCLE_1) | instskip(NEXT) | instid1(SALU_CYCLE_1)
	s_abs_i32 s33, s38
	v_cvt_f32_u32_e32 v1, s33
	s_delay_alu instid0(VALU_DEP_1) | instskip(SKIP_4) | instid1(VALU_DEP_1)
	v_rcp_iflag_f32_e32 v1, v1
	s_waitcnt lgkmcnt(0)
	s_cmp_eq_u64 s[22:23], 0
	s_waitcnt_depctr 0xfff
	v_mul_f32_e32 v1, 0x4f7ffffe, v1
	v_cvt_u32_f32_e32 v1, v1
	s_delay_alu instid0(VALU_DEP_1)
	v_readfirstlane_b32 s39, v1
	s_cbranch_scc1 .LBB32_2
; %bb.1:
	s_abs_i32 s3, s36
	s_abs_i32 s10, s12
	v_cvt_f32_u32_e32 v1, s3
	s_sub_i32 s9, 0, s3
	s_delay_alu instid0(VALU_DEP_1) | instskip(SKIP_2) | instid1(VALU_DEP_1)
	v_rcp_iflag_f32_e32 v1, v1
	s_waitcnt_depctr 0xfff
	v_mul_f32_e32 v1, 0x4f7ffffe, v1
	v_cvt_u32_f32_e32 v1, v1
	s_delay_alu instid0(VALU_DEP_1) | instskip(NEXT) | instid1(VALU_DEP_1)
	v_readfirstlane_b32 s8, v1
	s_mul_i32 s9, s9, s8
	s_delay_alu instid0(SALU_CYCLE_1) | instskip(NEXT) | instid1(SALU_CYCLE_1)
	s_mul_hi_u32 s9, s8, s9
	s_add_i32 s11, s8, s9
	s_load_b64 s[8:9], s[0:1], 0xc8
	s_mul_hi_u32 s11, s10, s11
	s_delay_alu instid0(SALU_CYCLE_1) | instskip(NEXT) | instid1(SALU_CYCLE_1)
	s_mul_i32 s11, s11, s3
	s_sub_i32 s10, s10, s11
	s_ashr_i32 s11, s12, 31
	s_sub_i32 s34, s10, s3
	s_cmp_ge_u32 s10, s3
	s_cselect_b32 s10, s34, s10
	s_delay_alu instid0(SALU_CYCLE_1) | instskip(SKIP_2) | instid1(SALU_CYCLE_1)
	s_sub_i32 s34, s10, s3
	s_cmp_ge_u32 s10, s3
	s_cselect_b32 s3, s34, s10
	s_xor_b32 s3, s3, s11
	s_delay_alu instid0(SALU_CYCLE_1)
	s_sub_i32 s3, s3, s11
	s_waitcnt lgkmcnt(0)
	s_mul_i32 s9, s3, s9
	s_mul_hi_u32 s10, s3, s8
	s_ashr_i32 s11, s3, 31
	s_add_i32 s9, s10, s9
	s_mul_i32 s11, s11, s8
	s_mul_i32 s3, s3, s8
	s_add_i32 s9, s9, s11
	s_add_u32 s34, s22, s3
	s_addc_u32 s35, s23, s9
.LBB32_2:
	v_bfe_u32 v1, v0, 10, 10
	s_load_b128 s[8:11], s[0:1], 0x70
	v_and_b32_e32 v84, 0x3ff, v0
	s_delay_alu instid0(VALU_DEP_2) | instskip(SKIP_1) | instid1(VALU_DEP_2)
	v_lshrrev_b32_e32 v2, 2, v1
	v_and_b32_e32 v100, 3, v1
	v_add_nc_u32_e32 v85, s13, v2
	s_delay_alu instid0(VALU_DEP_1) | instskip(SKIP_3) | instid1(VALU_DEP_1)
	v_mul_hi_u32 v2, s4, v85
	s_waitcnt lgkmcnt(0)
	s_mul_i32 s3, s12, s10
	s_mul_i32 s4, s15, s9
	v_add_nc_u32_e32 v2, v85, v2
	s_delay_alu instid0(VALU_DEP_1)
	v_lshrrev_b32_e32 v2, s5, v2
	s_ashr_i32 s5, s3, 31
	s_add_u32 s3, s16, s3
	s_addc_u32 s5, s17, s5
	s_ashr_i32 s10, s4, 31
	v_mul_lo_u32 v2, v2, s6
	s_add_u32 s3, s3, s4
	s_addc_u32 s4, s5, s10
	s_ashr_i32 s5, s9, 31
	s_ashr_i32 s10, s8, 31
	v_alignbit_b32 v5, s5, s9, 2
	v_alignbit_b32 v7, s10, s8, 2
	s_lshr_b32 s5, s5, 2
	v_sub_nc_u32_e32 v2, v85, v2
	s_delay_alu instid0(VALU_DEP_3) | instskip(NEXT) | instid1(VALU_DEP_2)
	v_mad_u64_u32 v[3:4], null, v5, v100, 0
	v_mad_u64_u32 v[5:6], null, v7, v2, 0
	s_delay_alu instid0(VALU_DEP_1) | instskip(SKIP_2) | instid1(VALU_DEP_1)
	v_mad_u64_u32 v[7:8], null, s5, v100, v[4:5]
	s_lshr_b32 s5, s10, 2
	s_cmp_eq_u64 s[26:27], 0
	v_mov_b32_e32 v4, v7
	s_delay_alu instid0(VALU_DEP_3) | instskip(NEXT) | instid1(VALU_DEP_2)
	v_mad_u64_u32 v[8:9], null, s5, v2, v[6:7]
	v_lshlrev_b64 v[3:4], 2, v[3:4]
	s_delay_alu instid0(VALU_DEP_2) | instskip(NEXT) | instid1(VALU_DEP_2)
	v_mov_b32_e32 v6, v8
	v_add_co_u32 v0, vcc_lo, s3, v3
	s_delay_alu instid0(VALU_DEP_3) | instskip(NEXT) | instid1(VALU_DEP_3)
	v_add_co_ci_u32_e32 v3, vcc_lo, s4, v4, vcc_lo
	v_lshlrev_b64 v[5:6], 2, v[5:6]
	v_lshlrev_b32_e32 v4, 4, v84
	s_load_b32 s3, s[0:1], 0x40
	s_delay_alu instid0(VALU_DEP_2) | instskip(NEXT) | instid1(VALU_DEP_3)
	v_add_co_u32 v0, vcc_lo, v0, v5
	v_add_co_ci_u32_e32 v3, vcc_lo, v3, v6, vcc_lo
	s_delay_alu instid0(VALU_DEP_2) | instskip(NEXT) | instid1(VALU_DEP_2)
	v_add_co_u32 v16, vcc_lo, v0, v4
	v_add_co_ci_u32_e32 v17, vcc_lo, 0, v3, vcc_lo
	v_lshlrev_b32_e32 v3, 10, v1
	s_clause 0x3
	global_load_b128 v[4:7], v[16:17], off
	global_load_b128 v[8:11], v[16:17], off offset:512
	global_load_b128 v[12:15], v[16:17], off offset:1024
	;; [unrolled: 1-line block ×3, first 2 shown]
	v_lshl_or_b32 v0, v84, 3, v3
	s_delay_alu instid0(VALU_DEP_1)
	v_add_nc_u32_e32 v0, 0x2000, v0
	s_waitcnt vmcnt(3) lgkmcnt(0)
	v_fma_mixlo_f16 v20, v4, s3, 0
	v_fma_mixlo_f16 v21, v6, s3, 0
	s_waitcnt vmcnt(2)
	v_fma_mixlo_f16 v22, v8, s3, 0
	v_fma_mixlo_f16 v23, v10, s3, 0
	s_waitcnt vmcnt(1)
	v_fma_mixlo_f16 v24, v12, s3, 0
	v_fma_mixlo_f16 v25, v14, s3, 0
	s_waitcnt vmcnt(0)
	v_fma_mixlo_f16 v26, v16, s3, 0
	v_fma_mixlo_f16 v27, v18, s3, 0
	v_fma_mixhi_f16 v21, v7, s3, 0
	v_fma_mixhi_f16 v20, v5, s3, 0
	v_fma_mixhi_f16 v23, v11, s3, 0
	v_fma_mixhi_f16 v22, v9, s3, 0
	v_fma_mixhi_f16 v25, v15, s3, 0
	v_fma_mixhi_f16 v24, v13, s3, 0
	v_fma_mixhi_f16 v27, v19, s3, 0
	v_fma_mixhi_f16 v26, v17, s3, 0
	s_mov_b32 s3, 0
	ds_store_2addr_b64 v0, v[20:21], v[22:23] offset0:128 offset1:160
	ds_store_2addr_b64 v0, v[24:25], v[26:27] offset0:192 offset1:224
	s_waitcnt lgkmcnt(0)
	s_barrier
	buffer_gl0_inv
	s_cbranch_scc1 .LBB32_4
; %bb.3:
	s_load_b32 s2, s[0:1], 0xd0
	s_waitcnt lgkmcnt(0)
	s_mul_i32 s2, s2, s12
	s_delay_alu instid0(SALU_CYCLE_1) | instskip(NEXT) | instid1(SALU_CYCLE_1)
	s_add_i32 s2, s2, s13
	s_lshl_b64 s[2:3], s[2:3], 2
	s_delay_alu instid0(SALU_CYCLE_1)
	s_add_u32 s2, s26, s2
	s_addc_u32 s3, s27, s3
	s_load_b32 s2, s[2:3], 0x0
.LBB32_4:
	v_lshlrev_b32_e32 v101, 2, v84
	v_mbcnt_lo_u32_b32 v102, -1, 0
	s_lshl_b32 s3, s14, 6
	s_waitcnt lgkmcnt(0)
	s_cmp_lt_i32 s3, s2
	s_cbranch_scc1 .LBB32_6
; %bb.5:
	v_mbcnt_lo_u32_b32 v5, -1, 0
	v_mov_b32_e32 v4, 32
	s_mov_b32 s4, 0
	s_mov_b32 s5, 0xfeffffff
	s_delay_alu instid0(VALU_DEP_2)
	v_xor_b32_e32 v127, 16, v5
	v_xor_b32_e32 v128, 8, v5
	;; [unrolled: 1-line block ×5, first 2 shown]
	s_branch .LBB32_7
.LBB32_6:
	s_mov_b32 s4, -1
                                        ; implicit-def: $sgpr5
                                        ; implicit-def: $vgpr5
                                        ; implicit-def: $vgpr4
                                        ; implicit-def: $vgpr127
                                        ; implicit-def: $vgpr128
                                        ; implicit-def: $vgpr129
                                        ; implicit-def: $vgpr130
                                        ; implicit-def: $vgpr131
.LBB32_7:
	s_delay_alu instid0(SALU_CYCLE_1) | instskip(SKIP_2) | instid1(VALU_DEP_3)
	v_cndmask_b32_e64 v6, 0, 1, s4
	v_dual_mov_b32 v123, s4 :: v_dual_mov_b32 v0, s4
	v_dual_mov_b32 v99, s5 :: v_dual_mov_b32 v122, s4
	v_cmp_ne_u32_e32 vcc_lo, 1, v6
	v_dual_mov_b32 v125, s4 :: v_dual_mov_b32 v124, s4
	v_dual_mov_b32 v120, s4 :: v_dual_mov_b32 v121, s4
	;; [unrolled: 1-line block ×3, first 2 shown]
	s_cbranch_vccnz .LBB32_20
; %bb.8:
	s_clause 0x1
	s_load_b128 s[8:11], s[0:1], 0x98
	s_load_b64 s[4:5], s[0:1], 0x8c
	s_sub_i32 s13, 0, s33
	s_abs_i32 s17, s15
	s_mul_i32 s13, s13, s39
	s_ashr_i32 s27, s38, 31
	s_mul_hi_u32 s13, s39, s13
	s_ashr_i32 s38, s12, 31
	s_add_i32 s39, s39, s13
	s_ashr_i32 s36, s37, 1
	s_mul_hi_u32 s37, s17, s39
	s_ashr_i32 s26, s15, 31
	s_load_b64 s[22:23], s[0:1], 0xa8
	s_mul_i32 s39, s37, s33
	v_lshrrev_b32_e32 v0, 3, v84
	v_dual_mov_b32 v119, 0 :: v_dual_and_b32 v12, 28, v101
	v_mov_b32_e32 v118, 0
	v_mad_u64_u32 v[86:87], null, v2, s36, v[84:85]
	s_waitcnt lgkmcnt(0)
	s_mul_i32 s40, s38, s8
	s_ashr_i32 s16, s4, 2
	s_mul_i32 s4, s12, s9
	s_mul_hi_u32 s9, s12, s8
	s_mul_i32 s8, s12, s8
	s_add_i32 s4, s9, s4
	s_ashr_i32 s13, s10, 2
	s_add_i32 s4, s4, s40
	s_add_u32 s8, s18, s8
	s_addc_u32 s4, s19, s4
	s_sub_i32 s17, s17, s39
	s_xor_b32 s9, s26, s27
	s_add_i32 s18, s37, 1
	s_sub_i32 s19, s17, s33
	s_cmp_ge_u32 s17, s33
	v_lshl_add_u32 v0, v1, 2, v0
	s_cselect_b32 s18, s18, s37
	s_cselect_b32 s17, s19, s17
	s_add_i32 s19, s18, 1
	s_cmp_ge_u32 s17, s33
	s_mul_i32 s38, s38, s22
	s_cselect_b32 s17, s19, s18
	s_mul_i32 s18, s12, s23
	s_xor_b32 s17, s17, s9
	s_mul_hi_u32 s19, s12, s22
	s_sub_i32 s17, s17, s9
	v_mul_lo_u32 v4, s16, v0
	s_mul_i32 s5, s17, s5
	s_mul_i32 s22, s12, s22
	s_ashr_i32 s9, s5, 31
	s_add_u32 s8, s8, s5
	s_addc_u32 s9, s4, s9
	s_add_i32 s4, s19, s18
	s_mul_i32 s17, s17, s11
	s_add_i32 s4, s4, s38
	s_add_u32 s5, s20, s22
	s_addc_u32 s4, s21, s4
	s_ashr_i32 s18, s17, 31
	s_add_u32 s11, s5, s17
	s_addc_u32 s17, s4, s18
	s_lshl_b32 s4, s16, 4
	v_lshlrev_b32_e32 v5, 2, v12
	v_dual_mov_b32 v121, 0 :: v_dual_add_nc_u32 v6, s4, v4
	s_load_b32 s18, s[0:1], 0x54
	v_mov_b32_e32 v125, 0
	s_delay_alu instid0(VALU_DEP_3)
	v_mad_u32_u24 v103, 0x90, v0, v5
	v_mul_lo_u32 v0, s13, v1
	v_add_nc_u32_e32 v8, s4, v6
	v_ashrrev_i32_e32 v5, 31, v4
	v_ashrrev_i32_e32 v7, 31, v6
	v_dual_mov_b32 v124, 0 :: v_dual_add_nc_u32 v107, 0x2400, v3
	s_delay_alu instid0(VALU_DEP_4) | instskip(SKIP_3) | instid1(VALU_DEP_3)
	v_dual_mov_b32 v117, 0 :: v_dual_add_nc_u32 v10, s4, v8
	s_and_b32 s4, s10, -4
	v_ashrrev_i32_e32 v9, 31, v8
	v_add_nc_u32_e32 v2, s4, v0
	v_ashrrev_i32_e32 v11, 31, v10
	v_lshl_add_u32 v109, v1, 7, 0x3400
	v_lshl_add_u32 v110, v101, 2, v3
	v_ashrrev_i32_e32 v1, 31, v0
	v_ashrrev_i32_e32 v3, 31, v2
	v_lshlrev_b64 v[87:88], 2, v[4:5]
	v_lshlrev_b64 v[89:90], 2, v[6:7]
	;; [unrolled: 1-line block ×6, first 2 shown]
	v_dual_mov_b32 v123, 0 :: v_dual_add_nc_u32 v104, 0x900, v103
	v_dual_mov_b32 v120, 0 :: v_dual_add_nc_u32 v105, 0x1200, v103
	v_add_nc_u32_e32 v106, 0x1b00, v103
	v_mul_u32_u24_e32 v108, 0x90, v84
	v_lshl_add_u32 v111, v84, 1, v109
	v_add_nc_u32_e32 v112, 0x200, v110
	v_dual_mov_b32 v122, 0 :: v_dual_add_nc_u32 v113, 0x1000, v110
	v_add_nc_u32_e32 v114, 0x1200, v110
	v_dual_mov_b32 v126, 0xfeffffff :: v_dual_lshlrev_b32 v115, 3, v84
	v_lshlrev_b32_e32 v116, 2, v12
	s_add_u32 s4, s0, 0xd0
	s_addc_u32 s5, s1, 0
	s_mov_b32 s10, 0xbbbac73d
.LBB32_9:                               ; =>This Inner Loop Header: Depth=1
	s_mul_hi_i32 s21, s3, s16
	s_mul_i32 s20, s3, s16
	s_delay_alu instid0(SALU_CYCLE_1) | instskip(NEXT) | instid1(SALU_CYCLE_1)
	s_lshl_b64 s[20:21], s[20:21], 2
	s_add_u32 s19, s8, s20
	s_addc_u32 s20, s9, s21
	v_add_co_u32 v0, vcc_lo, s19, v87
	v_add_co_ci_u32_e32 v1, vcc_lo, s20, v88, vcc_lo
	v_add_co_u32 v2, vcc_lo, s19, v89
	v_add_co_ci_u32_e32 v3, vcc_lo, s20, v90, vcc_lo
	s_delay_alu instid0(VALU_DEP_4) | instskip(NEXT) | instid1(VALU_DEP_4)
	v_add_co_u32 v0, vcc_lo, v0, v116
	v_add_co_ci_u32_e32 v1, vcc_lo, 0, v1, vcc_lo
	s_delay_alu instid0(VALU_DEP_4) | instskip(NEXT) | instid1(VALU_DEP_4)
	v_add_co_u32 v2, vcc_lo, v2, v116
	v_add_co_ci_u32_e32 v3, vcc_lo, 0, v3, vcc_lo
	v_add_co_u32 v4, vcc_lo, s19, v91
	v_add_co_ci_u32_e32 v5, vcc_lo, s20, v92, vcc_lo
	;; [unrolled: 2-line block ×3, first 2 shown]
	s_delay_alu instid0(VALU_DEP_4) | instskip(NEXT) | instid1(VALU_DEP_4)
	v_add_co_u32 v4, vcc_lo, v4, v116
	v_add_co_ci_u32_e32 v5, vcc_lo, 0, v5, vcc_lo
	s_delay_alu instid0(VALU_DEP_4) | instskip(NEXT) | instid1(VALU_DEP_4)
	v_add_co_u32 v6, vcc_lo, v6, v116
	v_add_co_ci_u32_e32 v7, vcc_lo, 0, v7, vcc_lo
	s_clause 0x3
	global_load_b128 v[8:11], v[0:1], off
	global_load_b128 v[12:15], v[2:3], off
	;; [unrolled: 1-line block ×4, first 2 shown]
	s_waitcnt vmcnt(3)
	ds_store_b128 v103, v[8:11]
	s_waitcnt vmcnt(2)
	ds_store_b128 v104, v[12:15]
	;; [unrolled: 2-line block ×4, first 2 shown]
	s_waitcnt lgkmcnt(0)
	s_barrier
	buffer_gl0_inv
	ds_load_b128 v[10:13], v108
	ds_load_b128 v[14:17], v107
	ds_load_b128 v[18:21], v108 offset:4608
	v_dual_mov_b32 v8, 0 :: v_dual_mov_b32 v9, 0
	s_waitcnt lgkmcnt(1)
	;;#ASMSTART
	v_dot2_f32_f16 v8, v10, v14, v8
	;;#ASMEND
	;;#ASMSTART
	v_dot2_f32_f16 v8, v11, v15, v8
	;;#ASMEND
	;;#ASMSTART
	v_dot2_f32_f16 v8, v12, v16, v8
	;;#ASMEND
	;;#ASMSTART
	v_dot2_f32_f16 v8, v13, v17, v8
	;;#ASMEND
	s_waitcnt lgkmcnt(0)
	;;#ASMSTART
	v_dot2_f32_f16 v9, v18, v14, v9
	;;#ASMEND
	;;#ASMSTART
	v_dot2_f32_f16 v9, v19, v15, v9
	;;#ASMEND
	;;#ASMSTART
	v_dot2_f32_f16 v9, v20, v16, v9
	;;#ASMEND
	;;#ASMSTART
	v_dot2_f32_f16 v9, v21, v17, v9
	;;#ASMEND
	ds_load_b128 v[10:13], v108 offset:16
	ds_load_b128 v[14:17], v107 offset:16
	ds_load_b128 v[18:21], v108 offset:4624
	s_waitcnt lgkmcnt(1)
	;;#ASMSTART
	v_dot2_f32_f16 v8, v10, v14, v8
	;;#ASMEND
	;;#ASMSTART
	v_dot2_f32_f16 v8, v11, v15, v8
	;;#ASMEND
	;;#ASMSTART
	v_dot2_f32_f16 v8, v12, v16, v8
	;;#ASMEND
	;;#ASMSTART
	v_dot2_f32_f16 v8, v13, v17, v8
	;;#ASMEND
	s_waitcnt lgkmcnt(0)
	;;#ASMSTART
	v_dot2_f32_f16 v9, v18, v14, v9
	;;#ASMEND
	;;#ASMSTART
	v_dot2_f32_f16 v9, v19, v15, v9
	;;#ASMEND
	;;#ASMSTART
	v_dot2_f32_f16 v9, v20, v16, v9
	;;#ASMEND
	;;#ASMSTART
	v_dot2_f32_f16 v9, v21, v17, v9
	;;#ASMEND
	ds_load_b128 v[10:13], v108 offset:32
	ds_load_b128 v[14:17], v107 offset:32
	ds_load_b128 v[18:21], v108 offset:4640
	;; [unrolled: 29-line block ×7, first 2 shown]
	s_waitcnt lgkmcnt(1)
	;;#ASMSTART
	v_dot2_f32_f16 v8, v10, v14, v8
	;;#ASMEND
	;;#ASMSTART
	v_dot2_f32_f16 v8, v11, v15, v8
	;;#ASMEND
	;;#ASMSTART
	v_dot2_f32_f16 v8, v12, v16, v8
	;;#ASMEND
	;;#ASMSTART
	v_dot2_f32_f16 v8, v13, v17, v8
	;;#ASMEND
	s_waitcnt lgkmcnt(0)
	;;#ASMSTART
	v_dot2_f32_f16 v9, v18, v14, v9
	;;#ASMEND
	;;#ASMSTART
	v_dot2_f32_f16 v9, v19, v15, v9
	;;#ASMEND
	;; [unrolled: 3-line block ×4, first 2 shown]
	s_barrier
	buffer_gl0_inv
	s_clause 0x3
	global_load_b128 v[10:13], v[0:1], off offset:128
	global_load_b128 v[14:17], v[2:3], off offset:128
	;; [unrolled: 1-line block ×4, first 2 shown]
	s_waitcnt vmcnt(3)
	ds_store_b128 v103, v[10:13]
	s_waitcnt vmcnt(2)
	ds_store_b128 v104, v[14:17]
	;; [unrolled: 2-line block ×4, first 2 shown]
	s_waitcnt lgkmcnt(0)
	s_barrier
	buffer_gl0_inv
	ds_load_b128 v[10:13], v108
	ds_load_b128 v[14:17], v107 offset:128
	ds_load_b128 v[18:21], v108 offset:4608
	s_waitcnt lgkmcnt(1)
	;;#ASMSTART
	v_dot2_f32_f16 v8, v10, v14, v8
	;;#ASMEND
	;;#ASMSTART
	v_dot2_f32_f16 v8, v11, v15, v8
	;;#ASMEND
	;;#ASMSTART
	v_dot2_f32_f16 v8, v12, v16, v8
	;;#ASMEND
	;;#ASMSTART
	v_dot2_f32_f16 v8, v13, v17, v8
	;;#ASMEND
	s_waitcnt lgkmcnt(0)
	;;#ASMSTART
	v_dot2_f32_f16 v9, v18, v14, v9
	;;#ASMEND
	;;#ASMSTART
	v_dot2_f32_f16 v9, v19, v15, v9
	;;#ASMEND
	;;#ASMSTART
	v_dot2_f32_f16 v9, v20, v16, v9
	;;#ASMEND
	;;#ASMSTART
	v_dot2_f32_f16 v9, v21, v17, v9
	;;#ASMEND
	ds_load_b128 v[10:13], v108 offset:16
	ds_load_b128 v[14:17], v107 offset:144
	ds_load_b128 v[18:21], v108 offset:4624
	s_waitcnt lgkmcnt(1)
	;;#ASMSTART
	v_dot2_f32_f16 v8, v10, v14, v8
	;;#ASMEND
	;;#ASMSTART
	v_dot2_f32_f16 v8, v11, v15, v8
	;;#ASMEND
	;;#ASMSTART
	v_dot2_f32_f16 v8, v12, v16, v8
	;;#ASMEND
	;;#ASMSTART
	v_dot2_f32_f16 v8, v13, v17, v8
	;;#ASMEND
	s_waitcnt lgkmcnt(0)
	;;#ASMSTART
	v_dot2_f32_f16 v9, v18, v14, v9
	;;#ASMEND
	;;#ASMSTART
	v_dot2_f32_f16 v9, v19, v15, v9
	;;#ASMEND
	;;#ASMSTART
	v_dot2_f32_f16 v9, v20, v16, v9
	;;#ASMEND
	;;#ASMSTART
	v_dot2_f32_f16 v9, v21, v17, v9
	;;#ASMEND
	ds_load_b128 v[10:13], v108 offset:32
	;; [unrolled: 29-line block ×7, first 2 shown]
	ds_load_b128 v[14:17], v107 offset:240
	ds_load_b128 v[18:21], v108 offset:4720
	s_waitcnt lgkmcnt(1)
	;;#ASMSTART
	v_dot2_f32_f16 v8, v10, v14, v8
	;;#ASMEND
	;;#ASMSTART
	v_dot2_f32_f16 v8, v11, v15, v8
	;;#ASMEND
	;; [unrolled: 3-line block ×4, first 2 shown]
	s_waitcnt lgkmcnt(0)
	;;#ASMSTART
	v_dot2_f32_f16 v9, v18, v14, v9
	;;#ASMEND
	;;#ASMSTART
	v_dot2_f32_f16 v9, v19, v15, v9
	;;#ASMEND
	;; [unrolled: 3-line block ×4, first 2 shown]
	s_barrier
	buffer_gl0_inv
	s_clause 0x3
	global_load_b128 v[10:13], v[0:1], off offset:256
	global_load_b128 v[14:17], v[2:3], off offset:256
	;; [unrolled: 1-line block ×4, first 2 shown]
	s_waitcnt vmcnt(3)
	ds_store_b128 v103, v[10:13]
	s_waitcnt vmcnt(2)
	ds_store_b128 v104, v[14:17]
	;; [unrolled: 2-line block ×4, first 2 shown]
	s_waitcnt lgkmcnt(0)
	s_barrier
	buffer_gl0_inv
	ds_load_b128 v[10:13], v108
	ds_load_b128 v[14:17], v107 offset:256
	ds_load_b128 v[18:21], v108 offset:4608
	s_waitcnt lgkmcnt(1)
	;;#ASMSTART
	v_dot2_f32_f16 v8, v10, v14, v8
	;;#ASMEND
	;;#ASMSTART
	v_dot2_f32_f16 v8, v11, v15, v8
	;;#ASMEND
	;;#ASMSTART
	v_dot2_f32_f16 v8, v12, v16, v8
	;;#ASMEND
	;;#ASMSTART
	v_dot2_f32_f16 v8, v13, v17, v8
	;;#ASMEND
	s_waitcnt lgkmcnt(0)
	;;#ASMSTART
	v_dot2_f32_f16 v9, v18, v14, v9
	;;#ASMEND
	;;#ASMSTART
	v_dot2_f32_f16 v9, v19, v15, v9
	;;#ASMEND
	;;#ASMSTART
	v_dot2_f32_f16 v9, v20, v16, v9
	;;#ASMEND
	;;#ASMSTART
	v_dot2_f32_f16 v9, v21, v17, v9
	;;#ASMEND
	ds_load_b128 v[10:13], v108 offset:16
	ds_load_b128 v[14:17], v107 offset:272
	ds_load_b128 v[18:21], v108 offset:4624
	s_waitcnt lgkmcnt(1)
	;;#ASMSTART
	v_dot2_f32_f16 v8, v10, v14, v8
	;;#ASMEND
	;;#ASMSTART
	v_dot2_f32_f16 v8, v11, v15, v8
	;;#ASMEND
	;;#ASMSTART
	v_dot2_f32_f16 v8, v12, v16, v8
	;;#ASMEND
	;;#ASMSTART
	v_dot2_f32_f16 v8, v13, v17, v8
	;;#ASMEND
	s_waitcnt lgkmcnt(0)
	;;#ASMSTART
	v_dot2_f32_f16 v9, v18, v14, v9
	;;#ASMEND
	;;#ASMSTART
	v_dot2_f32_f16 v9, v19, v15, v9
	;;#ASMEND
	;;#ASMSTART
	v_dot2_f32_f16 v9, v20, v16, v9
	;;#ASMEND
	;;#ASMSTART
	v_dot2_f32_f16 v9, v21, v17, v9
	;;#ASMEND
	ds_load_b128 v[10:13], v108 offset:32
	ds_load_b128 v[14:17], v107 offset:288
	ds_load_b128 v[18:21], v108 offset:4640
	s_waitcnt lgkmcnt(1)
	;;#ASMSTART
	v_dot2_f32_f16 v8, v10, v14, v8
	;;#ASMEND
	;;#ASMSTART
	v_dot2_f32_f16 v8, v11, v15, v8
	;;#ASMEND
	;;#ASMSTART
	v_dot2_f32_f16 v8, v12, v16, v8
	;;#ASMEND
	;;#ASMSTART
	v_dot2_f32_f16 v8, v13, v17, v8
	;;#ASMEND
	s_waitcnt lgkmcnt(0)
	;;#ASMSTART
	v_dot2_f32_f16 v9, v18, v14, v9
	;;#ASMEND
	;;#ASMSTART
	v_dot2_f32_f16 v9, v19, v15, v9
	;;#ASMEND
	;;#ASMSTART
	v_dot2_f32_f16 v9, v20, v16, v9
	;;#ASMEND
	;;#ASMSTART
	v_dot2_f32_f16 v9, v21, v17, v9
	;;#ASMEND
	ds_load_b128 v[10:13], v108 offset:48
	ds_load_b128 v[14:17], v107 offset:304
	ds_load_b128 v[18:21], v108 offset:4656
	s_waitcnt lgkmcnt(1)
	;;#ASMSTART
	v_dot2_f32_f16 v8, v10, v14, v8
	;;#ASMEND
	;;#ASMSTART
	v_dot2_f32_f16 v8, v11, v15, v8
	;;#ASMEND
	;;#ASMSTART
	v_dot2_f32_f16 v8, v12, v16, v8
	;;#ASMEND
	;;#ASMSTART
	v_dot2_f32_f16 v8, v13, v17, v8
	;;#ASMEND
	s_waitcnt lgkmcnt(0)
	;;#ASMSTART
	v_dot2_f32_f16 v9, v18, v14, v9
	;;#ASMEND
	;;#ASMSTART
	v_dot2_f32_f16 v9, v19, v15, v9
	;;#ASMEND
	;;#ASMSTART
	v_dot2_f32_f16 v9, v20, v16, v9
	;;#ASMEND
	;;#ASMSTART
	v_dot2_f32_f16 v9, v21, v17, v9
	;;#ASMEND
	ds_load_b128 v[10:13], v108 offset:64
	ds_load_b128 v[14:17], v107 offset:320
	ds_load_b128 v[18:21], v108 offset:4672
	s_waitcnt lgkmcnt(1)
	;;#ASMSTART
	v_dot2_f32_f16 v8, v10, v14, v8
	;;#ASMEND
	;;#ASMSTART
	v_dot2_f32_f16 v8, v11, v15, v8
	;;#ASMEND
	;;#ASMSTART
	v_dot2_f32_f16 v8, v12, v16, v8
	;;#ASMEND
	;;#ASMSTART
	v_dot2_f32_f16 v8, v13, v17, v8
	;;#ASMEND
	s_waitcnt lgkmcnt(0)
	;;#ASMSTART
	v_dot2_f32_f16 v9, v18, v14, v9
	;;#ASMEND
	;;#ASMSTART
	v_dot2_f32_f16 v9, v19, v15, v9
	;;#ASMEND
	;;#ASMSTART
	v_dot2_f32_f16 v9, v20, v16, v9
	;;#ASMEND
	;;#ASMSTART
	v_dot2_f32_f16 v9, v21, v17, v9
	;;#ASMEND
	ds_load_b128 v[10:13], v108 offset:80
	ds_load_b128 v[14:17], v107 offset:336
	ds_load_b128 v[18:21], v108 offset:4688
	s_waitcnt lgkmcnt(1)
	;;#ASMSTART
	v_dot2_f32_f16 v8, v10, v14, v8
	;;#ASMEND
	;;#ASMSTART
	v_dot2_f32_f16 v8, v11, v15, v8
	;;#ASMEND
	;;#ASMSTART
	v_dot2_f32_f16 v8, v12, v16, v8
	;;#ASMEND
	;;#ASMSTART
	v_dot2_f32_f16 v8, v13, v17, v8
	;;#ASMEND
	s_waitcnt lgkmcnt(0)
	;;#ASMSTART
	v_dot2_f32_f16 v9, v18, v14, v9
	;;#ASMEND
	;;#ASMSTART
	v_dot2_f32_f16 v9, v19, v15, v9
	;;#ASMEND
	;;#ASMSTART
	v_dot2_f32_f16 v9, v20, v16, v9
	;;#ASMEND
	;;#ASMSTART
	v_dot2_f32_f16 v9, v21, v17, v9
	;;#ASMEND
	ds_load_b128 v[10:13], v108 offset:96
	ds_load_b128 v[14:17], v107 offset:352
	ds_load_b128 v[18:21], v108 offset:4704
	s_waitcnt lgkmcnt(1)
	;;#ASMSTART
	v_dot2_f32_f16 v8, v10, v14, v8
	;;#ASMEND
	;;#ASMSTART
	v_dot2_f32_f16 v8, v11, v15, v8
	;;#ASMEND
	;;#ASMSTART
	v_dot2_f32_f16 v8, v12, v16, v8
	;;#ASMEND
	;;#ASMSTART
	v_dot2_f32_f16 v8, v13, v17, v8
	;;#ASMEND
	s_waitcnt lgkmcnt(0)
	;;#ASMSTART
	v_dot2_f32_f16 v9, v18, v14, v9
	;;#ASMEND
	;;#ASMSTART
	v_dot2_f32_f16 v9, v19, v15, v9
	;;#ASMEND
	;;#ASMSTART
	v_dot2_f32_f16 v9, v20, v16, v9
	;;#ASMEND
	;;#ASMSTART
	v_dot2_f32_f16 v9, v21, v17, v9
	;;#ASMEND
	ds_load_b128 v[10:13], v108 offset:112
	ds_load_b128 v[14:17], v107 offset:368
	ds_load_b128 v[18:21], v108 offset:4720
	s_waitcnt lgkmcnt(1)
	;;#ASMSTART
	v_dot2_f32_f16 v8, v10, v14, v8
	;;#ASMEND
	;;#ASMSTART
	v_dot2_f32_f16 v8, v11, v15, v8
	;;#ASMEND
	;; [unrolled: 3-line block ×4, first 2 shown]
	s_waitcnt lgkmcnt(0)
	;;#ASMSTART
	v_dot2_f32_f16 v9, v18, v14, v9
	;;#ASMEND
	;;#ASMSTART
	v_dot2_f32_f16 v9, v19, v15, v9
	;;#ASMEND
	;;#ASMSTART
	v_dot2_f32_f16 v9, v20, v16, v9
	;;#ASMEND
	;;#ASMSTART
	v_dot2_f32_f16 v9, v21, v17, v9
	;;#ASMEND
	s_barrier
	buffer_gl0_inv
	s_clause 0x3
	global_load_b128 v[10:13], v[0:1], off offset:384
	global_load_b128 v[14:17], v[2:3], off offset:384
	;; [unrolled: 1-line block ×4, first 2 shown]
	s_waitcnt vmcnt(3)
	ds_store_b128 v103, v[10:13]
	s_waitcnt vmcnt(2)
	ds_store_b128 v104, v[14:17]
	;; [unrolled: 2-line block ×4, first 2 shown]
	s_waitcnt lgkmcnt(0)
	s_barrier
	buffer_gl0_inv
	ds_load_b128 v[10:13], v108
	ds_load_b128 v[14:17], v107 offset:384
	ds_load_b128 v[18:21], v108 offset:4608
	s_waitcnt lgkmcnt(1)
	;;#ASMSTART
	v_dot2_f32_f16 v8, v10, v14, v8
	;;#ASMEND
	;;#ASMSTART
	v_dot2_f32_f16 v8, v11, v15, v8
	;;#ASMEND
	;;#ASMSTART
	v_dot2_f32_f16 v8, v12, v16, v8
	;;#ASMEND
	;;#ASMSTART
	v_dot2_f32_f16 v8, v13, v17, v8
	;;#ASMEND
	s_waitcnt lgkmcnt(0)
	;;#ASMSTART
	v_dot2_f32_f16 v9, v18, v14, v9
	;;#ASMEND
	;;#ASMSTART
	v_dot2_f32_f16 v9, v19, v15, v9
	;;#ASMEND
	;;#ASMSTART
	v_dot2_f32_f16 v9, v20, v16, v9
	;;#ASMEND
	;;#ASMSTART
	v_dot2_f32_f16 v9, v21, v17, v9
	;;#ASMEND
	ds_load_b128 v[10:13], v108 offset:16
	ds_load_b128 v[14:17], v107 offset:400
	ds_load_b128 v[18:21], v108 offset:4624
	s_waitcnt lgkmcnt(1)
	;;#ASMSTART
	v_dot2_f32_f16 v8, v10, v14, v8
	;;#ASMEND
	;;#ASMSTART
	v_dot2_f32_f16 v8, v11, v15, v8
	;;#ASMEND
	;;#ASMSTART
	v_dot2_f32_f16 v8, v12, v16, v8
	;;#ASMEND
	;;#ASMSTART
	v_dot2_f32_f16 v8, v13, v17, v8
	;;#ASMEND
	s_waitcnt lgkmcnt(0)
	;;#ASMSTART
	v_dot2_f32_f16 v9, v18, v14, v9
	;;#ASMEND
	;;#ASMSTART
	v_dot2_f32_f16 v9, v19, v15, v9
	;;#ASMEND
	;;#ASMSTART
	v_dot2_f32_f16 v9, v20, v16, v9
	;;#ASMEND
	;;#ASMSTART
	v_dot2_f32_f16 v9, v21, v17, v9
	;;#ASMEND
	ds_load_b128 v[10:13], v108 offset:32
	ds_load_b128 v[14:17], v107 offset:416
	ds_load_b128 v[18:21], v108 offset:4640
	s_waitcnt lgkmcnt(1)
	;;#ASMSTART
	v_dot2_f32_f16 v8, v10, v14, v8
	;;#ASMEND
	;;#ASMSTART
	v_dot2_f32_f16 v8, v11, v15, v8
	;;#ASMEND
	;;#ASMSTART
	v_dot2_f32_f16 v8, v12, v16, v8
	;;#ASMEND
	;;#ASMSTART
	v_dot2_f32_f16 v8, v13, v17, v8
	;;#ASMEND
	s_waitcnt lgkmcnt(0)
	;;#ASMSTART
	v_dot2_f32_f16 v9, v18, v14, v9
	;;#ASMEND
	;;#ASMSTART
	v_dot2_f32_f16 v9, v19, v15, v9
	;;#ASMEND
	;;#ASMSTART
	v_dot2_f32_f16 v9, v20, v16, v9
	;;#ASMEND
	;;#ASMSTART
	v_dot2_f32_f16 v9, v21, v17, v9
	;;#ASMEND
	ds_load_b128 v[10:13], v108 offset:48
	ds_load_b128 v[14:17], v107 offset:432
	ds_load_b128 v[18:21], v108 offset:4656
	s_waitcnt lgkmcnt(1)
	;;#ASMSTART
	v_dot2_f32_f16 v8, v10, v14, v8
	;;#ASMEND
	;;#ASMSTART
	v_dot2_f32_f16 v8, v11, v15, v8
	;;#ASMEND
	;;#ASMSTART
	v_dot2_f32_f16 v8, v12, v16, v8
	;;#ASMEND
	;;#ASMSTART
	v_dot2_f32_f16 v8, v13, v17, v8
	;;#ASMEND
	s_waitcnt lgkmcnt(0)
	;;#ASMSTART
	v_dot2_f32_f16 v9, v18, v14, v9
	;;#ASMEND
	;;#ASMSTART
	v_dot2_f32_f16 v9, v19, v15, v9
	;;#ASMEND
	;;#ASMSTART
	v_dot2_f32_f16 v9, v20, v16, v9
	;;#ASMEND
	;;#ASMSTART
	v_dot2_f32_f16 v9, v21, v17, v9
	;;#ASMEND
	ds_load_b128 v[10:13], v108 offset:64
	ds_load_b128 v[14:17], v107 offset:448
	ds_load_b128 v[18:21], v108 offset:4672
	s_waitcnt lgkmcnt(1)
	;;#ASMSTART
	v_dot2_f32_f16 v8, v10, v14, v8
	;;#ASMEND
	;;#ASMSTART
	v_dot2_f32_f16 v8, v11, v15, v8
	;;#ASMEND
	;;#ASMSTART
	v_dot2_f32_f16 v8, v12, v16, v8
	;;#ASMEND
	;;#ASMSTART
	v_dot2_f32_f16 v8, v13, v17, v8
	;;#ASMEND
	s_waitcnt lgkmcnt(0)
	;;#ASMSTART
	v_dot2_f32_f16 v9, v18, v14, v9
	;;#ASMEND
	;;#ASMSTART
	v_dot2_f32_f16 v9, v19, v15, v9
	;;#ASMEND
	;;#ASMSTART
	v_dot2_f32_f16 v9, v20, v16, v9
	;;#ASMEND
	;;#ASMSTART
	v_dot2_f32_f16 v9, v21, v17, v9
	;;#ASMEND
	ds_load_b128 v[10:13], v108 offset:80
	ds_load_b128 v[14:17], v107 offset:464
	ds_load_b128 v[18:21], v108 offset:4688
	s_waitcnt lgkmcnt(1)
	;;#ASMSTART
	v_dot2_f32_f16 v8, v10, v14, v8
	;;#ASMEND
	;;#ASMSTART
	v_dot2_f32_f16 v8, v11, v15, v8
	;;#ASMEND
	;;#ASMSTART
	v_dot2_f32_f16 v8, v12, v16, v8
	;;#ASMEND
	;;#ASMSTART
	v_dot2_f32_f16 v8, v13, v17, v8
	;;#ASMEND
	s_waitcnt lgkmcnt(0)
	;;#ASMSTART
	v_dot2_f32_f16 v9, v18, v14, v9
	;;#ASMEND
	;;#ASMSTART
	v_dot2_f32_f16 v9, v19, v15, v9
	;;#ASMEND
	;;#ASMSTART
	v_dot2_f32_f16 v9, v20, v16, v9
	;;#ASMEND
	;;#ASMSTART
	v_dot2_f32_f16 v9, v21, v17, v9
	;;#ASMEND
	ds_load_b128 v[10:13], v108 offset:96
	ds_load_b128 v[14:17], v107 offset:480
	ds_load_b128 v[18:21], v108 offset:4704
	s_waitcnt lgkmcnt(1)
	;;#ASMSTART
	v_dot2_f32_f16 v8, v10, v14, v8
	;;#ASMEND
	;;#ASMSTART
	v_dot2_f32_f16 v8, v11, v15, v8
	;;#ASMEND
	;;#ASMSTART
	v_dot2_f32_f16 v8, v12, v16, v8
	;;#ASMEND
	;;#ASMSTART
	v_dot2_f32_f16 v8, v13, v17, v8
	;;#ASMEND
	s_waitcnt lgkmcnt(0)
	;;#ASMSTART
	v_dot2_f32_f16 v9, v18, v14, v9
	;;#ASMEND
	;;#ASMSTART
	v_dot2_f32_f16 v9, v19, v15, v9
	;;#ASMEND
	;;#ASMSTART
	v_dot2_f32_f16 v9, v20, v16, v9
	;;#ASMEND
	;;#ASMSTART
	v_dot2_f32_f16 v9, v21, v17, v9
	;;#ASMEND
	ds_load_b128 v[10:13], v108 offset:112
	ds_load_b128 v[14:17], v107 offset:496
	ds_load_b128 v[18:21], v108 offset:4720
	s_waitcnt lgkmcnt(1)
	;;#ASMSTART
	v_dot2_f32_f16 v8, v10, v14, v8
	;;#ASMEND
	;;#ASMSTART
	v_dot2_f32_f16 v8, v11, v15, v8
	;;#ASMEND
	;; [unrolled: 3-line block ×4, first 2 shown]
	s_waitcnt lgkmcnt(0)
	;;#ASMSTART
	v_dot2_f32_f16 v9, v18, v14, v9
	;;#ASMEND
	;;#ASMSTART
	v_dot2_f32_f16 v9, v19, v15, v9
	;;#ASMEND
	;; [unrolled: 3-line block ×4, first 2 shown]
	s_barrier
	buffer_gl0_inv
	s_clause 0x3
	global_load_b128 v[10:13], v[0:1], off offset:512
	global_load_b128 v[14:17], v[2:3], off offset:512
	;; [unrolled: 1-line block ×4, first 2 shown]
	s_waitcnt vmcnt(3)
	ds_store_b128 v103, v[10:13]
	s_waitcnt vmcnt(2)
	ds_store_b128 v104, v[14:17]
	;; [unrolled: 2-line block ×4, first 2 shown]
	s_waitcnt lgkmcnt(0)
	s_barrier
	buffer_gl0_inv
	ds_load_b128 v[10:13], v108
	ds_load_b128 v[14:17], v107 offset:512
	ds_load_b128 v[18:21], v108 offset:4608
	s_waitcnt lgkmcnt(1)
	;;#ASMSTART
	v_dot2_f32_f16 v8, v10, v14, v8
	;;#ASMEND
	;;#ASMSTART
	v_dot2_f32_f16 v8, v11, v15, v8
	;;#ASMEND
	;;#ASMSTART
	v_dot2_f32_f16 v8, v12, v16, v8
	;;#ASMEND
	;;#ASMSTART
	v_dot2_f32_f16 v8, v13, v17, v8
	;;#ASMEND
	s_waitcnt lgkmcnt(0)
	;;#ASMSTART
	v_dot2_f32_f16 v9, v18, v14, v9
	;;#ASMEND
	;;#ASMSTART
	v_dot2_f32_f16 v9, v19, v15, v9
	;;#ASMEND
	;;#ASMSTART
	v_dot2_f32_f16 v9, v20, v16, v9
	;;#ASMEND
	;;#ASMSTART
	v_dot2_f32_f16 v9, v21, v17, v9
	;;#ASMEND
	ds_load_b128 v[10:13], v108 offset:16
	ds_load_b128 v[14:17], v107 offset:528
	ds_load_b128 v[18:21], v108 offset:4624
	s_waitcnt lgkmcnt(1)
	;;#ASMSTART
	v_dot2_f32_f16 v8, v10, v14, v8
	;;#ASMEND
	;;#ASMSTART
	v_dot2_f32_f16 v8, v11, v15, v8
	;;#ASMEND
	;;#ASMSTART
	v_dot2_f32_f16 v8, v12, v16, v8
	;;#ASMEND
	;;#ASMSTART
	v_dot2_f32_f16 v8, v13, v17, v8
	;;#ASMEND
	s_waitcnt lgkmcnt(0)
	;;#ASMSTART
	v_dot2_f32_f16 v9, v18, v14, v9
	;;#ASMEND
	;;#ASMSTART
	v_dot2_f32_f16 v9, v19, v15, v9
	;;#ASMEND
	;;#ASMSTART
	v_dot2_f32_f16 v9, v20, v16, v9
	;;#ASMEND
	;;#ASMSTART
	v_dot2_f32_f16 v9, v21, v17, v9
	;;#ASMEND
	ds_load_b128 v[10:13], v108 offset:32
	;; [unrolled: 29-line block ×7, first 2 shown]
	ds_load_b128 v[14:17], v107 offset:624
	ds_load_b128 v[18:21], v108 offset:4720
	s_waitcnt lgkmcnt(1)
	;;#ASMSTART
	v_dot2_f32_f16 v8, v10, v14, v8
	;;#ASMEND
	;;#ASMSTART
	v_dot2_f32_f16 v8, v11, v15, v8
	;;#ASMEND
	;; [unrolled: 3-line block ×4, first 2 shown]
	s_waitcnt lgkmcnt(0)
	;;#ASMSTART
	v_dot2_f32_f16 v9, v18, v14, v9
	;;#ASMEND
	;;#ASMSTART
	v_dot2_f32_f16 v9, v19, v15, v9
	;;#ASMEND
	;; [unrolled: 3-line block ×4, first 2 shown]
	s_barrier
	buffer_gl0_inv
	s_clause 0x3
	global_load_b128 v[10:13], v[0:1], off offset:640
	global_load_b128 v[14:17], v[2:3], off offset:640
	;; [unrolled: 1-line block ×4, first 2 shown]
	s_waitcnt vmcnt(3)
	ds_store_b128 v103, v[10:13]
	s_waitcnt vmcnt(2)
	ds_store_b128 v104, v[14:17]
	;; [unrolled: 2-line block ×4, first 2 shown]
	s_waitcnt lgkmcnt(0)
	s_barrier
	buffer_gl0_inv
	ds_load_b128 v[10:13], v108
	ds_load_b128 v[14:17], v107 offset:640
	ds_load_b128 v[18:21], v108 offset:4608
	s_waitcnt lgkmcnt(1)
	;;#ASMSTART
	v_dot2_f32_f16 v8, v10, v14, v8
	;;#ASMEND
	;;#ASMSTART
	v_dot2_f32_f16 v8, v11, v15, v8
	;;#ASMEND
	;;#ASMSTART
	v_dot2_f32_f16 v8, v12, v16, v8
	;;#ASMEND
	;;#ASMSTART
	v_dot2_f32_f16 v8, v13, v17, v8
	;;#ASMEND
	s_waitcnt lgkmcnt(0)
	;;#ASMSTART
	v_dot2_f32_f16 v9, v18, v14, v9
	;;#ASMEND
	;;#ASMSTART
	v_dot2_f32_f16 v9, v19, v15, v9
	;;#ASMEND
	;;#ASMSTART
	v_dot2_f32_f16 v9, v20, v16, v9
	;;#ASMEND
	;;#ASMSTART
	v_dot2_f32_f16 v9, v21, v17, v9
	;;#ASMEND
	ds_load_b128 v[10:13], v108 offset:16
	ds_load_b128 v[14:17], v107 offset:656
	ds_load_b128 v[18:21], v108 offset:4624
	s_waitcnt lgkmcnt(1)
	;;#ASMSTART
	v_dot2_f32_f16 v8, v10, v14, v8
	;;#ASMEND
	;;#ASMSTART
	v_dot2_f32_f16 v8, v11, v15, v8
	;;#ASMEND
	;;#ASMSTART
	v_dot2_f32_f16 v8, v12, v16, v8
	;;#ASMEND
	;;#ASMSTART
	v_dot2_f32_f16 v8, v13, v17, v8
	;;#ASMEND
	s_waitcnt lgkmcnt(0)
	;;#ASMSTART
	v_dot2_f32_f16 v9, v18, v14, v9
	;;#ASMEND
	;;#ASMSTART
	v_dot2_f32_f16 v9, v19, v15, v9
	;;#ASMEND
	;;#ASMSTART
	v_dot2_f32_f16 v9, v20, v16, v9
	;;#ASMEND
	;;#ASMSTART
	v_dot2_f32_f16 v9, v21, v17, v9
	;;#ASMEND
	ds_load_b128 v[10:13], v108 offset:32
	;; [unrolled: 29-line block ×7, first 2 shown]
	ds_load_b128 v[14:17], v107 offset:752
	ds_load_b128 v[18:21], v108 offset:4720
	s_waitcnt lgkmcnt(1)
	;;#ASMSTART
	v_dot2_f32_f16 v8, v10, v14, v8
	;;#ASMEND
	;;#ASMSTART
	v_dot2_f32_f16 v8, v11, v15, v8
	;;#ASMEND
	;; [unrolled: 3-line block ×4, first 2 shown]
	s_waitcnt lgkmcnt(0)
	;;#ASMSTART
	v_dot2_f32_f16 v9, v18, v14, v9
	;;#ASMEND
	;;#ASMSTART
	v_dot2_f32_f16 v9, v19, v15, v9
	;;#ASMEND
	;; [unrolled: 3-line block ×4, first 2 shown]
	s_barrier
	buffer_gl0_inv
	s_clause 0x3
	global_load_b128 v[10:13], v[0:1], off offset:768
	global_load_b128 v[14:17], v[2:3], off offset:768
	;; [unrolled: 1-line block ×4, first 2 shown]
	s_waitcnt vmcnt(3)
	ds_store_b128 v103, v[10:13]
	s_waitcnt vmcnt(2)
	ds_store_b128 v104, v[14:17]
	;; [unrolled: 2-line block ×4, first 2 shown]
	s_waitcnt lgkmcnt(0)
	s_barrier
	buffer_gl0_inv
	ds_load_b128 v[10:13], v108
	ds_load_b128 v[14:17], v107 offset:768
	ds_load_b128 v[18:21], v108 offset:4608
	s_waitcnt lgkmcnt(1)
	;;#ASMSTART
	v_dot2_f32_f16 v8, v10, v14, v8
	;;#ASMEND
	;;#ASMSTART
	v_dot2_f32_f16 v8, v11, v15, v8
	;;#ASMEND
	;;#ASMSTART
	v_dot2_f32_f16 v8, v12, v16, v8
	;;#ASMEND
	;;#ASMSTART
	v_dot2_f32_f16 v8, v13, v17, v8
	;;#ASMEND
	s_waitcnt lgkmcnt(0)
	;;#ASMSTART
	v_dot2_f32_f16 v9, v18, v14, v9
	;;#ASMEND
	;;#ASMSTART
	v_dot2_f32_f16 v9, v19, v15, v9
	;;#ASMEND
	;;#ASMSTART
	v_dot2_f32_f16 v9, v20, v16, v9
	;;#ASMEND
	;;#ASMSTART
	v_dot2_f32_f16 v9, v21, v17, v9
	;;#ASMEND
	ds_load_b128 v[10:13], v108 offset:16
	ds_load_b128 v[14:17], v107 offset:784
	ds_load_b128 v[18:21], v108 offset:4624
	s_waitcnt lgkmcnt(1)
	;;#ASMSTART
	v_dot2_f32_f16 v8, v10, v14, v8
	;;#ASMEND
	;;#ASMSTART
	v_dot2_f32_f16 v8, v11, v15, v8
	;;#ASMEND
	;;#ASMSTART
	v_dot2_f32_f16 v8, v12, v16, v8
	;;#ASMEND
	;;#ASMSTART
	v_dot2_f32_f16 v8, v13, v17, v8
	;;#ASMEND
	s_waitcnt lgkmcnt(0)
	;;#ASMSTART
	v_dot2_f32_f16 v9, v18, v14, v9
	;;#ASMEND
	;;#ASMSTART
	v_dot2_f32_f16 v9, v19, v15, v9
	;;#ASMEND
	;;#ASMSTART
	v_dot2_f32_f16 v9, v20, v16, v9
	;;#ASMEND
	;;#ASMSTART
	v_dot2_f32_f16 v9, v21, v17, v9
	;;#ASMEND
	ds_load_b128 v[10:13], v108 offset:32
	;; [unrolled: 29-line block ×7, first 2 shown]
	ds_load_b128 v[14:17], v107 offset:880
	ds_load_b128 v[18:21], v108 offset:4720
	s_waitcnt lgkmcnt(1)
	;;#ASMSTART
	v_dot2_f32_f16 v8, v10, v14, v8
	;;#ASMEND
	;;#ASMSTART
	v_dot2_f32_f16 v8, v11, v15, v8
	;;#ASMEND
	;; [unrolled: 3-line block ×4, first 2 shown]
	s_waitcnt lgkmcnt(0)
	;;#ASMSTART
	v_dot2_f32_f16 v9, v18, v14, v9
	;;#ASMEND
	;;#ASMSTART
	v_dot2_f32_f16 v9, v19, v15, v9
	;;#ASMEND
	;; [unrolled: 3-line block ×4, first 2 shown]
	s_barrier
	buffer_gl0_inv
	s_clause 0x3
	global_load_b128 v[10:13], v[0:1], off offset:896
	global_load_b128 v[0:3], v[2:3], off offset:896
	;; [unrolled: 1-line block ×4, first 2 shown]
	s_waitcnt vmcnt(3)
	ds_store_b128 v103, v[10:13]
	s_waitcnt vmcnt(2)
	ds_store_b128 v104, v[0:3]
	;; [unrolled: 2-line block ×4, first 2 shown]
	s_waitcnt lgkmcnt(0)
	s_barrier
	buffer_gl0_inv
	ds_load_b128 v[0:3], v108
	ds_load_b128 v[4:7], v107 offset:896
	ds_load_b128 v[10:13], v108 offset:4608
	s_waitcnt lgkmcnt(1)
	;;#ASMSTART
	v_dot2_f32_f16 v8, v0, v4, v8
	;;#ASMEND
	;;#ASMSTART
	v_dot2_f32_f16 v8, v1, v5, v8
	;;#ASMEND
	;;#ASMSTART
	v_dot2_f32_f16 v8, v2, v6, v8
	;;#ASMEND
	;;#ASMSTART
	v_dot2_f32_f16 v8, v3, v7, v8
	;;#ASMEND
	s_waitcnt lgkmcnt(0)
	;;#ASMSTART
	v_dot2_f32_f16 v9, v10, v4, v9
	;;#ASMEND
	;;#ASMSTART
	v_dot2_f32_f16 v9, v11, v5, v9
	;;#ASMEND
	;;#ASMSTART
	v_dot2_f32_f16 v9, v12, v6, v9
	;;#ASMEND
	;;#ASMSTART
	v_dot2_f32_f16 v9, v13, v7, v9
	;;#ASMEND
	ds_load_b128 v[0:3], v108 offset:16
	ds_load_b128 v[4:7], v107 offset:912
	ds_load_b128 v[10:13], v108 offset:4624
	s_waitcnt lgkmcnt(1)
	;;#ASMSTART
	v_dot2_f32_f16 v8, v0, v4, v8
	;;#ASMEND
	;;#ASMSTART
	v_dot2_f32_f16 v8, v1, v5, v8
	;;#ASMEND
	;;#ASMSTART
	v_dot2_f32_f16 v8, v2, v6, v8
	;;#ASMEND
	;;#ASMSTART
	v_dot2_f32_f16 v8, v3, v7, v8
	;;#ASMEND
	s_waitcnt lgkmcnt(0)
	;;#ASMSTART
	v_dot2_f32_f16 v9, v10, v4, v9
	;;#ASMEND
	;;#ASMSTART
	v_dot2_f32_f16 v9, v11, v5, v9
	;;#ASMEND
	;;#ASMSTART
	v_dot2_f32_f16 v9, v12, v6, v9
	;;#ASMEND
	;;#ASMSTART
	v_dot2_f32_f16 v9, v13, v7, v9
	;;#ASMEND
	ds_load_b128 v[0:3], v108 offset:32
	;; [unrolled: 29-line block ×7, first 2 shown]
	ds_load_b128 v[4:7], v107 offset:1008
	ds_load_b128 v[10:13], v108 offset:4720
	s_waitcnt lgkmcnt(1)
	;;#ASMSTART
	v_dot2_f32_f16 v8, v0, v4, v8
	;;#ASMEND
	;;#ASMSTART
	v_dot2_f32_f16 v8, v1, v5, v8
	;;#ASMEND
	;; [unrolled: 3-line block ×4, first 2 shown]
	v_cmp_ngt_f32_e64 s19, 0x3f200000, |v8|
	s_waitcnt lgkmcnt(0)
	;;#ASMSTART
	v_dot2_f32_f16 v9, v10, v4, v9
	;;#ASMEND
	;;#ASMSTART
	v_dot2_f32_f16 v9, v11, v5, v9
	;;#ASMEND
	;; [unrolled: 3-line block ×4, first 2 shown]
                                        ; implicit-def: $vgpr2
	s_and_saveexec_b32 s20, s19
	s_delay_alu instid0(SALU_CYCLE_1)
	s_xor_b32 s19, exec_lo, s20
	s_cbranch_execz .LBB32_11
; %bb.10:                               ;   in Loop: Header=BB32_9 Depth=1
	v_add_f32_e64 v0, |v8|, |v8|
	s_delay_alu instid0(VALU_DEP_1) | instskip(SKIP_1) | instid1(VALU_DEP_2)
	v_mul_f32_e32 v1, 0x3fb8aa3b, v0
	v_cmp_ngt_f32_e32 vcc_lo, 0xc2ce8ed0, v0
	v_rndne_f32_e32 v2, v1
	v_fma_f32 v3, 0x3fb8aa3b, v0, -v1
	s_delay_alu instid0(VALU_DEP_2) | instskip(NEXT) | instid1(VALU_DEP_2)
	v_sub_f32_e32 v1, v1, v2
	v_fmac_f32_e32 v3, 0x32a5705f, v0
	v_cvt_i32_f32_e32 v2, v2
	s_delay_alu instid0(VALU_DEP_2) | instskip(NEXT) | instid1(VALU_DEP_1)
	v_add_f32_e32 v1, v1, v3
	v_exp_f32_e32 v1, v1
	s_waitcnt_depctr 0xfff
	v_ldexp_f32 v1, v1, v2
	s_delay_alu instid0(VALU_DEP_1) | instskip(SKIP_1) | instid1(VALU_DEP_2)
	v_cndmask_b32_e32 v1, 0, v1, vcc_lo
	v_cmp_nlt_f32_e32 vcc_lo, 0x42b17218, v0
	v_cndmask_b32_e32 v0, 0x7f800000, v1, vcc_lo
	s_delay_alu instid0(VALU_DEP_1) | instskip(NEXT) | instid1(VALU_DEP_1)
	v_add_f32_e32 v0, 1.0, v0
	v_rcp_f32_e32 v0, v0
	s_waitcnt_depctr 0xfff
	v_fma_f32 v2, v0, -2.0, 1.0
.LBB32_11:                              ;   in Loop: Header=BB32_9 Depth=1
	s_and_not1_saveexec_b32 s19, s19
; %bb.12:                               ;   in Loop: Header=BB32_9 Depth=1
	v_mul_f32_e32 v0, v8, v8
	s_delay_alu instid0(VALU_DEP_1) | instskip(NEXT) | instid1(VALU_DEP_1)
	v_fmaak_f32 v1, s10, v0, 0x3ca908c9
	v_fmaak_f32 v1, v0, v1, 0xbd5c1c4e
	s_delay_alu instid0(VALU_DEP_1) | instskip(NEXT) | instid1(VALU_DEP_1)
	v_fmaak_f32 v1, v0, v1, 0x3e088382
	v_fmaak_f32 v1, v0, v1, 0xbeaaaa99
	s_delay_alu instid0(VALU_DEP_1) | instskip(NEXT) | instid1(VALU_DEP_1)
	v_mul_f32_e64 v1, |v8|, v1
	v_fma_f32 v2, v0, v1, |v8|
; %bb.13:                               ;   in Loop: Header=BB32_9 Depth=1
	s_or_b32 exec_lo, exec_lo, s19
	v_add_nc_u32_e32 v0, s3, v86
	v_cmp_ngt_f32_e64 s19, 0x3f200000, |v9|
                                        ; implicit-def: $vgpr4
	s_delay_alu instid0(VALU_DEP_2) | instskip(NEXT) | instid1(VALU_DEP_1)
	v_ashrrev_i32_e32 v1, 31, v0
	v_lshlrev_b64 v[0:1], 1, v[0:1]
	s_delay_alu instid0(VALU_DEP_1) | instskip(NEXT) | instid1(VALU_DEP_2)
	v_add_co_u32 v0, vcc_lo, s34, v0
	v_add_co_ci_u32_e32 v1, vcc_lo, s35, v1, vcc_lo
	flat_load_u16 v3, v[0:1]
	s_and_saveexec_b32 s20, s19
	s_delay_alu instid0(SALU_CYCLE_1)
	s_xor_b32 s19, exec_lo, s20
	s_cbranch_execz .LBB32_15
; %bb.14:                               ;   in Loop: Header=BB32_9 Depth=1
	v_add_f32_e64 v4, |v9|, |v9|
	s_delay_alu instid0(VALU_DEP_1) | instskip(SKIP_1) | instid1(VALU_DEP_2)
	v_mul_f32_e32 v5, 0x3fb8aa3b, v4
	v_cmp_ngt_f32_e32 vcc_lo, 0xc2ce8ed0, v4
	v_rndne_f32_e32 v6, v5
	v_fma_f32 v7, 0x3fb8aa3b, v4, -v5
	s_delay_alu instid0(VALU_DEP_2) | instskip(NEXT) | instid1(VALU_DEP_2)
	v_sub_f32_e32 v5, v5, v6
	v_fmac_f32_e32 v7, 0x32a5705f, v4
	v_cvt_i32_f32_e32 v6, v6
	s_delay_alu instid0(VALU_DEP_2) | instskip(NEXT) | instid1(VALU_DEP_1)
	v_add_f32_e32 v5, v5, v7
	v_exp_f32_e32 v5, v5
	s_waitcnt_depctr 0xfff
	v_ldexp_f32 v5, v5, v6
	s_delay_alu instid0(VALU_DEP_1) | instskip(SKIP_1) | instid1(VALU_DEP_2)
	v_cndmask_b32_e32 v5, 0, v5, vcc_lo
	v_cmp_nlt_f32_e32 vcc_lo, 0x42b17218, v4
	v_cndmask_b32_e32 v4, 0x7f800000, v5, vcc_lo
	s_delay_alu instid0(VALU_DEP_1) | instskip(NEXT) | instid1(VALU_DEP_1)
	v_add_f32_e32 v4, 1.0, v4
	v_rcp_f32_e32 v4, v4
	s_waitcnt_depctr 0xfff
	v_fma_f32 v4, v4, -2.0, 1.0
.LBB32_15:                              ;   in Loop: Header=BB32_9 Depth=1
	s_and_not1_saveexec_b32 s19, s19
; %bb.16:                               ;   in Loop: Header=BB32_9 Depth=1
	v_mul_f32_e32 v4, v9, v9
	s_delay_alu instid0(VALU_DEP_1) | instskip(NEXT) | instid1(VALU_DEP_1)
	v_fmaak_f32 v5, s10, v4, 0x3ca908c9
	v_fmaak_f32 v5, v4, v5, 0xbd5c1c4e
	s_delay_alu instid0(VALU_DEP_1) | instskip(NEXT) | instid1(VALU_DEP_1)
	v_fmaak_f32 v5, v4, v5, 0x3e088382
	v_fmaak_f32 v5, v4, v5, 0xbeaaaa99
	s_delay_alu instid0(VALU_DEP_1) | instskip(NEXT) | instid1(VALU_DEP_1)
	v_mul_f32_e64 v5, |v9|, v5
	v_fma_f32 v4, v4, v5, |v9|
; %bb.17:                               ;   in Loop: Header=BB32_9 Depth=1
	s_or_b32 exec_lo, exec_lo, s19
	flat_load_u16 v7, v[0:1] offset:64
	s_mul_hi_i32 s21, s3, s13
	s_mul_i32 s20, s3, s13
	v_xor_b32_e32 v127, 16, v102
	s_lshl_b64 s[20:21], s[20:21], 2
	v_lshlrev_b32_e32 v135, 2, v101
	s_add_u32 s19, s11, s20
	s_addc_u32 s20, s17, s21
	v_add_co_u32 v0, vcc_lo, s19, v95
	v_add_co_ci_u32_e32 v1, vcc_lo, s20, v96, vcc_lo
	v_add_co_u32 v5, vcc_lo, s19, v97
	v_add_co_ci_u32_e32 v6, vcc_lo, s20, v98, vcc_lo
	s_delay_alu instid0(VALU_DEP_4) | instskip(NEXT) | instid1(VALU_DEP_4)
	v_add_co_u32 v0, vcc_lo, v0, v135
	v_add_co_ci_u32_e32 v1, vcc_lo, 0, v1, vcc_lo
	s_delay_alu instid0(VALU_DEP_4) | instskip(NEXT) | instid1(VALU_DEP_4)
	v_add_co_u32 v5, vcc_lo, v5, v135
	v_add_co_ci_u32_e32 v6, vcc_lo, 0, v6, vcc_lo
	s_waitcnt vmcnt(0) lgkmcnt(0)
	s_barrier
	buffer_gl0_inv
	s_clause 0x3
	global_load_b128 v[10:13], v[0:1], off
	global_load_b128 v[14:17], v[0:1], off offset:512
	global_load_b128 v[18:21], v[5:6], off
	global_load_b128 v[22:25], v[5:6], off offset:512
	v_bfi_b32 v0, 0x7fffffff, v2, v8
	v_bfi_b32 v1, 0x7fffffff, v4, v9
	v_cmp_gt_i32_e32 vcc_lo, 32, v127
	v_xor_b32_e32 v128, 8, v102
	v_xor_b32_e32 v129, 4, v102
	v_fma_mix_f32 v0, v0, s18, v3 op_sel_hi:[0,0,1]
	v_xor_b32_e32 v130, 2, v102
	v_cndmask_b32_e32 v2, v102, v127, vcc_lo
	v_cmp_gt_i32_e32 vcc_lo, 32, v128
	v_xor_b32_e32 v131, 1, v102
	s_or_b32 s19, s3, 8
	v_add_nc_u32_e32 v134, 0x800, v115
	v_lshlrev_b32_e32 v2, 2, v2
	s_mul_hi_i32 s21, s19, s13
	s_mul_i32 s20, s19, s13
	v_add_nc_u32_e32 v132, 0x1800, v115
	s_lshl_b64 s[20:21], s[20:21], 2
	v_add_nc_u32_e32 v133, 0x1000, v115
	s_add_u32 s19, s11, s20
	s_addc_u32 s20, s17, s21
	v_fma_mix_f32 v1, v1, s18, v7 op_sel_hi:[0,0,1]
	s_delay_alu instid0(VALU_DEP_1) | instskip(NEXT) | instid1(VALU_DEP_1)
	v_dual_add_f32 v3, 0x40051340, v0 :: v_dual_add_f32 v4, 0x40051340, v1
	v_max3_f32 v3, v126, v3, v4
	v_cndmask_b32_e32 v4, v102, v128, vcc_lo
	v_cmp_gt_i32_e32 vcc_lo, 32, v129
	ds_bpermute_b32 v2, v2, v3
	v_lshlrev_b32_e32 v4, 2, v4
	s_waitcnt lgkmcnt(0)
	v_max_f32_e32 v2, v2, v2
	s_delay_alu instid0(VALU_DEP_1) | instskip(SKIP_4) | instid1(VALU_DEP_2)
	v_max_f32_e32 v2, v3, v2
	ds_bpermute_b32 v3, v4, v2
	v_cndmask_b32_e32 v4, v102, v129, vcc_lo
	v_cmp_gt_i32_e32 vcc_lo, 32, v130
	s_waitcnt lgkmcnt(0)
	v_dual_max_f32 v3, v3, v3 :: v_dual_lshlrev_b32 v4, 2, v4
	s_delay_alu instid0(VALU_DEP_1) | instskip(SKIP_4) | instid1(VALU_DEP_2)
	v_max_f32_e32 v2, v2, v3
	ds_bpermute_b32 v3, v4, v2
	v_cndmask_b32_e32 v4, v102, v130, vcc_lo
	v_cmp_gt_i32_e32 vcc_lo, 32, v131
	s_waitcnt lgkmcnt(0)
	v_dual_max_f32 v3, v3, v3 :: v_dual_lshlrev_b32 v4, 2, v4
	s_delay_alu instid0(VALU_DEP_1) | instskip(SKIP_3) | instid1(VALU_DEP_1)
	v_max_f32_e32 v2, v2, v3
	ds_bpermute_b32 v3, v4, v2
	v_cndmask_b32_e32 v4, v102, v131, vcc_lo
	s_waitcnt lgkmcnt(0)
	v_dual_max_f32 v3, v3, v3 :: v_dual_lshlrev_b32 v4, 2, v4
	s_delay_alu instid0(VALU_DEP_1) | instskip(SKIP_3) | instid1(VALU_DEP_1)
	v_max_f32_e32 v2, v2, v3
	ds_bpermute_b32 v3, v4, v2
	s_waitcnt lgkmcnt(0)
	v_max_f32_e32 v3, v3, v3
	v_max_f32_e32 v99, v2, v3
	s_delay_alu instid0(VALU_DEP_1) | instskip(SKIP_2) | instid1(VALU_DEP_2)
	v_sub_f32_e32 v0, v0, v99
	v_sub_f32_e32 v1, v1, v99
	;; [unrolled: 1-line block ×3, first 2 shown]
	v_dual_mul_f32 v2, 0x3fb8aa3b, v0 :: v_dual_mul_f32 v3, 0x3fb8aa3b, v1
	s_delay_alu instid0(VALU_DEP_2) | instskip(NEXT) | instid1(VALU_DEP_2)
	v_mul_f32_e32 v142, 0x3fb8aa3b, v126
	v_fma_f32 v4, 0x3fb8aa3b, v0, -v2
	v_rndne_f32_e32 v5, v2
	s_delay_alu instid0(VALU_DEP_4) | instskip(SKIP_1) | instid1(VALU_DEP_4)
	v_fma_f32 v6, 0x3fb8aa3b, v1, -v3
	v_rndne_f32_e32 v7, v3
	v_fmac_f32_e32 v4, 0x32a5705f, v0
	s_delay_alu instid0(VALU_DEP_4) | instskip(NEXT) | instid1(VALU_DEP_3)
	v_sub_f32_e32 v2, v2, v5
	v_dual_fmac_f32 v6, 0x32a5705f, v1 :: v_dual_sub_f32 v3, v3, v7
	s_delay_alu instid0(VALU_DEP_2) | instskip(SKIP_1) | instid1(VALU_DEP_3)
	v_add_f32_e32 v2, v2, v4
	v_cvt_i32_f32_e32 v4, v5
	v_add_f32_e32 v3, v3, v6
	v_cvt_i32_f32_e32 v5, v7
	s_delay_alu instid0(VALU_DEP_4) | instskip(NEXT) | instid1(VALU_DEP_2)
	v_exp_f32_e32 v2, v2
	v_exp_f32_e32 v3, v3
	s_waitcnt_depctr 0xfff
	v_ldexp_f32 v2, v2, v4
	v_add_co_u32 v4, vcc_lo, s19, v95
	v_ldexp_f32 v3, v3, v5
	v_add_co_ci_u32_e32 v5, vcc_lo, s20, v96, vcc_lo
	v_cmp_ngt_f32_e32 vcc_lo, 0xc2ce8ed0, v0
	v_cndmask_b32_e32 v2, 0, v2, vcc_lo
	v_cmp_ngt_f32_e32 vcc_lo, 0xc2ce8ed0, v1
	v_cndmask_b32_e32 v3, 0, v3, vcc_lo
	v_add_co_u32 v6, vcc_lo, s19, v97
	v_add_co_ci_u32_e32 v7, vcc_lo, s20, v98, vcc_lo
	v_cmp_nlt_f32_e32 vcc_lo, 0x42b17218, v0
	s_or_b32 s19, s3, 16
	s_delay_alu instid0(SALU_CYCLE_1) | instskip(SKIP_4) | instid1(SALU_CYCLE_1)
	s_mul_hi_i32 s21, s19, s13
	s_mul_i32 s20, s19, s13
	v_cndmask_b32_e32 v136, 0x7f800000, v2, vcc_lo
	v_cmp_nlt_f32_e32 vcc_lo, 0x42b17218, v1
	s_lshl_b64 s[20:21], s[20:21], 2
	s_add_u32 s19, s11, s20
	s_delay_alu instid0(VALU_DEP_2) | instskip(SKIP_4) | instid1(VALU_DEP_4)
	v_cvt_f16_f32_e64 v0, v136
	v_cndmask_b32_e32 v137, 0x7f800000, v3, vcc_lo
	v_add_co_u32 v72, vcc_lo, v4, v135
	v_add_co_ci_u32_e32 v73, vcc_lo, 0, v5, vcc_lo
	v_add_co_u32 v80, vcc_lo, v6, v135
	v_cvt_f16_f32_e64 v1, v137
	v_add_co_ci_u32_e32 v81, vcc_lo, 0, v7, vcc_lo
	ds_store_b16 v111, v0
	ds_store_b16 v111, v1 offset:64
	s_waitcnt vmcnt(3)
	ds_store_b128 v110, v[10:13]
	s_waitcnt vmcnt(2)
	ds_store_b128 v112, v[14:17]
	;; [unrolled: 2-line block ×4, first 2 shown]
	s_waitcnt lgkmcnt(0)
	s_barrier
	buffer_gl0_inv
	ds_load_2addr_b64 v[64:67], v115 offset1:32
	ds_load_2addr_b64 v[60:63], v115 offset0:64 offset1:96
	ds_load_b128 v[0:3], v109
	ds_load_2addr_b64 v[52:55], v115 offset0:128 offset1:160
	ds_load_2addr_b64 v[56:59], v115 offset0:192 offset1:224
	ds_load_2addr_b64 v[44:47], v134 offset1:32
	ds_load_2addr_b64 v[48:51], v134 offset0:64 offset1:96
	ds_load_2addr_b64 v[36:39], v134 offset0:128 offset1:160
	ds_load_2addr_b64 v[40:43], v134 offset0:192 offset1:224
	ds_load_2addr_b64 v[28:31], v133 offset1:32
	ds_load_2addr_b64 v[32:35], v133 offset0:64 offset1:96
	;; [unrolled: 4-line block ×3, first 2 shown]
	ds_load_2addr_b64 v[8:11], v132 offset0:128 offset1:160
	ds_load_2addr_b64 v[4:7], v132 offset0:192 offset1:224
	s_waitcnt lgkmcnt(0)
	s_barrier
	buffer_gl0_inv
	s_clause 0x3
	global_load_b128 v[68:71], v[72:73], off
	global_load_b128 v[72:75], v[72:73], off offset:512
	global_load_b128 v[76:79], v[80:81], off
	global_load_b128 v[80:83], v[80:81], off offset:512
	s_addc_u32 s22, s17, s21
	v_add_co_u32 v138, vcc_lo, s19, v95
	v_add_co_ci_u32_e32 v139, vcc_lo, s22, v96, vcc_lo
	v_add_co_u32 v140, vcc_lo, s19, v97
	s_or_b32 s20, s3, 24
	v_add_co_ci_u32_e32 v141, vcc_lo, s22, v98, vcc_lo
	s_mul_hi_i32 s21, s20, s13
	s_mul_i32 s20, s20, s13
	v_add_co_u32 v170, vcc_lo, v138, v135
	s_lshl_b64 s[20:21], s[20:21], 2
	v_add_co_ci_u32_e32 v171, vcc_lo, 0, v139, vcc_lo
	v_add_co_u32 v178, vcc_lo, v140, v135
	s_add_u32 s19, s11, s20
	v_add_co_ci_u32_e32 v179, vcc_lo, 0, v141, vcc_lo
	s_addc_u32 s22, s17, s21
	v_add_co_u32 v138, vcc_lo, s19, v95
	v_add_co_ci_u32_e32 v139, vcc_lo, s22, v96, vcc_lo
	v_add_co_u32 v140, vcc_lo, s19, v97
	s_or_b32 s20, s3, 32
	v_add_co_ci_u32_e32 v141, vcc_lo, s22, v98, vcc_lo
	s_mul_hi_i32 s21, s20, s13
	s_mul_i32 s20, s20, s13
	v_add_co_u32 v182, vcc_lo, v138, v135
	s_lshl_b64 s[20:21], s[20:21], 2
	v_add_co_ci_u32_e32 v183, vcc_lo, 0, v139, vcc_lo
	v_add_co_u32 v184, vcc_lo, v140, v135
	s_add_u32 s19, s11, s20
	v_add_co_ci_u32_e32 v185, vcc_lo, 0, v141, vcc_lo
	s_addc_u32 s22, s17, s21
	v_add_co_u32 v138, vcc_lo, s19, v95
	v_add_co_ci_u32_e32 v139, vcc_lo, s22, v96, vcc_lo
	v_add_co_u32 v140, vcc_lo, s19, v97
	v_add_co_ci_u32_e32 v141, vcc_lo, s22, v98, vcc_lo
	s_delay_alu instid0(VALU_DEP_4) | instskip(NEXT) | instid1(VALU_DEP_4)
	v_add_co_u32 v186, vcc_lo, v138, v135
	v_add_co_ci_u32_e32 v187, vcc_lo, 0, v139, vcc_lo
	v_fma_f32 v138, 0x3fb8aa3b, v126, -v142
	v_rndne_f32_e32 v139, v142
	s_or_b32 s20, s3, 40
	v_add_co_u32 v188, vcc_lo, v140, v135
	s_delay_alu instid0(VALU_DEP_3) | instskip(NEXT) | instid1(VALU_DEP_3)
	v_fmac_f32_e32 v138, 0x32a5705f, v126
	v_sub_f32_e32 v140, v142, v139
	s_mul_hi_i32 s21, s20, s13
	s_mul_i32 s20, s20, s13
	v_add_co_ci_u32_e32 v189, vcc_lo, 0, v141, vcc_lo
	s_lshl_b64 s[20:21], s[20:21], 2
	v_add_f32_e32 v138, v140, v138
	s_add_u32 s19, s11, s20
	s_addc_u32 s22, s17, s21
	v_add_co_u32 v141, vcc_lo, s19, v95
	v_add_co_ci_u32_e32 v142, vcc_lo, s22, v96, vcc_lo
	v_exp_f32_e32 v138, v138
	v_add_co_u32 v140, vcc_lo, s19, v97
	s_or_b32 s20, s3, 48
	v_add_co_ci_u32_e32 v143, vcc_lo, s22, v98, vcc_lo
	s_mul_hi_i32 s21, s20, s13
	s_mul_i32 s20, s20, s13
	v_add_co_u32 v190, vcc_lo, v141, v135
	v_cvt_i32_f32_e32 v139, v139
	s_lshl_b64 s[20:21], s[20:21], 2
	v_add_co_ci_u32_e32 v191, vcc_lo, 0, v142, vcc_lo
	v_add_co_u32 v192, vcc_lo, v140, v135
	s_add_u32 s19, s11, s20
	v_add_co_ci_u32_e32 v193, vcc_lo, 0, v143, vcc_lo
	s_addc_u32 s20, s17, s21
	v_ldexp_f32 v138, v138, v139
	v_add_co_u32 v139, vcc_lo, s19, v95
	v_add_co_ci_u32_e32 v140, vcc_lo, s20, v96, vcc_lo
	v_cmp_ngt_f32_e32 vcc_lo, 0xc2ce8ed0, v126
	v_pk_mul_f16 v64, v64, v0 op_sel_hi:[1,0]
	v_pk_mul_f16 v65, v65, v0 op_sel_hi:[1,0]
	s_waitcnt vmcnt(3)
	ds_store_b128 v110, v[68:71]
	s_waitcnt vmcnt(2)
	ds_store_b128 v112, v[72:75]
	;; [unrolled: 2-line block ×4, first 2 shown]
	v_cndmask_b32_e32 v138, 0, v138, vcc_lo
	v_add_co_u32 v141, vcc_lo, s19, v97
	v_add_co_ci_u32_e32 v142, vcc_lo, s20, v98, vcc_lo
	v_cmp_nlt_f32_e32 vcc_lo, 0x42b17218, v126
	s_waitcnt lgkmcnt(0)
	s_barrier
	buffer_gl0_inv
	s_or_b32 s19, s3, 56
	v_cndmask_b32_e32 v126, 0x7f800000, v138, vcc_lo
	v_add_co_u32 v194, vcc_lo, v139, v135
	v_add_co_ci_u32_e32 v195, vcc_lo, 0, v140, vcc_lo
	s_delay_alu instid0(VALU_DEP_3) | instskip(SKIP_2) | instid1(VALU_DEP_3)
	v_cvt_f16_f32_e64 v138, v126
	v_add_co_u32 v196, vcc_lo, v141, v135
	v_add_co_ci_u32_e32 v197, vcc_lo, 0, v142, vcc_lo
	v_pk_mul_f16 v122, v138, v122 op_sel_hi:[0,1]
	v_pk_mul_f16 v124, v138, v124 op_sel_hi:[0,1]
	;; [unrolled: 1-line block ×6, first 2 shown]
	v_pk_fma_f16 v66, v66, v0, v122 op_sel_hi:[1,0,1]
	v_pk_fma_f16 v67, v67, v0, v124 op_sel_hi:[1,0,1]
	;; [unrolled: 1-line block ×8, first 2 shown]
	v_pk_fma_f16 v198, v54, v0, v66 op_sel:[0,1,0]
	v_pk_fma_f16 v199, v55, v0, v67 op_sel:[0,1,0]
	;; [unrolled: 1-line block ×8, first 2 shown]
	ds_load_2addr_b64 v[52:55], v115 offset1:32
	ds_load_2addr_b64 v[56:59], v115 offset0:64 offset1:96
	ds_load_b128 v[60:63], v109 offset:16
	ds_load_2addr_b64 v[64:67], v115 offset0:128 offset1:160
	ds_load_2addr_b64 v[68:71], v115 offset0:192 offset1:224
	ds_load_2addr_b64 v[72:75], v134 offset1:32
	ds_load_2addr_b64 v[76:79], v134 offset0:64 offset1:96
	ds_load_2addr_b64 v[80:83], v134 offset0:128 offset1:160
	ds_load_2addr_b64 v[118:121], v134 offset0:192 offset1:224
	ds_load_2addr_b64 v[122:125], v133 offset1:32
	ds_load_2addr_b64 v[138:141], v133 offset0:64 offset1:96
	;; [unrolled: 4-line block ×3, first 2 shown]
	ds_load_2addr_b64 v[158:161], v132 offset0:128 offset1:160
	ds_load_2addr_b64 v[162:165], v132 offset0:192 offset1:224
	s_waitcnt lgkmcnt(0)
	s_barrier
	buffer_gl0_inv
	s_clause 0x3
	global_load_b128 v[166:169], v[170:171], off
	global_load_b128 v[170:173], v[170:171], off offset:512
	global_load_b128 v[174:177], v[178:179], off
	global_load_b128 v[178:181], v[178:179], off offset:512
	v_pk_fma_f16 v46, v46, v1, v198 op_sel_hi:[1,0,1]
	v_pk_fma_f16 v47, v47, v1, v199 op_sel_hi:[1,0,1]
	v_pk_fma_f16 v48, v48, v1, v200 op_sel_hi:[1,0,1]
	v_pk_fma_f16 v44, v44, v1, v204 op_sel_hi:[1,0,1]
	v_pk_fma_f16 v0, v45, v1, v0 op_sel_hi:[1,0,1]
	v_pk_fma_f16 v49, v49, v1, v201 op_sel_hi:[1,0,1]
	v_pk_fma_f16 v50, v50, v1, v202 op_sel_hi:[1,0,1]
	v_pk_fma_f16 v51, v51, v1, v203 op_sel_hi:[1,0,1]
	v_pk_fma_f16 v38, v38, v1, v46 op_sel:[0,1,0]
	v_pk_fma_f16 v39, v39, v1, v47 op_sel:[0,1,0]
	v_pk_fma_f16 v40, v40, v1, v48 op_sel:[0,1,0]
	v_pk_fma_f16 v36, v36, v1, v44 op_sel:[0,1,0]
	v_pk_fma_f16 v0, v37, v1, v0 op_sel:[0,1,0]
	v_pk_fma_f16 v41, v41, v1, v49 op_sel:[0,1,0]
	v_pk_fma_f16 v42, v42, v1, v50 op_sel:[0,1,0]
	v_pk_fma_f16 v43, v43, v1, v51 op_sel:[0,1,0]
	v_pk_fma_f16 v1, v32, v2, v40 op_sel_hi:[1,0,1]
	v_pk_fma_f16 v30, v30, v2, v38 op_sel_hi:[1,0,1]
	v_pk_fma_f16 v31, v31, v2, v39 op_sel_hi:[1,0,1]
	v_pk_fma_f16 v28, v28, v2, v36 op_sel_hi:[1,0,1]
	v_pk_fma_f16 v0, v29, v2, v0 op_sel_hi:[1,0,1]
	v_pk_fma_f16 v32, v33, v2, v41 op_sel_hi:[1,0,1]
	v_pk_fma_f16 v33, v34, v2, v42 op_sel_hi:[1,0,1]
	v_pk_fma_f16 v34, v35, v2, v43 op_sel_hi:[1,0,1]
	v_pk_fma_f16 v22, v22, v2, v30 op_sel:[0,1,0]
	v_pk_fma_f16 v23, v23, v2, v31 op_sel:[0,1,0]
	v_pk_fma_f16 v1, v24, v2, v1 op_sel:[0,1,0]
	v_pk_fma_f16 v20, v20, v2, v28 op_sel:[0,1,0]
	v_pk_fma_f16 v0, v21, v2, v0 op_sel:[0,1,0]
	v_pk_fma_f16 v24, v25, v2, v32 op_sel:[0,1,0]
	v_pk_fma_f16 v25, v26, v2, v33 op_sel:[0,1,0]
	v_pk_fma_f16 v26, v27, v2, v34 op_sel:[0,1,0]
	;; [unrolled: 16-line block ×7, first 2 shown]
	s_mul_hi_i32 s21, s19, s13
	s_mul_i32 s20, s19, s13
	s_waitcnt vmcnt(3)
	ds_store_b128 v110, v[166:169]
	s_waitcnt vmcnt(2)
	ds_store_b128 v112, v[170:173]
	;; [unrolled: 2-line block ×4, first 2 shown]
	s_waitcnt lgkmcnt(0)
	s_barrier
	buffer_gl0_inv
	ds_load_2addr_b64 v[0:3], v115 offset1:32
	ds_load_2addr_b64 v[4:7], v115 offset0:64 offset1:96
	ds_load_b128 v[8:11], v109 offset:32
	ds_load_2addr_b64 v[12:15], v115 offset0:128 offset1:160
	ds_load_2addr_b64 v[16:19], v115 offset0:192 offset1:224
	ds_load_2addr_b64 v[20:23], v134 offset1:32
	ds_load_2addr_b64 v[24:27], v134 offset0:64 offset1:96
	ds_load_2addr_b64 v[28:31], v134 offset0:128 offset1:160
	ds_load_2addr_b64 v[32:35], v134 offset0:192 offset1:224
	ds_load_2addr_b64 v[36:39], v133 offset1:32
	ds_load_2addr_b64 v[40:43], v133 offset0:64 offset1:96
	;; [unrolled: 4-line block ×3, first 2 shown]
	ds_load_2addr_b64 v[64:67], v132 offset0:128 offset1:160
	ds_load_2addr_b64 v[166:169], v132 offset0:192 offset1:224
	s_waitcnt lgkmcnt(0)
	s_barrier
	buffer_gl0_inv
	s_clause 0x3
	global_load_b128 v[170:173], v[182:183], off
	global_load_b128 v[174:177], v[182:183], off offset:512
	global_load_b128 v[178:181], v[184:185], off
	global_load_b128 v[182:185], v[184:185], off offset:512
	s_lshl_b64 s[20:21], s[20:21], 2
	v_pk_fma_f16 v198, v0, v8, v61 op_sel_hi:[1,0,1]
	v_pk_fma_f16 v199, v1, v8, v62 op_sel_hi:[1,0,1]
	v_pk_fma_f16 v200, v2, v8, v71 op_sel_hi:[1,0,1]
	v_pk_fma_f16 v201, v3, v8, v72 op_sel_hi:[1,0,1]
	v_pk_fma_f16 v202, v4, v8, v68 op_sel_hi:[1,0,1]
	v_pk_fma_f16 v203, v5, v8, v69 op_sel_hi:[1,0,1]
	v_pk_fma_f16 v204, v6, v8, v70 op_sel_hi:[1,0,1]
	v_pk_fma_f16 v205, v7, v8, v60 op_sel_hi:[1,0,1]
	v_pk_fma_f16 v12, v12, v8, v198 op_sel:[0,1,0]
	v_pk_fma_f16 v13, v13, v8, v199 op_sel:[0,1,0]
	v_pk_fma_f16 v14, v14, v8, v200 op_sel:[0,1,0]
	v_pk_fma_f16 v15, v15, v8, v201 op_sel:[0,1,0]
	v_pk_fma_f16 v16, v16, v8, v202 op_sel:[0,1,0]
	v_pk_fma_f16 v17, v17, v8, v203 op_sel:[0,1,0]
	v_pk_fma_f16 v18, v18, v8, v204 op_sel:[0,1,0]
	v_pk_fma_f16 v8, v19, v8, v205 op_sel:[0,1,0]
	v_pk_fma_f16 v12, v20, v9, v12 op_sel_hi:[1,0,1]
	v_pk_fma_f16 v13, v21, v9, v13 op_sel_hi:[1,0,1]
	v_pk_fma_f16 v14, v22, v9, v14 op_sel_hi:[1,0,1]
	v_pk_fma_f16 v15, v23, v9, v15 op_sel_hi:[1,0,1]
	v_pk_fma_f16 v16, v24, v9, v16 op_sel_hi:[1,0,1]
	v_pk_fma_f16 v17, v25, v9, v17 op_sel_hi:[1,0,1]
	v_pk_fma_f16 v18, v26, v9, v18 op_sel_hi:[1,0,1]
	v_pk_fma_f16 v8, v27, v9, v8 op_sel_hi:[1,0,1]
	v_pk_fma_f16 v12, v28, v9, v12 op_sel:[0,1,0]
	v_pk_fma_f16 v13, v29, v9, v13 op_sel:[0,1,0]
	v_pk_fma_f16 v14, v30, v9, v14 op_sel:[0,1,0]
	v_pk_fma_f16 v15, v31, v9, v15 op_sel:[0,1,0]
	v_pk_fma_f16 v16, v32, v9, v16 op_sel:[0,1,0]
	v_pk_fma_f16 v17, v33, v9, v17 op_sel:[0,1,0]
	v_pk_fma_f16 v18, v34, v9, v18 op_sel:[0,1,0]
	v_pk_fma_f16 v8, v35, v9, v8 op_sel:[0,1,0]
	;; [unrolled: 16-line block ×4, first 2 shown]
	s_add_u32 s19, s11, s20
	s_addc_u32 s20, s17, s21
	s_waitcnt vmcnt(3)
	ds_store_b128 v110, v[170:173]
	s_waitcnt vmcnt(2)
	ds_store_b128 v112, v[174:177]
	;; [unrolled: 2-line block ×4, first 2 shown]
	s_waitcnt lgkmcnt(0)
	s_barrier
	buffer_gl0_inv
	ds_load_2addr_b64 v[0:3], v115 offset1:32
	ds_load_2addr_b64 v[4:7], v115 offset0:64 offset1:96
	ds_load_b128 v[60:63], v109 offset:48
	ds_load_2addr_b64 v[68:71], v115 offset0:128 offset1:160
	ds_load_2addr_b64 v[72:75], v115 offset0:192 offset1:224
	ds_load_2addr_b64 v[76:79], v134 offset1:32
	ds_load_2addr_b64 v[80:83], v134 offset0:64 offset1:96
	ds_load_2addr_b64 v[118:121], v134 offset0:128 offset1:160
	ds_load_2addr_b64 v[122:125], v134 offset0:192 offset1:224
	ds_load_2addr_b64 v[138:141], v133 offset1:32
	ds_load_2addr_b64 v[142:145], v133 offset0:64 offset1:96
	;; [unrolled: 4-line block ×3, first 2 shown]
	ds_load_2addr_b64 v[162:165], v132 offset0:128 offset1:160
	ds_load_2addr_b64 v[170:173], v132 offset0:192 offset1:224
	s_waitcnt lgkmcnt(0)
	s_barrier
	buffer_gl0_inv
	s_clause 0x3
	global_load_b128 v[174:177], v[186:187], off
	global_load_b128 v[178:181], v[186:187], off offset:512
	global_load_b128 v[182:185], v[188:189], off
	global_load_b128 v[186:189], v[188:189], off offset:512
	s_waitcnt vmcnt(3)
	ds_store_b128 v110, v[174:177]
	s_waitcnt vmcnt(2)
	ds_store_b128 v112, v[178:181]
	;; [unrolled: 2-line block ×4, first 2 shown]
	v_pk_fma_f16 v202, v0, v60, v9 op_sel_hi:[1,0,1]
	v_pk_fma_f16 v203, v1, v60, v10 op_sel_hi:[1,0,1]
	v_pk_fma_f16 v204, v2, v60, v12 op_sel_hi:[1,0,1]
	v_pk_fma_f16 v205, v3, v60, v13 op_sel_hi:[1,0,1]
	s_waitcnt lgkmcnt(0)
	s_barrier
	buffer_gl0_inv
	ds_load_2addr_b64 v[0:3], v115 offset1:32
	ds_load_2addr_b64 v[8:11], v115 offset0:64 offset1:96
	ds_load_b128 v[12:15], v109 offset:64
	ds_load_2addr_b64 v[16:19], v115 offset0:128 offset1:160
	ds_load_2addr_b64 v[20:23], v115 offset0:192 offset1:224
	ds_load_2addr_b64 v[24:27], v134 offset1:32
	ds_load_2addr_b64 v[28:31], v134 offset0:64 offset1:96
	ds_load_2addr_b64 v[32:35], v134 offset0:128 offset1:160
	ds_load_2addr_b64 v[36:39], v134 offset0:192 offset1:224
	ds_load_2addr_b64 v[40:43], v133 offset1:32
	ds_load_2addr_b64 v[44:47], v133 offset0:64 offset1:96
	;; [unrolled: 4-line block ×3, first 2 shown]
	ds_load_2addr_b64 v[166:169], v132 offset0:128 offset1:160
	ds_load_2addr_b64 v[174:177], v132 offset0:192 offset1:224
	s_waitcnt lgkmcnt(0)
	s_barrier
	buffer_gl0_inv
	s_clause 0x3
	global_load_b128 v[178:181], v[190:191], off
	global_load_b128 v[182:185], v[190:191], off offset:512
	global_load_b128 v[186:189], v[192:193], off
	global_load_b128 v[190:193], v[192:193], off offset:512
	v_pk_fma_f16 v4, v4, v60, v198 op_sel_hi:[1,0,1]
	v_pk_fma_f16 v5, v5, v60, v199 op_sel_hi:[1,0,1]
	v_pk_fma_f16 v6, v6, v60, v200 op_sel_hi:[1,0,1]
	v_pk_fma_f16 v7, v7, v60, v201 op_sel_hi:[1,0,1]
	v_pk_fma_f16 v68, v68, v60, v202 op_sel:[0,1,0]
	v_pk_fma_f16 v69, v69, v60, v203 op_sel:[0,1,0]
	v_pk_fma_f16 v70, v70, v60, v204 op_sel:[0,1,0]
	v_pk_fma_f16 v71, v71, v60, v205 op_sel:[0,1,0]
	v_pk_fma_f16 v4, v72, v60, v4 op_sel:[0,1,0]
	v_pk_fma_f16 v5, v73, v60, v5 op_sel:[0,1,0]
	v_pk_fma_f16 v6, v74, v60, v6 op_sel:[0,1,0]
	v_pk_fma_f16 v7, v75, v60, v7 op_sel:[0,1,0]
	v_pk_fma_f16 v60, v76, v61, v68 op_sel_hi:[1,0,1]
	v_pk_fma_f16 v68, v77, v61, v69 op_sel_hi:[1,0,1]
	v_pk_fma_f16 v69, v78, v61, v70 op_sel_hi:[1,0,1]
	v_pk_fma_f16 v70, v79, v61, v71 op_sel_hi:[1,0,1]
	v_pk_fma_f16 v4, v80, v61, v4 op_sel_hi:[1,0,1]
	v_pk_fma_f16 v5, v81, v61, v5 op_sel_hi:[1,0,1]
	v_pk_fma_f16 v6, v82, v61, v6 op_sel_hi:[1,0,1]
	v_pk_fma_f16 v7, v83, v61, v7 op_sel_hi:[1,0,1]
	v_pk_fma_f16 v60, v118, v61, v60 op_sel:[0,1,0]
	v_pk_fma_f16 v68, v119, v61, v68 op_sel:[0,1,0]
	v_pk_fma_f16 v69, v120, v61, v69 op_sel:[0,1,0]
	v_pk_fma_f16 v70, v121, v61, v70 op_sel:[0,1,0]
	v_pk_fma_f16 v4, v122, v61, v4 op_sel:[0,1,0]
	v_pk_fma_f16 v5, v123, v61, v5 op_sel:[0,1,0]
	v_pk_fma_f16 v6, v124, v61, v6 op_sel:[0,1,0]
	v_pk_fma_f16 v7, v125, v61, v7 op_sel:[0,1,0]
	v_pk_fma_f16 v60, v138, v62, v60 op_sel_hi:[1,0,1]
	v_pk_fma_f16 v61, v139, v62, v68 op_sel_hi:[1,0,1]
	v_pk_fma_f16 v68, v140, v62, v69 op_sel_hi:[1,0,1]
	v_pk_fma_f16 v69, v141, v62, v70 op_sel_hi:[1,0,1]
	;; [unrolled: 16-line block ×5, first 2 shown]
	v_pk_fma_f16 v8, v28, v13, v8 op_sel_hi:[1,0,1]
	v_pk_fma_f16 v9, v29, v13, v9 op_sel_hi:[1,0,1]
	;; [unrolled: 1-line block ×4, first 2 shown]
	v_pk_fma_f16 v12, v32, v13, v12 op_sel:[0,1,0]
	v_pk_fma_f16 v16, v33, v13, v16 op_sel:[0,1,0]
	;; [unrolled: 1-line block ×8, first 2 shown]
	v_add_co_u32 v0, vcc_lo, s19, v95
	v_add_co_ci_u32_e32 v1, vcc_lo, s20, v96, vcc_lo
	v_pk_fma_f16 v12, v40, v14, v12 op_sel_hi:[1,0,1]
	v_pk_fma_f16 v13, v41, v14, v16 op_sel_hi:[1,0,1]
	;; [unrolled: 1-line block ×8, first 2 shown]
	v_add_co_u32 v0, vcc_lo, v0, v135
	v_add_co_ci_u32_e32 v1, vcc_lo, 0, v1, vcc_lo
	v_add_co_u32 v2, vcc_lo, s19, v97
	v_pk_fma_f16 v12, v48, v14, v12 op_sel:[0,1,0]
	v_pk_fma_f16 v13, v49, v14, v13 op_sel:[0,1,0]
	;; [unrolled: 1-line block ×8, first 2 shown]
	v_add_co_ci_u32_e32 v3, vcc_lo, s20, v98, vcc_lo
	v_add_co_u32 v2, vcc_lo, v2, v135
	v_pk_fma_f16 v12, v56, v15, v12 op_sel_hi:[1,0,1]
	v_pk_fma_f16 v13, v57, v15, v13 op_sel_hi:[1,0,1]
	;; [unrolled: 1-line block ×8, first 2 shown]
	v_add_co_ci_u32_e32 v3, vcc_lo, 0, v3, vcc_lo
	v_pk_fma_f16 v135, v166, v15, v12 op_sel:[0,1,0]
	v_pk_fma_f16 v202, v167, v15, v13 op_sel:[0,1,0]
	;; [unrolled: 1-line block ×8, first 2 shown]
	s_waitcnt vmcnt(3)
	ds_store_b128 v110, v[178:181]
	s_waitcnt vmcnt(2)
	ds_store_b128 v112, v[182:185]
	;; [unrolled: 2-line block ×4, first 2 shown]
	s_waitcnt lgkmcnt(0)
	s_barrier
	buffer_gl0_inv
	ds_load_2addr_b64 v[4:7], v115 offset1:32
	ds_load_2addr_b64 v[60:63], v115 offset0:64 offset1:96
	ds_load_b128 v[68:71], v109 offset:80
	ds_load_2addr_b64 v[72:75], v115 offset0:128 offset1:160
	ds_load_2addr_b64 v[76:79], v115 offset0:192 offset1:224
	ds_load_2addr_b64 v[80:83], v134 offset1:32
	ds_load_2addr_b64 v[118:121], v134 offset0:64 offset1:96
	ds_load_2addr_b64 v[122:125], v134 offset0:128 offset1:160
	ds_load_2addr_b64 v[138:141], v134 offset0:192 offset1:224
	ds_load_2addr_b64 v[142:145], v133 offset1:32
	ds_load_2addr_b64 v[146:149], v133 offset0:64 offset1:96
	;; [unrolled: 4-line block ×3, first 2 shown]
	ds_load_2addr_b64 v[170:173], v132 offset0:128 offset1:160
	ds_load_2addr_b64 v[178:181], v132 offset0:192 offset1:224
	s_waitcnt lgkmcnt(0)
	s_barrier
	buffer_gl0_inv
	s_clause 0x3
	global_load_b128 v[182:185], v[194:195], off
	global_load_b128 v[186:189], v[194:195], off offset:512
	global_load_b128 v[190:193], v[196:197], off
	global_load_b128 v[194:197], v[196:197], off offset:512
	s_waitcnt vmcnt(3)
	ds_store_b128 v110, v[182:185]
	s_waitcnt vmcnt(2)
	ds_store_b128 v112, v[186:189]
	;; [unrolled: 2-line block ×4, first 2 shown]
	s_waitcnt lgkmcnt(0)
	s_barrier
	buffer_gl0_inv
	ds_load_2addr_b64 v[8:11], v115 offset1:32
	ds_load_2addr_b64 v[12:15], v115 offset0:64 offset1:96
	ds_load_b128 v[16:19], v109 offset:96
	ds_load_2addr_b64 v[20:23], v115 offset0:128 offset1:160
	ds_load_2addr_b64 v[24:27], v115 offset0:192 offset1:224
	ds_load_2addr_b64 v[28:31], v134 offset1:32
	ds_load_2addr_b64 v[32:35], v134 offset0:64 offset1:96
	ds_load_2addr_b64 v[36:39], v134 offset0:128 offset1:160
	ds_load_2addr_b64 v[40:43], v134 offset0:192 offset1:224
	ds_load_2addr_b64 v[44:47], v133 offset1:32
	ds_load_2addr_b64 v[48:51], v133 offset0:64 offset1:96
	;; [unrolled: 4-line block ×3, first 2 shown]
	ds_load_2addr_b64 v[174:177], v132 offset0:128 offset1:160
	ds_load_2addr_b64 v[182:185], v132 offset0:192 offset1:224
	s_waitcnt lgkmcnt(0)
	s_barrier
	buffer_gl0_inv
	s_clause 0x3
	global_load_b128 v[186:189], v[0:1], off
	global_load_b128 v[190:193], v[0:1], off offset:512
	global_load_b128 v[194:197], v[2:3], off
	global_load_b128 v[198:201], v[2:3], off offset:512
	v_pk_fma_f16 v1, v4, v68, v135 op_sel_hi:[1,0,1]
	v_pk_fma_f16 v2, v5, v68, v202 op_sel_hi:[1,0,1]
	v_pk_fma_f16 v3, v6, v68, v203 op_sel_hi:[1,0,1]
	v_pk_fma_f16 v4, v7, v68, v204 op_sel_hi:[1,0,1]
	v_pk_fma_f16 v5, v60, v68, v205 op_sel_hi:[1,0,1]
	v_pk_fma_f16 v6, v61, v68, v206 op_sel_hi:[1,0,1]
	v_pk_fma_f16 v7, v62, v68, v207 op_sel_hi:[1,0,1]
	v_pk_fma_f16 v60, v63, v68, v208 op_sel_hi:[1,0,1]
	v_pk_fma_f16 v1, v72, v68, v1 op_sel:[0,1,0]
	v_pk_fma_f16 v2, v73, v68, v2 op_sel:[0,1,0]
	v_pk_fma_f16 v3, v74, v68, v3 op_sel:[0,1,0]
	v_pk_fma_f16 v4, v75, v68, v4 op_sel:[0,1,0]
	v_pk_fma_f16 v5, v76, v68, v5 op_sel:[0,1,0]
	v_pk_fma_f16 v6, v77, v68, v6 op_sel:[0,1,0]
	v_pk_fma_f16 v7, v78, v68, v7 op_sel:[0,1,0]
	v_pk_fma_f16 v60, v79, v68, v60 op_sel:[0,1,0]
	v_pk_fma_f16 v1, v80, v69, v1 op_sel_hi:[1,0,1]
	v_pk_fma_f16 v2, v81, v69, v2 op_sel_hi:[1,0,1]
	v_pk_fma_f16 v3, v82, v69, v3 op_sel_hi:[1,0,1]
	v_pk_fma_f16 v4, v83, v69, v4 op_sel_hi:[1,0,1]
	v_pk_fma_f16 v5, v118, v69, v5 op_sel_hi:[1,0,1]
	v_pk_fma_f16 v6, v119, v69, v6 op_sel_hi:[1,0,1]
	v_pk_fma_f16 v7, v120, v69, v7 op_sel_hi:[1,0,1]
	v_pk_fma_f16 v60, v121, v69, v60 op_sel_hi:[1,0,1]
	v_pk_fma_f16 v1, v122, v69, v1 op_sel:[0,1,0]
	v_pk_fma_f16 v2, v123, v69, v2 op_sel:[0,1,0]
	v_pk_fma_f16 v3, v124, v69, v3 op_sel:[0,1,0]
	v_pk_fma_f16 v4, v125, v69, v4 op_sel:[0,1,0]
	v_pk_fma_f16 v5, v138, v69, v5 op_sel:[0,1,0]
	v_pk_fma_f16 v6, v139, v69, v6 op_sel:[0,1,0]
	v_pk_fma_f16 v7, v140, v69, v7 op_sel:[0,1,0]
	v_pk_fma_f16 v60, v141, v69, v60 op_sel:[0,1,0]
	;; [unrolled: 16-line block ×8, first 2 shown]
	v_add_f32_e32 v0, v136, v137
	s_waitcnt vmcnt(3)
	ds_store_b128 v110, v[186:189]
	s_waitcnt vmcnt(2)
	ds_store_b128 v112, v[190:193]
	;; [unrolled: 2-line block ×4, first 2 shown]
	s_waitcnt lgkmcnt(0)
	s_barrier
	buffer_gl0_inv
	ds_load_2addr_b64 v[1:4], v115 offset1:32
	ds_load_2addr_b64 v[5:8], v115 offset0:64 offset1:96
	ds_load_b128 v[9:12], v109 offset:112
	ds_load_2addr_b64 v[13:16], v115 offset0:128 offset1:160
	ds_load_2addr_b64 v[20:23], v115 offset0:192 offset1:224
	ds_load_2addr_b64 v[24:27], v134 offset1:32
	ds_load_2addr_b64 v[28:31], v134 offset0:64 offset1:96
	ds_load_2addr_b64 v[32:35], v134 offset0:128 offset1:160
	ds_load_2addr_b64 v[36:39], v134 offset0:192 offset1:224
	ds_load_2addr_b64 v[40:43], v133 offset1:32
	ds_load_2addr_b64 v[44:47], v133 offset0:64 offset1:96
	;; [unrolled: 4-line block ×3, first 2 shown]
	ds_load_2addr_b64 v[64:67], v132 offset0:128 offset1:160
	ds_load_2addr_b64 v[68:71], v132 offset0:192 offset1:224
	s_waitcnt lgkmcnt(0)
	s_barrier
	buffer_gl0_inv
	s_load_b32 s19, s[4:5], 0x4
	v_fmac_f32_e32 v0, v117, v126
	v_pk_fma_f16 v1, v1, v9, v73 op_sel_hi:[1,0,1]
	v_pk_fma_f16 v2, v2, v9, v74 op_sel_hi:[1,0,1]
	v_pk_fma_f16 v3, v3, v9, v75 op_sel_hi:[1,0,1]
	v_pk_fma_f16 v4, v4, v9, v76 op_sel_hi:[1,0,1]
	v_pk_fma_f16 v5, v5, v9, v77 op_sel_hi:[1,0,1]
	v_pk_fma_f16 v6, v6, v9, v17 op_sel_hi:[1,0,1]
	v_pk_fma_f16 v7, v7, v9, v72 op_sel_hi:[1,0,1]
	v_pk_fma_f16 v8, v8, v9, v18 op_sel_hi:[1,0,1]
	v_pk_fma_f16 v1, v13, v9, v1 op_sel:[0,1,0]
	v_pk_fma_f16 v2, v14, v9, v2 op_sel:[0,1,0]
	v_pk_fma_f16 v3, v15, v9, v3 op_sel:[0,1,0]
	v_pk_fma_f16 v4, v16, v9, v4 op_sel:[0,1,0]
	v_pk_fma_f16 v5, v20, v9, v5 op_sel:[0,1,0]
	v_pk_fma_f16 v6, v21, v9, v6 op_sel:[0,1,0]
	v_pk_fma_f16 v7, v22, v9, v7 op_sel:[0,1,0]
	v_pk_fma_f16 v8, v23, v9, v8 op_sel:[0,1,0]
	v_pk_fma_f16 v1, v24, v10, v1 op_sel_hi:[1,0,1]
	v_pk_fma_f16 v2, v25, v10, v2 op_sel_hi:[1,0,1]
	v_pk_fma_f16 v3, v26, v10, v3 op_sel_hi:[1,0,1]
	v_pk_fma_f16 v4, v27, v10, v4 op_sel_hi:[1,0,1]
	v_pk_fma_f16 v5, v28, v10, v5 op_sel_hi:[1,0,1]
	v_pk_fma_f16 v6, v29, v10, v6 op_sel_hi:[1,0,1]
	v_pk_fma_f16 v7, v30, v10, v7 op_sel_hi:[1,0,1]
	v_pk_fma_f16 v8, v31, v10, v8 op_sel_hi:[1,0,1]
	v_pk_fma_f16 v1, v32, v10, v1 op_sel:[0,1,0]
	v_pk_fma_f16 v2, v33, v10, v2 op_sel:[0,1,0]
	v_pk_fma_f16 v3, v34, v10, v3 op_sel:[0,1,0]
	v_pk_fma_f16 v4, v35, v10, v4 op_sel:[0,1,0]
	v_pk_fma_f16 v5, v36, v10, v5 op_sel:[0,1,0]
	v_pk_fma_f16 v6, v37, v10, v6 op_sel:[0,1,0]
	v_pk_fma_f16 v7, v38, v10, v7 op_sel:[0,1,0]
	v_pk_fma_f16 v8, v39, v10, v8 op_sel:[0,1,0]
	;; [unrolled: 16-line block ×3, first 2 shown]
	v_pk_fma_f16 v1, v56, v12, v1 op_sel_hi:[1,0,1]
	v_pk_fma_f16 v2, v57, v12, v2 op_sel_hi:[1,0,1]
	;; [unrolled: 1-line block ×8, first 2 shown]
	s_waitcnt lgkmcnt(0)
	s_lshl_b32 s19, s19, 6
	v_pk_fma_f16 v123, v64, v12, v1 op_sel:[0,1,0]
	v_pk_fma_f16 v125, v65, v12, v2 op_sel:[0,1,0]
	;; [unrolled: 1-line block ×8, first 2 shown]
	s_add_i32 s3, s19, s3
	s_delay_alu instid0(SALU_CYCLE_1)
	s_cmp_lt_i32 s3, s2
	s_cbranch_scc0 .LBB32_19
; %bb.18:                               ;   in Loop: Header=BB32_9 Depth=1
	v_dual_mov_b32 v126, v99 :: v_dual_mov_b32 v117, v0
	s_branch .LBB32_9
.LBB32_19:
	v_dual_mov_b32 v4, 32 :: v_dual_mov_b32 v5, v102
.LBB32_20:
	s_delay_alu instid0(VALU_DEP_1)
	v_cmp_lt_i32_e32 vcc_lo, v127, v4
	s_cmp_eq_u64 s[24:25], 0
	s_cselect_b32 s2, -1, 0
	s_cmp_lg_u32 s14, 0
	v_cndmask_b32_e32 v1, v5, v127, vcc_lo
	v_cmp_lt_i32_e32 vcc_lo, v128, v4
	s_cselect_b32 s3, -1, 0
	s_delay_alu instid0(SALU_CYCLE_1) | instskip(SKIP_2) | instid1(VALU_DEP_2)
	s_or_b32 s2, s3, s2
	v_cndmask_b32_e32 v2, v5, v128, vcc_lo
	v_cmp_lt_i32_e32 vcc_lo, v129, v4
	v_lshlrev_b32_e32 v2, 2, v2
	v_lshlrev_b32_e32 v1, 2, v1
	ds_bpermute_b32 v1, v1, v0
	s_waitcnt lgkmcnt(0)
	v_add_f32_e32 v0, v0, v1
	ds_bpermute_b32 v1, v2, v0
	v_cndmask_b32_e32 v2, v5, v129, vcc_lo
	v_cmp_lt_i32_e32 vcc_lo, v130, v4
	s_delay_alu instid0(VALU_DEP_2)
	v_lshlrev_b32_e32 v2, 2, v2
	s_waitcnt lgkmcnt(0)
	v_add_f32_e32 v0, v0, v1
	ds_bpermute_b32 v1, v2, v0
	v_cndmask_b32_e32 v2, v5, v130, vcc_lo
	v_cmp_lt_i32_e32 vcc_lo, v131, v4
	s_delay_alu instid0(VALU_DEP_2)
	v_lshlrev_b32_e32 v2, 2, v2
	s_waitcnt lgkmcnt(0)
	v_add_f32_e32 v0, v0, v1
	ds_bpermute_b32 v1, v2, v0
	v_cndmask_b32_e32 v2, v5, v131, vcc_lo
	s_and_b32 vcc_lo, exec_lo, s2
	s_waitcnt lgkmcnt(0)
	s_delay_alu instid0(VALU_DEP_1)
	v_dual_add_f32 v1, v0, v1 :: v_dual_lshlrev_b32 v2, 2, v2
	v_add_nc_u32_e32 v0, s15, v100
	ds_bpermute_b32 v2, v2, v1
	s_waitcnt lgkmcnt(0)
	v_add_f32_e32 v100, v1, v2
	s_cbranch_vccnz .LBB32_22
; %bb.21:
	v_ashrrev_i32_e32 v1, 31, v0
	s_delay_alu instid0(VALU_DEP_1) | instskip(NEXT) | instid1(VALU_DEP_1)
	v_lshlrev_b64 v[1:2], 2, v[0:1]
	v_add_co_u32 v1, vcc_lo, s24, v1
	s_delay_alu instid0(VALU_DEP_2) | instskip(SKIP_3) | instid1(VALU_DEP_1)
	v_add_co_ci_u32_e32 v2, vcc_lo, s25, v2, vcc_lo
	global_load_b32 v1, v[1:2], off
	s_waitcnt vmcnt(0)
	v_dual_max_f32 v2, v99, v99 :: v_dual_max_f32 v3, v1, v1
	v_max_f32_e32 v2, v2, v3
	s_delay_alu instid0(VALU_DEP_1) | instskip(NEXT) | instid1(VALU_DEP_1)
	v_sub_f32_e32 v1, v1, v2
	v_mul_f32_e32 v5, 0x3fb8aa3b, v1
	v_sub_f32_e32 v3, v99, v2
	v_mov_b32_e32 v99, v2
	s_delay_alu instid0(VALU_DEP_3) | instskip(NEXT) | instid1(VALU_DEP_3)
	v_rndne_f32_e32 v9, v5
	v_mul_f32_e32 v4, 0x3fb8aa3b, v3
	v_fma_f32 v8, 0x3fb8aa3b, v1, -v5
	s_delay_alu instid0(VALU_DEP_3) | instskip(NEXT) | instid1(VALU_DEP_3)
	v_sub_f32_e32 v5, v5, v9
	v_fma_f32 v6, 0x3fb8aa3b, v3, -v4
	v_rndne_f32_e32 v7, v4
	s_delay_alu instid0(VALU_DEP_4) | instskip(NEXT) | instid1(VALU_DEP_2)
	v_fmac_f32_e32 v8, 0x32a5705f, v1
	v_sub_f32_e32 v4, v4, v7
	s_delay_alu instid0(VALU_DEP_4) | instskip(SKIP_1) | instid1(VALU_DEP_2)
	v_fmac_f32_e32 v6, 0x32a5705f, v3
	v_cmp_ngt_f32_e32 vcc_lo, 0xc2ce8ed0, v3
	v_dual_add_f32 v5, v5, v8 :: v_dual_add_f32 v4, v4, v6
	v_cvt_i32_f32_e32 v6, v7
	s_delay_alu instid0(VALU_DEP_2) | instskip(SKIP_1) | instid1(VALU_DEP_3)
	v_exp_f32_e32 v5, v5
	v_cvt_i32_f32_e32 v7, v9
	v_exp_f32_e32 v4, v4
	s_waitcnt_depctr 0xfff
	v_ldexp_f32 v5, v5, v7
	v_ldexp_f32 v4, v4, v6
	s_delay_alu instid0(VALU_DEP_1) | instskip(SKIP_1) | instid1(VALU_DEP_4)
	v_cndmask_b32_e32 v4, 0, v4, vcc_lo
	v_cmp_ngt_f32_e32 vcc_lo, 0xc2ce8ed0, v1
	v_cndmask_b32_e32 v5, 0, v5, vcc_lo
	v_cmp_nlt_f32_e32 vcc_lo, 0x42b17218, v3
	s_delay_alu instid0(VALU_DEP_4) | instskip(SKIP_1) | instid1(VALU_DEP_4)
	v_cndmask_b32_e32 v3, 0x7f800000, v4, vcc_lo
	v_cmp_nlt_f32_e32 vcc_lo, 0x42b17218, v1
	v_cndmask_b32_e32 v1, 0x7f800000, v5, vcc_lo
	s_delay_alu instid0(VALU_DEP_1) | instskip(NEXT) | instid1(VALU_DEP_1)
	v_fmac_f32_e32 v1, v100, v3
	v_mov_b32_e32 v100, v1
	v_cvt_f16_f32_e32 v4, v3
	s_delay_alu instid0(VALU_DEP_1)
	v_pk_mul_f16 v123, v4, v123 op_sel_hi:[0,1]
	v_pk_mul_f16 v125, v4, v125 op_sel_hi:[0,1]
	;; [unrolled: 1-line block ×8, first 2 shown]
.LBB32_22:
	s_delay_alu instid0(VALU_DEP_1) | instskip(SKIP_2) | instid1(VALU_DEP_2)
	v_div_scale_f32 v4, null, v100, v100, 1.0
	s_load_b32 s0, s[0:1], 0xd4
	v_mad_u64_u32 v[1:2], null, s12, s6, v[85:86]
	v_rcp_f32_e32 v5, v4
	v_div_scale_f32 v6, vcc_lo, 1.0, v100, 1.0
	v_lshrrev_b32_e32 v7, 16, v125
	v_cvt_f32_f16_e32 v8, v125
	v_lshrrev_b32_e32 v17, 16, v121
	v_lshrrev_b32_e32 v9, 16, v123
	;; [unrolled: 1-line block ×3, first 2 shown]
	v_cvt_f32_f16_e32 v7, v7
	v_cvt_f32_f16_e32 v10, v123
	s_delay_alu instid0(TRANS32_DEP_1)
	v_fma_f32 v2, -v4, v5, 1.0
	v_cvt_f32_f16_e32 v9, v9
	v_cvt_f32_f16_e32 v15, v15
	;; [unrolled: 1-line block ×4, first 2 shown]
	v_dual_fmac_f32 v5, v2, v5 :: v_dual_mov_b32 v14, 0
	v_mad_u64_u32 v[2:3], null, v1, s7, v[0:1]
	v_lshrrev_b32_e32 v3, 16, v124
	s_delay_alu instid0(VALU_DEP_3)
	v_mul_f32_e32 v11, v6, v5
	s_waitcnt lgkmcnt(0)
	s_cmp_lg_u32 s0, 1
	v_lshrrev_b32_e32 v21, 16, v120
	s_cselect_b32 s1, -1, 0
	v_cvt_f32_f16_e32 v22, v3
	v_mad_u64_u32 v[0:1], null, s0, v2, s[14:15]
	v_fma_f32 v1, -v4, v11, v6
	v_cvt_f32_f16_e32 v21, v21
	v_lshrrev_b32_e32 v23, 16, v118
	v_mov_b32_e32 v2, v14
	v_lshrrev_b32_e32 v24, 16, v119
	v_fmac_f32_e32 v11, v1, v5
	v_lshl_add_u32 v13, v0, 9, v101
	v_cvt_f32_f16_e32 v26, v118
	v_cvt_f32_f16_e32 v28, v119
	;; [unrolled: 1-line block ×3, first 2 shown]
	v_fma_f32 v3, -v4, v11, v6
	s_delay_alu instid0(VALU_DEP_1) | instskip(SKIP_2) | instid1(VALU_DEP_3)
	v_div_fmas_f32 v5, v3, v5, v11
	v_lshlrev_b64 v[3:4], 2, v[13:14]
	v_cvt_f32_f16_e32 v11, v17
	v_div_fixup_f32 v5, v5, v100, 1.0
	s_delay_alu instid0(VALU_DEP_3) | instskip(NEXT) | instid1(VALU_DEP_4)
	v_add_co_u32 v17, vcc_lo, s28, v3
	v_add_co_ci_u32_e32 v18, vcc_lo, s29, v4, vcc_lo
	s_delay_alu instid0(VALU_DEP_3) | instskip(SKIP_1) | instid1(VALU_DEP_2)
	v_cndmask_b32_e64 v25, v5, 1.0, s1
	v_add_nc_u32_e32 v1, 0x80, v13
	v_mul_f32_e32 v3, v25, v8
	v_mul_f32_e32 v8, v25, v22
	s_delay_alu instid0(VALU_DEP_3)
	v_lshlrev_b64 v[1:2], 2, v[1:2]
	v_mul_f32_e32 v6, v25, v15
	v_cvt_f32_f16_e32 v15, v121
	v_mul_f32_e32 v4, v25, v7
	v_mul_f32_e32 v7, v25, v12
	;; [unrolled: 1-line block ×3, first 2 shown]
	v_add_co_u32 v19, vcc_lo, s28, v1
	v_add_co_ci_u32_e32 v20, vcc_lo, s29, v2, vcc_lo
	v_mul_f32_e32 v2, v25, v9
	v_add_nc_u32_e32 v9, 0x100, v13
	v_dual_mul_f32 v1, v25, v10 :: v_dual_mov_b32 v10, v14
	v_dual_mul_f32 v12, v25, v11 :: v_dual_add_nc_u32 v13, 0x180, v13
	v_mul_f32_e32 v11, v25, v15
	v_cvt_f32_f16_e32 v22, v120
	s_delay_alu instid0(VALU_DEP_4)
	v_lshlrev_b64 v[15:16], 2, v[9:10]
	v_mul_f32_e32 v10, v25, v21
	s_clause 0x1
	global_store_b128 v[17:18], v[1:4], off
	global_store_b128 v[19:20], v[5:8], off
	v_mul_f32_e32 v9, v25, v22
	v_add_co_u32 v21, vcc_lo, s28, v15
	v_cvt_f32_f16_e32 v15, v23
	v_lshlrev_b64 v[23:24], 2, v[13:14]
	v_add_co_ci_u32_e32 v22, vcc_lo, s29, v16, vcc_lo
	v_cmp_eq_u32_e32 vcc_lo, 0, v84
	s_delay_alu instid0(VALU_DEP_4)
	v_mul_f32_e32 v16, v25, v15
	v_mul_f32_e32 v15, v25, v26
	v_add_co_u32 v23, s0, s28, v23
	v_mul_f32_e32 v14, v25, v27
	v_mul_f32_e32 v13, v25, v28
	v_add_co_ci_u32_e64 v24, s0, s29, v24, s0
	s_and_b32 s0, vcc_lo, s1
	s_clause 0x1
	global_store_b128 v[21:22], v[9:12], off
	global_store_b128 v[23:24], v[13:16], off
	s_and_saveexec_b32 s1, s0
	s_cbranch_execz .LBB32_24
; %bb.23:
	v_ashrrev_i32_e32 v1, 31, v0
	s_delay_alu instid0(VALU_DEP_1) | instskip(NEXT) | instid1(VALU_DEP_1)
	v_lshlrev_b64 v[0:1], 3, v[0:1]
	v_add_co_u32 v0, vcc_lo, s30, v0
	s_delay_alu instid0(VALU_DEP_2)
	v_add_co_ci_u32_e32 v1, vcc_lo, s31, v1, vcc_lo
	global_store_b64 v[0:1], v[99:100], off
.LBB32_24:
	s_nop 0
	s_sendmsg sendmsg(MSG_DEALLOC_VGPRS)
	s_endpgm
	.section	.rodata,"a",@progbits
	.p2align	6, 0x0
	.amdhsa_kernel _ZL15flash_attn_tileILi512ELi512ELi1ELi4ELb1EEvPKcS1_S1_S1_S1_PKiPfP15HIP_vector_typeIfLj2EEffffjfiS5_IjLj3EEiiiiiiiiiiiliiliiiiil
		.amdhsa_group_segment_fixed_size 13824
		.amdhsa_private_segment_fixed_size 0
		.amdhsa_kernarg_size 464
		.amdhsa_user_sgpr_count 13
		.amdhsa_user_sgpr_dispatch_ptr 0
		.amdhsa_user_sgpr_queue_ptr 0
		.amdhsa_user_sgpr_kernarg_segment_ptr 1
		.amdhsa_user_sgpr_dispatch_id 0
		.amdhsa_user_sgpr_private_segment_size 0
		.amdhsa_wavefront_size32 1
		.amdhsa_uses_dynamic_stack 0
		.amdhsa_enable_private_segment 0
		.amdhsa_system_sgpr_workgroup_id_x 1
		.amdhsa_system_sgpr_workgroup_id_y 1
		.amdhsa_system_sgpr_workgroup_id_z 1
		.amdhsa_system_sgpr_workgroup_info 0
		.amdhsa_system_vgpr_workitem_id 1
		.amdhsa_next_free_vgpr 209
		.amdhsa_next_free_sgpr 41
		.amdhsa_reserve_vcc 1
		.amdhsa_float_round_mode_32 0
		.amdhsa_float_round_mode_16_64 0
		.amdhsa_float_denorm_mode_32 3
		.amdhsa_float_denorm_mode_16_64 3
		.amdhsa_dx10_clamp 1
		.amdhsa_ieee_mode 1
		.amdhsa_fp16_overflow 0
		.amdhsa_workgroup_processor_mode 1
		.amdhsa_memory_ordered 1
		.amdhsa_forward_progress 0
		.amdhsa_shared_vgpr_count 0
		.amdhsa_exception_fp_ieee_invalid_op 0
		.amdhsa_exception_fp_denorm_src 0
		.amdhsa_exception_fp_ieee_div_zero 0
		.amdhsa_exception_fp_ieee_overflow 0
		.amdhsa_exception_fp_ieee_underflow 0
		.amdhsa_exception_fp_ieee_inexact 0
		.amdhsa_exception_int_div_zero 0
	.end_amdhsa_kernel
	.section	.text._ZL15flash_attn_tileILi512ELi512ELi1ELi4ELb1EEvPKcS1_S1_S1_S1_PKiPfP15HIP_vector_typeIfLj2EEffffjfiS5_IjLj3EEiiiiiiiiiiiliiliiiiil,"axG",@progbits,_ZL15flash_attn_tileILi512ELi512ELi1ELi4ELb1EEvPKcS1_S1_S1_S1_PKiPfP15HIP_vector_typeIfLj2EEffffjfiS5_IjLj3EEiiiiiiiiiiiliiliiiiil,comdat
.Lfunc_end32:
	.size	_ZL15flash_attn_tileILi512ELi512ELi1ELi4ELb1EEvPKcS1_S1_S1_S1_PKiPfP15HIP_vector_typeIfLj2EEffffjfiS5_IjLj3EEiiiiiiiiiiiliiliiiiil, .Lfunc_end32-_ZL15flash_attn_tileILi512ELi512ELi1ELi4ELb1EEvPKcS1_S1_S1_S1_PKiPfP15HIP_vector_typeIfLj2EEffffjfiS5_IjLj3EEiiiiiiiiiiiliiliiiiil
                                        ; -- End function
	.section	.AMDGPU.csdata,"",@progbits
; Kernel info:
; codeLenInByte = 24240
; NumSgprs: 43
; NumVgprs: 209
; ScratchSize: 0
; MemoryBound: 0
; FloatMode: 240
; IeeeMode: 1
; LDSByteSize: 13824 bytes/workgroup (compile time only)
; SGPRBlocks: 5
; VGPRBlocks: 26
; NumSGPRsForWavesPerEU: 43
; NumVGPRsForWavesPerEU: 209
; Occupancy: 7
; WaveLimiterHint : 1
; COMPUTE_PGM_RSRC2:SCRATCH_EN: 0
; COMPUTE_PGM_RSRC2:USER_SGPR: 13
; COMPUTE_PGM_RSRC2:TRAP_HANDLER: 0
; COMPUTE_PGM_RSRC2:TGID_X_EN: 1
; COMPUTE_PGM_RSRC2:TGID_Y_EN: 1
; COMPUTE_PGM_RSRC2:TGID_Z_EN: 1
; COMPUTE_PGM_RSRC2:TIDIG_COMP_CNT: 1
	.text
	.p2alignl 7, 3214868480
	.fill 96, 4, 3214868480
	.type	__hip_cuid_8b91eb8397b7414e,@object ; @__hip_cuid_8b91eb8397b7414e
	.section	.bss,"aw",@nobits
	.globl	__hip_cuid_8b91eb8397b7414e
__hip_cuid_8b91eb8397b7414e:
	.byte	0                               ; 0x0
	.size	__hip_cuid_8b91eb8397b7414e, 1

	.ident	"AMD clang version 19.0.0git (https://github.com/RadeonOpenCompute/llvm-project roc-6.4.0 25133 c7fe45cf4b819c5991fe208aaa96edf142730f1d)"
	.section	".note.GNU-stack","",@progbits
	.addrsig
	.addrsig_sym __hip_cuid_8b91eb8397b7414e
	.amdgpu_metadata
---
amdhsa.kernels:
  - .args:
      - .address_space:  global
        .offset:         0
        .size:           8
        .value_kind:     global_buffer
      - .address_space:  global
        .offset:         8
        .size:           8
        .value_kind:     global_buffer
      - .address_space:  global
        .offset:         16
        .size:           8
        .value_kind:     global_buffer
      - .address_space:  global
        .offset:         24
        .size:           8
        .value_kind:     global_buffer
      - .address_space:  global
        .offset:         32
        .size:           8
        .value_kind:     global_buffer
      - .address_space:  global
        .offset:         40
        .size:           8
        .value_kind:     global_buffer
      - .address_space:  global
        .offset:         48
        .size:           8
        .value_kind:     global_buffer
      - .address_space:  global
        .offset:         56
        .size:           8
        .value_kind:     global_buffer
      - .offset:         64
        .size:           4
        .value_kind:     by_value
      - .offset:         68
        .size:           4
        .value_kind:     by_value
      - .offset:         72
        .size:           4
        .value_kind:     by_value
      - .offset:         76
        .size:           4
        .value_kind:     by_value
      - .offset:         80
        .size:           4
        .value_kind:     by_value
      - .offset:         84
        .size:           4
        .value_kind:     by_value
      - .offset:         88
        .size:           4
        .value_kind:     by_value
      - .offset:         92
        .size:           12
        .value_kind:     by_value
      - .offset:         104
        .size:           4
        .value_kind:     by_value
      - .offset:         108
        .size:           4
        .value_kind:     by_value
      - .offset:         112
        .size:           4
        .value_kind:     by_value
      - .offset:         116
        .size:           4
        .value_kind:     by_value
      - .offset:         120
        .size:           4
        .value_kind:     by_value
      - .offset:         124
        .size:           4
        .value_kind:     by_value
      - .offset:         128
        .size:           4
        .value_kind:     by_value
      - .offset:         132
        .size:           4
        .value_kind:     by_value
      - .offset:         136
        .size:           4
        .value_kind:     by_value
      - .offset:         140
        .size:           4
        .value_kind:     by_value
      - .offset:         144
        .size:           4
        .value_kind:     by_value
      - .offset:         152
        .size:           8
        .value_kind:     by_value
      - .offset:         160
        .size:           4
        .value_kind:     by_value
      - .offset:         164
        .size:           4
        .value_kind:     by_value
      - .offset:         168
        .size:           8
        .value_kind:     by_value
      - .offset:         176
        .size:           4
        .value_kind:     by_value
      - .offset:         180
        .size:           4
        .value_kind:     by_value
      - .offset:         184
        .size:           4
        .value_kind:     by_value
      - .offset:         188
        .size:           4
        .value_kind:     by_value
      - .offset:         192
        .size:           4
        .value_kind:     by_value
      - .offset:         200
        .size:           8
        .value_kind:     by_value
      - .offset:         208
        .size:           4
        .value_kind:     hidden_block_count_x
      - .offset:         212
        .size:           4
        .value_kind:     hidden_block_count_y
      - .offset:         216
        .size:           4
        .value_kind:     hidden_block_count_z
      - .offset:         220
        .size:           2
        .value_kind:     hidden_group_size_x
      - .offset:         222
        .size:           2
        .value_kind:     hidden_group_size_y
      - .offset:         224
        .size:           2
        .value_kind:     hidden_group_size_z
      - .offset:         226
        .size:           2
        .value_kind:     hidden_remainder_x
      - .offset:         228
        .size:           2
        .value_kind:     hidden_remainder_y
      - .offset:         230
        .size:           2
        .value_kind:     hidden_remainder_z
      - .offset:         248
        .size:           8
        .value_kind:     hidden_global_offset_x
      - .offset:         256
        .size:           8
        .value_kind:     hidden_global_offset_y
      - .offset:         264
        .size:           8
        .value_kind:     hidden_global_offset_z
      - .offset:         272
        .size:           2
        .value_kind:     hidden_grid_dims
    .group_segment_fixed_size: 59392
    .kernarg_segment_align: 8
    .kernarg_segment_size: 464
    .language:       OpenCL C
    .language_version:
      - 2
      - 0
    .max_flat_workgroup_size: 256
    .name:           _ZL15flash_attn_tileILi512ELi512ELi4ELi8ELb0EEvPKcS1_S1_S1_S1_PKiPfP15HIP_vector_typeIfLj2EEffffjfiS5_IjLj3EEiiiiiiiiiiiliiliiiiil
    .private_segment_fixed_size: 0
    .sgpr_count:     42
    .sgpr_spill_count: 0
    .symbol:         _ZL15flash_attn_tileILi512ELi512ELi4ELi8ELb0EEvPKcS1_S1_S1_S1_PKiPfP15HIP_vector_typeIfLj2EEffffjfiS5_IjLj3EEiiiiiiiiiiiliiliiiiil.kd
    .uniform_work_group_size: 1
    .uses_dynamic_stack: false
    .vgpr_count:     210
    .vgpr_spill_count: 0
    .wavefront_size: 32
    .workgroup_processor_mode: 1
  - .args:
      - .actual_access:  read_only
        .address_space:  global
        .offset:         0
        .size:           8
        .value_kind:     global_buffer
      - .actual_access:  write_only
        .address_space:  global
        .offset:         8
        .size:           8
        .value_kind:     global_buffer
      - .offset:         16
        .size:           4
        .value_kind:     by_value
      - .offset:         20
        .size:           4
        .value_kind:     by_value
      - .offset:         24
        .size:           4
        .value_kind:     by_value
      - .offset:         32
        .size:           4
        .value_kind:     hidden_block_count_x
      - .offset:         36
        .size:           4
        .value_kind:     hidden_block_count_y
      - .offset:         40
        .size:           4
        .value_kind:     hidden_block_count_z
      - .offset:         44
        .size:           2
        .value_kind:     hidden_group_size_x
      - .offset:         46
        .size:           2
        .value_kind:     hidden_group_size_y
      - .offset:         48
        .size:           2
        .value_kind:     hidden_group_size_z
      - .offset:         50
        .size:           2
        .value_kind:     hidden_remainder_x
      - .offset:         52
        .size:           2
        .value_kind:     hidden_remainder_y
      - .offset:         54
        .size:           2
        .value_kind:     hidden_remainder_z
      - .offset:         72
        .size:           8
        .value_kind:     hidden_global_offset_x
      - .offset:         80
        .size:           8
        .value_kind:     hidden_global_offset_y
      - .offset:         88
        .size:           8
        .value_kind:     hidden_global_offset_z
      - .offset:         96
        .size:           2
        .value_kind:     hidden_grid_dims
    .group_segment_fixed_size: 128
    .kernarg_segment_align: 8
    .kernarg_segment_size: 288
    .language:       OpenCL C
    .language_version:
      - 2
      - 0
    .max_flat_workgroup_size: 128
    .name:           _ZL25flash_attn_mask_to_KV_maxILi4EEvPK7__half2Piiii
    .private_segment_fixed_size: 0
    .sgpr_count:     21
    .sgpr_spill_count: 0
    .symbol:         _ZL25flash_attn_mask_to_KV_maxILi4EEvPK7__half2Piiii.kd
    .uniform_work_group_size: 1
    .uses_dynamic_stack: false
    .vgpr_count:     9
    .vgpr_spill_count: 0
    .wavefront_size: 32
    .workgroup_processor_mode: 1
  - .args:
      - .address_space:  global
        .offset:         0
        .size:           8
        .value_kind:     global_buffer
      - .address_space:  global
        .offset:         8
        .size:           8
        .value_kind:     global_buffer
      - .offset:         16
        .size:           4
        .value_kind:     by_value
      - .offset:         20
        .size:           4
        .value_kind:     by_value
      - .offset:         24
        .size:           4
        .value_kind:     by_value
      - .offset:         28
        .size:           4
        .value_kind:     by_value
      - .offset:         32
        .size:           4
        .value_kind:     by_value
      - .offset:         36
        .size:           4
        .value_kind:     by_value
      - .offset:         40
        .size:           12
        .value_kind:     by_value
      - .offset:         52
        .size:           12
        .value_kind:     by_value
      - .offset:         64
        .size:           12
        .value_kind:     by_value
    .group_segment_fixed_size: 0
    .kernarg_segment_align: 8
    .kernarg_segment_size: 76
    .language:       OpenCL C
    .language_version:
      - 2
      - 0
    .max_flat_workgroup_size: 512
    .name:           _ZL33flash_attn_stream_k_fixup_uniformILi512ELi4ELi8EEvPfPK15HIP_vector_typeIfLj2EEiiiiiiS1_IjLj3EES5_S5_
    .private_segment_fixed_size: 0
    .sgpr_count:     22
    .sgpr_spill_count: 0
    .symbol:         _ZL33flash_attn_stream_k_fixup_uniformILi512ELi4ELi8EEvPfPK15HIP_vector_typeIfLj2EEiiiiiiS1_IjLj3EES5_S5_.kd
    .uniform_work_group_size: 1
    .uses_dynamic_stack: false
    .vgpr_count:     15
    .vgpr_spill_count: 0
    .wavefront_size: 32
    .workgroup_processor_mode: 1
  - .args:
      - .address_space:  global
        .offset:         0
        .size:           8
        .value_kind:     global_buffer
      - .address_space:  global
        .offset:         8
        .size:           8
        .value_kind:     global_buffer
      - .offset:         16
        .size:           4
        .value_kind:     by_value
      - .offset:         20
        .size:           4
        .value_kind:     by_value
      - .offset:         24
        .size:           4
        .value_kind:     by_value
      - .offset:         28
        .size:           4
        .value_kind:     by_value
      - .offset:         32
        .size:           12
        .value_kind:     by_value
      - .offset:         44
        .size:           12
        .value_kind:     by_value
      - .offset:         56
        .size:           12
        .value_kind:     by_value
      - .offset:         68
        .size:           12
        .value_kind:     by_value
      - .offset:         80
        .size:           4
        .value_kind:     hidden_block_count_x
      - .offset:         84
        .size:           4
        .value_kind:     hidden_block_count_y
      - .offset:         88
        .size:           4
        .value_kind:     hidden_block_count_z
      - .offset:         92
        .size:           2
        .value_kind:     hidden_group_size_x
      - .offset:         94
        .size:           2
        .value_kind:     hidden_group_size_y
      - .offset:         96
        .size:           2
        .value_kind:     hidden_group_size_z
      - .offset:         98
        .size:           2
        .value_kind:     hidden_remainder_x
      - .offset:         100
        .size:           2
        .value_kind:     hidden_remainder_y
      - .offset:         102
        .size:           2
        .value_kind:     hidden_remainder_z
      - .offset:         120
        .size:           8
        .value_kind:     hidden_global_offset_x
      - .offset:         128
        .size:           8
        .value_kind:     hidden_global_offset_y
      - .offset:         136
        .size:           8
        .value_kind:     hidden_global_offset_z
      - .offset:         144
        .size:           2
        .value_kind:     hidden_grid_dims
    .group_segment_fixed_size: 0
    .kernarg_segment_align: 8
    .kernarg_segment_size: 336
    .language:       OpenCL C
    .language_version:
      - 2
      - 0
    .max_flat_workgroup_size: 512
    .name:           _ZL33flash_attn_stream_k_fixup_generalILi512ELi4ELi8EEvPfPK15HIP_vector_typeIfLj2EEiiiiS1_IjLj3EES5_S5_S5_
    .private_segment_fixed_size: 0
    .sgpr_count:     34
    .sgpr_spill_count: 0
    .symbol:         _ZL33flash_attn_stream_k_fixup_generalILi512ELi4ELi8EEvPfPK15HIP_vector_typeIfLj2EEiiiiS1_IjLj3EES5_S5_S5_.kd
    .uniform_work_group_size: 1
    .uses_dynamic_stack: false
    .vgpr_count:     19
    .vgpr_spill_count: 0
    .wavefront_size: 32
    .workgroup_processor_mode: 1
  - .args:
      - .address_space:  global
        .offset:         0
        .size:           8
        .value_kind:     global_buffer
      - .address_space:  global
        .offset:         8
        .size:           8
        .value_kind:     global_buffer
      - .address_space:  global
        .offset:         16
        .size:           8
        .value_kind:     global_buffer
      - .offset:         24
        .size:           4
        .value_kind:     by_value
      - .offset:         32
        .size:           4
        .value_kind:     hidden_block_count_x
      - .offset:         36
        .size:           4
        .value_kind:     hidden_block_count_y
      - .offset:         40
        .size:           4
        .value_kind:     hidden_block_count_z
      - .offset:         44
        .size:           2
        .value_kind:     hidden_group_size_x
      - .offset:         46
        .size:           2
        .value_kind:     hidden_group_size_y
      - .offset:         48
        .size:           2
        .value_kind:     hidden_group_size_z
      - .offset:         50
        .size:           2
        .value_kind:     hidden_remainder_x
      - .offset:         52
        .size:           2
        .value_kind:     hidden_remainder_y
      - .offset:         54
        .size:           2
        .value_kind:     hidden_remainder_z
      - .offset:         72
        .size:           8
        .value_kind:     hidden_global_offset_x
      - .offset:         80
        .size:           8
        .value_kind:     hidden_global_offset_y
      - .offset:         88
        .size:           8
        .value_kind:     hidden_global_offset_z
      - .offset:         96
        .size:           2
        .value_kind:     hidden_grid_dims
      - .offset:         152
        .size:           4
        .value_kind:     hidden_dynamic_lds_size
    .group_segment_fixed_size: 0
    .kernarg_segment_align: 8
    .kernarg_segment_size: 288
    .language:       OpenCL C
    .language_version:
      - 2
      - 0
    .max_flat_workgroup_size: 512
    .name:           _ZL26flash_attn_combine_resultsILi512EEvPKfPK15HIP_vector_typeIfLj2EEPfi
    .private_segment_fixed_size: 0
    .sgpr_count:     18
    .sgpr_spill_count: 0
    .symbol:         _ZL26flash_attn_combine_resultsILi512EEvPKfPK15HIP_vector_typeIfLj2EEPfi.kd
    .uniform_work_group_size: 1
    .uses_dynamic_stack: false
    .vgpr_count:     55
    .vgpr_spill_count: 0
    .wavefront_size: 32
    .workgroup_processor_mode: 1
  - .args:
      - .address_space:  global
        .offset:         0
        .size:           8
        .value_kind:     global_buffer
      - .address_space:  global
        .offset:         8
        .size:           8
        .value_kind:     global_buffer
      - .address_space:  global
        .offset:         16
        .size:           8
        .value_kind:     global_buffer
      - .address_space:  global
        .offset:         24
        .size:           8
        .value_kind:     global_buffer
      - .address_space:  global
        .offset:         32
        .size:           8
        .value_kind:     global_buffer
      - .address_space:  global
        .offset:         40
        .size:           8
        .value_kind:     global_buffer
      - .address_space:  global
        .offset:         48
        .size:           8
        .value_kind:     global_buffer
      - .address_space:  global
        .offset:         56
        .size:           8
        .value_kind:     global_buffer
      - .offset:         64
        .size:           4
        .value_kind:     by_value
      - .offset:         68
        .size:           4
        .value_kind:     by_value
      - .offset:         72
        .size:           4
        .value_kind:     by_value
      - .offset:         76
        .size:           4
        .value_kind:     by_value
      - .offset:         80
        .size:           4
        .value_kind:     by_value
      - .offset:         84
        .size:           4
        .value_kind:     by_value
      - .offset:         88
        .size:           4
        .value_kind:     by_value
      - .offset:         92
        .size:           12
        .value_kind:     by_value
      - .offset:         104
        .size:           4
        .value_kind:     by_value
      - .offset:         108
        .size:           4
        .value_kind:     by_value
      - .offset:         112
        .size:           4
        .value_kind:     by_value
      - .offset:         116
        .size:           4
        .value_kind:     by_value
      - .offset:         120
        .size:           4
        .value_kind:     by_value
      - .offset:         124
        .size:           4
        .value_kind:     by_value
      - .offset:         128
        .size:           4
        .value_kind:     by_value
      - .offset:         132
        .size:           4
        .value_kind:     by_value
      - .offset:         136
        .size:           4
        .value_kind:     by_value
      - .offset:         140
        .size:           4
        .value_kind:     by_value
      - .offset:         144
        .size:           4
        .value_kind:     by_value
      - .offset:         152
        .size:           8
        .value_kind:     by_value
      - .offset:         160
        .size:           4
        .value_kind:     by_value
      - .offset:         164
        .size:           4
        .value_kind:     by_value
      - .offset:         168
        .size:           8
        .value_kind:     by_value
      - .offset:         176
        .size:           4
        .value_kind:     by_value
      - .offset:         180
        .size:           4
        .value_kind:     by_value
      - .offset:         184
        .size:           4
        .value_kind:     by_value
      - .offset:         188
        .size:           4
        .value_kind:     by_value
      - .offset:         192
        .size:           4
        .value_kind:     by_value
      - .offset:         200
        .size:           8
        .value_kind:     by_value
      - .offset:         208
        .size:           4
        .value_kind:     hidden_block_count_x
      - .offset:         212
        .size:           4
        .value_kind:     hidden_block_count_y
      - .offset:         216
        .size:           4
        .value_kind:     hidden_block_count_z
      - .offset:         220
        .size:           2
        .value_kind:     hidden_group_size_x
      - .offset:         222
        .size:           2
        .value_kind:     hidden_group_size_y
      - .offset:         224
        .size:           2
        .value_kind:     hidden_group_size_z
      - .offset:         226
        .size:           2
        .value_kind:     hidden_remainder_x
      - .offset:         228
        .size:           2
        .value_kind:     hidden_remainder_y
      - .offset:         230
        .size:           2
        .value_kind:     hidden_remainder_z
      - .offset:         248
        .size:           8
        .value_kind:     hidden_global_offset_x
      - .offset:         256
        .size:           8
        .value_kind:     hidden_global_offset_y
      - .offset:         264
        .size:           8
        .value_kind:     hidden_global_offset_z
      - .offset:         272
        .size:           2
        .value_kind:     hidden_grid_dims
    .group_segment_fixed_size: 27648
    .kernarg_segment_align: 8
    .kernarg_segment_size: 464
    .language:       OpenCL C
    .language_version:
      - 2
      - 0
    .max_flat_workgroup_size: 256
    .name:           _ZL15flash_attn_tileILi512ELi512ELi2ELi8ELb0EEvPKcS1_S1_S1_S1_PKiPfP15HIP_vector_typeIfLj2EEffffjfiS5_IjLj3EEiiiiiiiiiiiliiliiiiil
    .private_segment_fixed_size: 0
    .sgpr_count:     44
    .sgpr_spill_count: 0
    .symbol:         _ZL15flash_attn_tileILi512ELi512ELi2ELi8ELb0EEvPKcS1_S1_S1_S1_PKiPfP15HIP_vector_typeIfLj2EEffffjfiS5_IjLj3EEiiiiiiiiiiiliiliiiiil.kd
    .uniform_work_group_size: 1
    .uses_dynamic_stack: false
    .vgpr_count:     191
    .vgpr_spill_count: 0
    .wavefront_size: 32
    .workgroup_processor_mode: 1
  - .args:
      - .actual_access:  read_only
        .address_space:  global
        .offset:         0
        .size:           8
        .value_kind:     global_buffer
      - .actual_access:  write_only
        .address_space:  global
        .offset:         8
        .size:           8
        .value_kind:     global_buffer
      - .offset:         16
        .size:           4
        .value_kind:     by_value
      - .offset:         20
        .size:           4
        .value_kind:     by_value
      - .offset:         24
        .size:           4
        .value_kind:     by_value
      - .offset:         32
        .size:           4
        .value_kind:     hidden_block_count_x
      - .offset:         36
        .size:           4
        .value_kind:     hidden_block_count_y
      - .offset:         40
        .size:           4
        .value_kind:     hidden_block_count_z
      - .offset:         44
        .size:           2
        .value_kind:     hidden_group_size_x
      - .offset:         46
        .size:           2
        .value_kind:     hidden_group_size_y
      - .offset:         48
        .size:           2
        .value_kind:     hidden_group_size_z
      - .offset:         50
        .size:           2
        .value_kind:     hidden_remainder_x
      - .offset:         52
        .size:           2
        .value_kind:     hidden_remainder_y
      - .offset:         54
        .size:           2
        .value_kind:     hidden_remainder_z
      - .offset:         72
        .size:           8
        .value_kind:     hidden_global_offset_x
      - .offset:         80
        .size:           8
        .value_kind:     hidden_global_offset_y
      - .offset:         88
        .size:           8
        .value_kind:     hidden_global_offset_z
      - .offset:         96
        .size:           2
        .value_kind:     hidden_grid_dims
    .group_segment_fixed_size: 128
    .kernarg_segment_align: 8
    .kernarg_segment_size: 288
    .language:       OpenCL C
    .language_version:
      - 2
      - 0
    .max_flat_workgroup_size: 128
    .name:           _ZL25flash_attn_mask_to_KV_maxILi2EEvPK7__half2Piiii
    .private_segment_fixed_size: 0
    .sgpr_count:     18
    .sgpr_spill_count: 0
    .symbol:         _ZL25flash_attn_mask_to_KV_maxILi2EEvPK7__half2Piiii.kd
    .uniform_work_group_size: 1
    .uses_dynamic_stack: false
    .vgpr_count:     7
    .vgpr_spill_count: 0
    .wavefront_size: 32
    .workgroup_processor_mode: 1
  - .args:
      - .address_space:  global
        .offset:         0
        .size:           8
        .value_kind:     global_buffer
      - .address_space:  global
        .offset:         8
        .size:           8
        .value_kind:     global_buffer
      - .offset:         16
        .size:           4
        .value_kind:     by_value
      - .offset:         20
        .size:           4
        .value_kind:     by_value
      - .offset:         24
        .size:           4
        .value_kind:     by_value
      - .offset:         28
        .size:           4
        .value_kind:     by_value
      - .offset:         32
        .size:           4
        .value_kind:     by_value
      - .offset:         36
        .size:           4
        .value_kind:     by_value
      - .offset:         40
        .size:           12
        .value_kind:     by_value
      - .offset:         52
        .size:           12
        .value_kind:     by_value
      - .offset:         64
        .size:           12
        .value_kind:     by_value
    .group_segment_fixed_size: 0
    .kernarg_segment_align: 8
    .kernarg_segment_size: 76
    .language:       OpenCL C
    .language_version:
      - 2
      - 0
    .max_flat_workgroup_size: 512
    .name:           _ZL33flash_attn_stream_k_fixup_uniformILi512ELi2ELi8EEvPfPK15HIP_vector_typeIfLj2EEiiiiiiS1_IjLj3EES5_S5_
    .private_segment_fixed_size: 0
    .sgpr_count:     22
    .sgpr_spill_count: 0
    .symbol:         _ZL33flash_attn_stream_k_fixup_uniformILi512ELi2ELi8EEvPfPK15HIP_vector_typeIfLj2EEiiiiiiS1_IjLj3EES5_S5_.kd
    .uniform_work_group_size: 1
    .uses_dynamic_stack: false
    .vgpr_count:     15
    .vgpr_spill_count: 0
    .wavefront_size: 32
    .workgroup_processor_mode: 1
  - .args:
      - .address_space:  global
        .offset:         0
        .size:           8
        .value_kind:     global_buffer
      - .address_space:  global
        .offset:         8
        .size:           8
        .value_kind:     global_buffer
      - .offset:         16
        .size:           4
        .value_kind:     by_value
      - .offset:         20
        .size:           4
        .value_kind:     by_value
      - .offset:         24
        .size:           4
        .value_kind:     by_value
      - .offset:         28
        .size:           4
        .value_kind:     by_value
      - .offset:         32
        .size:           12
        .value_kind:     by_value
      - .offset:         44
        .size:           12
        .value_kind:     by_value
      - .offset:         56
        .size:           12
        .value_kind:     by_value
      - .offset:         68
        .size:           12
        .value_kind:     by_value
      - .offset:         80
        .size:           4
        .value_kind:     hidden_block_count_x
      - .offset:         84
        .size:           4
        .value_kind:     hidden_block_count_y
      - .offset:         88
        .size:           4
        .value_kind:     hidden_block_count_z
      - .offset:         92
        .size:           2
        .value_kind:     hidden_group_size_x
      - .offset:         94
        .size:           2
        .value_kind:     hidden_group_size_y
      - .offset:         96
        .size:           2
        .value_kind:     hidden_group_size_z
      - .offset:         98
        .size:           2
        .value_kind:     hidden_remainder_x
      - .offset:         100
        .size:           2
        .value_kind:     hidden_remainder_y
      - .offset:         102
        .size:           2
        .value_kind:     hidden_remainder_z
      - .offset:         120
        .size:           8
        .value_kind:     hidden_global_offset_x
      - .offset:         128
        .size:           8
        .value_kind:     hidden_global_offset_y
      - .offset:         136
        .size:           8
        .value_kind:     hidden_global_offset_z
      - .offset:         144
        .size:           2
        .value_kind:     hidden_grid_dims
    .group_segment_fixed_size: 0
    .kernarg_segment_align: 8
    .kernarg_segment_size: 336
    .language:       OpenCL C
    .language_version:
      - 2
      - 0
    .max_flat_workgroup_size: 512
    .name:           _ZL33flash_attn_stream_k_fixup_generalILi512ELi2ELi8EEvPfPK15HIP_vector_typeIfLj2EEiiiiS1_IjLj3EES5_S5_S5_
    .private_segment_fixed_size: 0
    .sgpr_count:     34
    .sgpr_spill_count: 0
    .symbol:         _ZL33flash_attn_stream_k_fixup_generalILi512ELi2ELi8EEvPfPK15HIP_vector_typeIfLj2EEiiiiS1_IjLj3EES5_S5_S5_.kd
    .uniform_work_group_size: 1
    .uses_dynamic_stack: false
    .vgpr_count:     19
    .vgpr_spill_count: 0
    .wavefront_size: 32
    .workgroup_processor_mode: 1
  - .args:
      - .address_space:  global
        .offset:         0
        .size:           8
        .value_kind:     global_buffer
      - .address_space:  global
        .offset:         8
        .size:           8
        .value_kind:     global_buffer
      - .address_space:  global
        .offset:         16
        .size:           8
        .value_kind:     global_buffer
      - .address_space:  global
        .offset:         24
        .size:           8
        .value_kind:     global_buffer
      - .address_space:  global
        .offset:         32
        .size:           8
        .value_kind:     global_buffer
      - .address_space:  global
        .offset:         40
        .size:           8
        .value_kind:     global_buffer
      - .address_space:  global
        .offset:         48
        .size:           8
        .value_kind:     global_buffer
      - .address_space:  global
        .offset:         56
        .size:           8
        .value_kind:     global_buffer
      - .offset:         64
        .size:           4
        .value_kind:     by_value
      - .offset:         68
        .size:           4
        .value_kind:     by_value
      - .offset:         72
        .size:           4
        .value_kind:     by_value
      - .offset:         76
        .size:           4
        .value_kind:     by_value
      - .offset:         80
        .size:           4
        .value_kind:     by_value
      - .offset:         84
        .size:           4
        .value_kind:     by_value
      - .offset:         88
        .size:           4
        .value_kind:     by_value
      - .offset:         92
        .size:           12
        .value_kind:     by_value
      - .offset:         104
        .size:           4
        .value_kind:     by_value
      - .offset:         108
        .size:           4
        .value_kind:     by_value
      - .offset:         112
        .size:           4
        .value_kind:     by_value
      - .offset:         116
        .size:           4
        .value_kind:     by_value
      - .offset:         120
        .size:           4
        .value_kind:     by_value
      - .offset:         124
        .size:           4
        .value_kind:     by_value
      - .offset:         128
        .size:           4
        .value_kind:     by_value
      - .offset:         132
        .size:           4
        .value_kind:     by_value
      - .offset:         136
        .size:           4
        .value_kind:     by_value
      - .offset:         140
        .size:           4
        .value_kind:     by_value
      - .offset:         144
        .size:           4
        .value_kind:     by_value
      - .offset:         152
        .size:           8
        .value_kind:     by_value
      - .offset:         160
        .size:           4
        .value_kind:     by_value
      - .offset:         164
        .size:           4
        .value_kind:     by_value
      - .offset:         168
        .size:           8
        .value_kind:     by_value
      - .offset:         176
        .size:           4
        .value_kind:     by_value
      - .offset:         180
        .size:           4
        .value_kind:     by_value
      - .offset:         184
        .size:           4
        .value_kind:     by_value
      - .offset:         188
        .size:           4
        .value_kind:     by_value
      - .offset:         192
        .size:           4
        .value_kind:     by_value
      - .offset:         200
        .size:           8
        .value_kind:     by_value
      - .offset:         208
        .size:           4
        .value_kind:     hidden_block_count_x
      - .offset:         212
        .size:           4
        .value_kind:     hidden_block_count_y
      - .offset:         216
        .size:           4
        .value_kind:     hidden_block_count_z
      - .offset:         220
        .size:           2
        .value_kind:     hidden_group_size_x
      - .offset:         222
        .size:           2
        .value_kind:     hidden_group_size_y
      - .offset:         224
        .size:           2
        .value_kind:     hidden_group_size_z
      - .offset:         226
        .size:           2
        .value_kind:     hidden_remainder_x
      - .offset:         228
        .size:           2
        .value_kind:     hidden_remainder_y
      - .offset:         230
        .size:           2
        .value_kind:     hidden_remainder_z
      - .offset:         248
        .size:           8
        .value_kind:     hidden_global_offset_x
      - .offset:         256
        .size:           8
        .value_kind:     hidden_global_offset_y
      - .offset:         264
        .size:           8
        .value_kind:     hidden_global_offset_z
      - .offset:         272
        .size:           2
        .value_kind:     hidden_grid_dims
    .group_segment_fixed_size: 18432
    .kernarg_segment_align: 8
    .kernarg_segment_size: 464
    .language:       OpenCL C
    .language_version:
      - 2
      - 0
    .max_flat_workgroup_size: 256
    .name:           _ZL15flash_attn_tileILi512ELi512ELi1ELi8ELb0EEvPKcS1_S1_S1_S1_PKiPfP15HIP_vector_typeIfLj2EEffffjfiS5_IjLj3EEiiiiiiiiiiiliiliiiiil
    .private_segment_fixed_size: 0
    .sgpr_count:     42
    .sgpr_spill_count: 0
    .symbol:         _ZL15flash_attn_tileILi512ELi512ELi1ELi8ELb0EEvPKcS1_S1_S1_S1_PKiPfP15HIP_vector_typeIfLj2EEffffjfiS5_IjLj3EEiiiiiiiiiiiliiliiiiil.kd
    .uniform_work_group_size: 1
    .uses_dynamic_stack: false
    .vgpr_count:     96
    .vgpr_spill_count: 0
    .wavefront_size: 32
    .workgroup_processor_mode: 1
  - .args:
      - .actual_access:  read_only
        .address_space:  global
        .offset:         0
        .size:           8
        .value_kind:     global_buffer
      - .actual_access:  write_only
        .address_space:  global
        .offset:         8
        .size:           8
        .value_kind:     global_buffer
      - .offset:         16
        .size:           4
        .value_kind:     by_value
      - .offset:         20
        .size:           4
        .value_kind:     by_value
      - .offset:         24
        .size:           4
        .value_kind:     by_value
      - .offset:         32
        .size:           4
        .value_kind:     hidden_block_count_x
      - .offset:         36
        .size:           4
        .value_kind:     hidden_block_count_y
      - .offset:         40
        .size:           4
        .value_kind:     hidden_block_count_z
      - .offset:         44
        .size:           2
        .value_kind:     hidden_group_size_x
      - .offset:         46
        .size:           2
        .value_kind:     hidden_group_size_y
      - .offset:         48
        .size:           2
        .value_kind:     hidden_group_size_z
      - .offset:         50
        .size:           2
        .value_kind:     hidden_remainder_x
      - .offset:         52
        .size:           2
        .value_kind:     hidden_remainder_y
      - .offset:         54
        .size:           2
        .value_kind:     hidden_remainder_z
      - .offset:         72
        .size:           8
        .value_kind:     hidden_global_offset_x
      - .offset:         80
        .size:           8
        .value_kind:     hidden_global_offset_y
      - .offset:         88
        .size:           8
        .value_kind:     hidden_global_offset_z
      - .offset:         96
        .size:           2
        .value_kind:     hidden_grid_dims
    .group_segment_fixed_size: 128
    .kernarg_segment_align: 8
    .kernarg_segment_size: 288
    .language:       OpenCL C
    .language_version:
      - 2
      - 0
    .max_flat_workgroup_size: 128
    .name:           _ZL25flash_attn_mask_to_KV_maxILi1EEvPK7__half2Piiii
    .private_segment_fixed_size: 0
    .sgpr_count:     18
    .sgpr_spill_count: 0
    .symbol:         _ZL25flash_attn_mask_to_KV_maxILi1EEvPK7__half2Piiii.kd
    .uniform_work_group_size: 1
    .uses_dynamic_stack: false
    .vgpr_count:     7
    .vgpr_spill_count: 0
    .wavefront_size: 32
    .workgroup_processor_mode: 1
  - .args:
      - .address_space:  global
        .offset:         0
        .size:           8
        .value_kind:     global_buffer
      - .address_space:  global
        .offset:         8
        .size:           8
        .value_kind:     global_buffer
      - .offset:         16
        .size:           4
        .value_kind:     by_value
      - .offset:         20
        .size:           4
        .value_kind:     by_value
      - .offset:         24
        .size:           4
        .value_kind:     by_value
      - .offset:         28
        .size:           4
        .value_kind:     by_value
      - .offset:         32
        .size:           4
        .value_kind:     by_value
      - .offset:         36
        .size:           4
        .value_kind:     by_value
      - .offset:         40
        .size:           12
        .value_kind:     by_value
      - .offset:         52
        .size:           12
        .value_kind:     by_value
      - .offset:         64
        .size:           12
        .value_kind:     by_value
    .group_segment_fixed_size: 0
    .kernarg_segment_align: 8
    .kernarg_segment_size: 76
    .language:       OpenCL C
    .language_version:
      - 2
      - 0
    .max_flat_workgroup_size: 512
    .name:           _ZL33flash_attn_stream_k_fixup_uniformILi512ELi1ELi8EEvPfPK15HIP_vector_typeIfLj2EEiiiiiiS1_IjLj3EES5_S5_
    .private_segment_fixed_size: 0
    .sgpr_count:     22
    .sgpr_spill_count: 0
    .symbol:         _ZL33flash_attn_stream_k_fixup_uniformILi512ELi1ELi8EEvPfPK15HIP_vector_typeIfLj2EEiiiiiiS1_IjLj3EES5_S5_.kd
    .uniform_work_group_size: 1
    .uses_dynamic_stack: false
    .vgpr_count:     15
    .vgpr_spill_count: 0
    .wavefront_size: 32
    .workgroup_processor_mode: 1
  - .args:
      - .address_space:  global
        .offset:         0
        .size:           8
        .value_kind:     global_buffer
      - .address_space:  global
        .offset:         8
        .size:           8
        .value_kind:     global_buffer
      - .offset:         16
        .size:           4
        .value_kind:     by_value
      - .offset:         20
        .size:           4
        .value_kind:     by_value
      - .offset:         24
        .size:           4
        .value_kind:     by_value
      - .offset:         28
        .size:           4
        .value_kind:     by_value
      - .offset:         32
        .size:           12
        .value_kind:     by_value
      - .offset:         44
        .size:           12
        .value_kind:     by_value
      - .offset:         56
        .size:           12
        .value_kind:     by_value
      - .offset:         68
        .size:           12
        .value_kind:     by_value
      - .offset:         80
        .size:           4
        .value_kind:     hidden_block_count_x
      - .offset:         84
        .size:           4
        .value_kind:     hidden_block_count_y
      - .offset:         88
        .size:           4
        .value_kind:     hidden_block_count_z
      - .offset:         92
        .size:           2
        .value_kind:     hidden_group_size_x
      - .offset:         94
        .size:           2
        .value_kind:     hidden_group_size_y
      - .offset:         96
        .size:           2
        .value_kind:     hidden_group_size_z
      - .offset:         98
        .size:           2
        .value_kind:     hidden_remainder_x
      - .offset:         100
        .size:           2
        .value_kind:     hidden_remainder_y
      - .offset:         102
        .size:           2
        .value_kind:     hidden_remainder_z
      - .offset:         120
        .size:           8
        .value_kind:     hidden_global_offset_x
      - .offset:         128
        .size:           8
        .value_kind:     hidden_global_offset_y
      - .offset:         136
        .size:           8
        .value_kind:     hidden_global_offset_z
      - .offset:         144
        .size:           2
        .value_kind:     hidden_grid_dims
    .group_segment_fixed_size: 0
    .kernarg_segment_align: 8
    .kernarg_segment_size: 336
    .language:       OpenCL C
    .language_version:
      - 2
      - 0
    .max_flat_workgroup_size: 512
    .name:           _ZL33flash_attn_stream_k_fixup_generalILi512ELi1ELi8EEvPfPK15HIP_vector_typeIfLj2EEiiiiS1_IjLj3EES5_S5_S5_
    .private_segment_fixed_size: 0
    .sgpr_count:     34
    .sgpr_spill_count: 0
    .symbol:         _ZL33flash_attn_stream_k_fixup_generalILi512ELi1ELi8EEvPfPK15HIP_vector_typeIfLj2EEiiiiS1_IjLj3EES5_S5_S5_.kd
    .uniform_work_group_size: 1
    .uses_dynamic_stack: false
    .vgpr_count:     19
    .vgpr_spill_count: 0
    .wavefront_size: 32
    .workgroup_processor_mode: 1
  - .args:
      - .address_space:  global
        .offset:         0
        .size:           8
        .value_kind:     global_buffer
      - .address_space:  global
        .offset:         8
        .size:           8
        .value_kind:     global_buffer
      - .address_space:  global
        .offset:         16
        .size:           8
        .value_kind:     global_buffer
      - .address_space:  global
        .offset:         24
        .size:           8
        .value_kind:     global_buffer
      - .address_space:  global
        .offset:         32
        .size:           8
        .value_kind:     global_buffer
      - .address_space:  global
        .offset:         40
        .size:           8
        .value_kind:     global_buffer
      - .address_space:  global
        .offset:         48
        .size:           8
        .value_kind:     global_buffer
      - .address_space:  global
        .offset:         56
        .size:           8
        .value_kind:     global_buffer
      - .offset:         64
        .size:           4
        .value_kind:     by_value
      - .offset:         68
        .size:           4
        .value_kind:     by_value
      - .offset:         72
        .size:           4
        .value_kind:     by_value
      - .offset:         76
        .size:           4
        .value_kind:     by_value
      - .offset:         80
        .size:           4
        .value_kind:     by_value
      - .offset:         84
        .size:           4
        .value_kind:     by_value
      - .offset:         88
        .size:           4
        .value_kind:     by_value
      - .offset:         92
        .size:           12
        .value_kind:     by_value
      - .offset:         104
        .size:           4
        .value_kind:     by_value
      - .offset:         108
        .size:           4
        .value_kind:     by_value
      - .offset:         112
        .size:           4
        .value_kind:     by_value
      - .offset:         116
        .size:           4
        .value_kind:     by_value
      - .offset:         120
        .size:           4
        .value_kind:     by_value
      - .offset:         124
        .size:           4
        .value_kind:     by_value
      - .offset:         128
        .size:           4
        .value_kind:     by_value
      - .offset:         132
        .size:           4
        .value_kind:     by_value
      - .offset:         136
        .size:           4
        .value_kind:     by_value
      - .offset:         140
        .size:           4
        .value_kind:     by_value
      - .offset:         144
        .size:           4
        .value_kind:     by_value
      - .offset:         152
        .size:           8
        .value_kind:     by_value
      - .offset:         160
        .size:           4
        .value_kind:     by_value
      - .offset:         164
        .size:           4
        .value_kind:     by_value
      - .offset:         168
        .size:           8
        .value_kind:     by_value
      - .offset:         176
        .size:           4
        .value_kind:     by_value
      - .offset:         180
        .size:           4
        .value_kind:     by_value
      - .offset:         184
        .size:           4
        .value_kind:     by_value
      - .offset:         188
        .size:           4
        .value_kind:     by_value
      - .offset:         192
        .size:           4
        .value_kind:     by_value
      - .offset:         200
        .size:           8
        .value_kind:     by_value
      - .offset:         208
        .size:           4
        .value_kind:     hidden_block_count_x
      - .offset:         212
        .size:           4
        .value_kind:     hidden_block_count_y
      - .offset:         216
        .size:           4
        .value_kind:     hidden_block_count_z
      - .offset:         220
        .size:           2
        .value_kind:     hidden_group_size_x
      - .offset:         222
        .size:           2
        .value_kind:     hidden_group_size_y
      - .offset:         224
        .size:           2
        .value_kind:     hidden_group_size_z
      - .offset:         226
        .size:           2
        .value_kind:     hidden_remainder_x
      - .offset:         228
        .size:           2
        .value_kind:     hidden_remainder_y
      - .offset:         230
        .size:           2
        .value_kind:     hidden_remainder_z
      - .offset:         248
        .size:           8
        .value_kind:     hidden_global_offset_x
      - .offset:         256
        .size:           8
        .value_kind:     hidden_global_offset_y
      - .offset:         264
        .size:           8
        .value_kind:     hidden_global_offset_z
      - .offset:         272
        .size:           2
        .value_kind:     hidden_grid_dims
    .group_segment_fixed_size: 59392
    .kernarg_segment_align: 8
    .kernarg_segment_size: 464
    .language:       OpenCL C
    .language_version:
      - 2
      - 0
    .max_flat_workgroup_size: 256
    .name:           _ZL15flash_attn_tileILi512ELi512ELi8ELi4ELb0EEvPKcS1_S1_S1_S1_PKiPfP15HIP_vector_typeIfLj2EEffffjfiS5_IjLj3EEiiiiiiiiiiiliiliiiiil
    .private_segment_fixed_size: 0
    .sgpr_count:     42
    .sgpr_spill_count: 0
    .symbol:         _ZL15flash_attn_tileILi512ELi512ELi8ELi4ELb0EEvPKcS1_S1_S1_S1_PKiPfP15HIP_vector_typeIfLj2EEffffjfiS5_IjLj3EEiiiiiiiiiiiliiliiiiil.kd
    .uniform_work_group_size: 1
    .uses_dynamic_stack: false
    .vgpr_count:     209
    .vgpr_spill_count: 0
    .wavefront_size: 32
    .workgroup_processor_mode: 1
  - .args:
      - .actual_access:  read_only
        .address_space:  global
        .offset:         0
        .size:           8
        .value_kind:     global_buffer
      - .actual_access:  write_only
        .address_space:  global
        .offset:         8
        .size:           8
        .value_kind:     global_buffer
      - .offset:         16
        .size:           4
        .value_kind:     by_value
      - .offset:         20
        .size:           4
        .value_kind:     by_value
      - .offset:         24
        .size:           4
        .value_kind:     by_value
      - .offset:         32
        .size:           4
        .value_kind:     hidden_block_count_x
      - .offset:         36
        .size:           4
        .value_kind:     hidden_block_count_y
      - .offset:         40
        .size:           4
        .value_kind:     hidden_block_count_z
      - .offset:         44
        .size:           2
        .value_kind:     hidden_group_size_x
      - .offset:         46
        .size:           2
        .value_kind:     hidden_group_size_y
      - .offset:         48
        .size:           2
        .value_kind:     hidden_group_size_z
      - .offset:         50
        .size:           2
        .value_kind:     hidden_remainder_x
      - .offset:         52
        .size:           2
        .value_kind:     hidden_remainder_y
      - .offset:         54
        .size:           2
        .value_kind:     hidden_remainder_z
      - .offset:         72
        .size:           8
        .value_kind:     hidden_global_offset_x
      - .offset:         80
        .size:           8
        .value_kind:     hidden_global_offset_y
      - .offset:         88
        .size:           8
        .value_kind:     hidden_global_offset_z
      - .offset:         96
        .size:           2
        .value_kind:     hidden_grid_dims
    .group_segment_fixed_size: 128
    .kernarg_segment_align: 8
    .kernarg_segment_size: 288
    .language:       OpenCL C
    .language_version:
      - 2
      - 0
    .max_flat_workgroup_size: 128
    .name:           _ZL25flash_attn_mask_to_KV_maxILi8EEvPK7__half2Piiii
    .private_segment_fixed_size: 0
    .sgpr_count:     29
    .sgpr_spill_count: 0
    .symbol:         _ZL25flash_attn_mask_to_KV_maxILi8EEvPK7__half2Piiii.kd
    .uniform_work_group_size: 1
    .uses_dynamic_stack: false
    .vgpr_count:     9
    .vgpr_spill_count: 0
    .wavefront_size: 32
    .workgroup_processor_mode: 1
  - .args:
      - .address_space:  global
        .offset:         0
        .size:           8
        .value_kind:     global_buffer
      - .address_space:  global
        .offset:         8
        .size:           8
        .value_kind:     global_buffer
      - .offset:         16
        .size:           4
        .value_kind:     by_value
      - .offset:         20
        .size:           4
        .value_kind:     by_value
      - .offset:         24
        .size:           4
        .value_kind:     by_value
      - .offset:         28
        .size:           4
        .value_kind:     by_value
      - .offset:         32
        .size:           4
        .value_kind:     by_value
      - .offset:         36
        .size:           4
        .value_kind:     by_value
      - .offset:         40
        .size:           12
        .value_kind:     by_value
      - .offset:         52
        .size:           12
        .value_kind:     by_value
      - .offset:         64
        .size:           12
        .value_kind:     by_value
    .group_segment_fixed_size: 0
    .kernarg_segment_align: 8
    .kernarg_segment_size: 76
    .language:       OpenCL C
    .language_version:
      - 2
      - 0
    .max_flat_workgroup_size: 512
    .name:           _ZL33flash_attn_stream_k_fixup_uniformILi512ELi8ELi4EEvPfPK15HIP_vector_typeIfLj2EEiiiiiiS1_IjLj3EES5_S5_
    .private_segment_fixed_size: 0
    .sgpr_count:     22
    .sgpr_spill_count: 0
    .symbol:         _ZL33flash_attn_stream_k_fixup_uniformILi512ELi8ELi4EEvPfPK15HIP_vector_typeIfLj2EEiiiiiiS1_IjLj3EES5_S5_.kd
    .uniform_work_group_size: 1
    .uses_dynamic_stack: false
    .vgpr_count:     15
    .vgpr_spill_count: 0
    .wavefront_size: 32
    .workgroup_processor_mode: 1
  - .args:
      - .address_space:  global
        .offset:         0
        .size:           8
        .value_kind:     global_buffer
      - .address_space:  global
        .offset:         8
        .size:           8
        .value_kind:     global_buffer
      - .offset:         16
        .size:           4
        .value_kind:     by_value
      - .offset:         20
        .size:           4
        .value_kind:     by_value
      - .offset:         24
        .size:           4
        .value_kind:     by_value
      - .offset:         28
        .size:           4
        .value_kind:     by_value
      - .offset:         32
        .size:           12
        .value_kind:     by_value
      - .offset:         44
        .size:           12
        .value_kind:     by_value
      - .offset:         56
        .size:           12
        .value_kind:     by_value
      - .offset:         68
        .size:           12
        .value_kind:     by_value
      - .offset:         80
        .size:           4
        .value_kind:     hidden_block_count_x
      - .offset:         84
        .size:           4
        .value_kind:     hidden_block_count_y
      - .offset:         88
        .size:           4
        .value_kind:     hidden_block_count_z
      - .offset:         92
        .size:           2
        .value_kind:     hidden_group_size_x
      - .offset:         94
        .size:           2
        .value_kind:     hidden_group_size_y
      - .offset:         96
        .size:           2
        .value_kind:     hidden_group_size_z
      - .offset:         98
        .size:           2
        .value_kind:     hidden_remainder_x
      - .offset:         100
        .size:           2
        .value_kind:     hidden_remainder_y
      - .offset:         102
        .size:           2
        .value_kind:     hidden_remainder_z
      - .offset:         120
        .size:           8
        .value_kind:     hidden_global_offset_x
      - .offset:         128
        .size:           8
        .value_kind:     hidden_global_offset_y
      - .offset:         136
        .size:           8
        .value_kind:     hidden_global_offset_z
      - .offset:         144
        .size:           2
        .value_kind:     hidden_grid_dims
    .group_segment_fixed_size: 0
    .kernarg_segment_align: 8
    .kernarg_segment_size: 336
    .language:       OpenCL C
    .language_version:
      - 2
      - 0
    .max_flat_workgroup_size: 512
    .name:           _ZL33flash_attn_stream_k_fixup_generalILi512ELi8ELi4EEvPfPK15HIP_vector_typeIfLj2EEiiiiS1_IjLj3EES5_S5_S5_
    .private_segment_fixed_size: 0
    .sgpr_count:     34
    .sgpr_spill_count: 0
    .symbol:         _ZL33flash_attn_stream_k_fixup_generalILi512ELi8ELi4EEvPfPK15HIP_vector_typeIfLj2EEiiiiS1_IjLj3EES5_S5_S5_.kd
    .uniform_work_group_size: 1
    .uses_dynamic_stack: false
    .vgpr_count:     19
    .vgpr_spill_count: 0
    .wavefront_size: 32
    .workgroup_processor_mode: 1
  - .args:
      - .address_space:  global
        .offset:         0
        .size:           8
        .value_kind:     global_buffer
      - .address_space:  global
        .offset:         8
        .size:           8
        .value_kind:     global_buffer
      - .address_space:  global
        .offset:         16
        .size:           8
        .value_kind:     global_buffer
      - .address_space:  global
        .offset:         24
        .size:           8
        .value_kind:     global_buffer
      - .address_space:  global
        .offset:         32
        .size:           8
        .value_kind:     global_buffer
      - .address_space:  global
        .offset:         40
        .size:           8
        .value_kind:     global_buffer
      - .address_space:  global
        .offset:         48
        .size:           8
        .value_kind:     global_buffer
      - .address_space:  global
        .offset:         56
        .size:           8
        .value_kind:     global_buffer
      - .offset:         64
        .size:           4
        .value_kind:     by_value
      - .offset:         68
        .size:           4
        .value_kind:     by_value
      - .offset:         72
        .size:           4
        .value_kind:     by_value
      - .offset:         76
        .size:           4
        .value_kind:     by_value
      - .offset:         80
        .size:           4
        .value_kind:     by_value
      - .offset:         84
        .size:           4
        .value_kind:     by_value
      - .offset:         88
        .size:           4
        .value_kind:     by_value
      - .offset:         92
        .size:           12
        .value_kind:     by_value
      - .offset:         104
        .size:           4
        .value_kind:     by_value
      - .offset:         108
        .size:           4
        .value_kind:     by_value
      - .offset:         112
        .size:           4
        .value_kind:     by_value
      - .offset:         116
        .size:           4
        .value_kind:     by_value
      - .offset:         120
        .size:           4
        .value_kind:     by_value
      - .offset:         124
        .size:           4
        .value_kind:     by_value
      - .offset:         128
        .size:           4
        .value_kind:     by_value
      - .offset:         132
        .size:           4
        .value_kind:     by_value
      - .offset:         136
        .size:           4
        .value_kind:     by_value
      - .offset:         140
        .size:           4
        .value_kind:     by_value
      - .offset:         144
        .size:           4
        .value_kind:     by_value
      - .offset:         152
        .size:           8
        .value_kind:     by_value
      - .offset:         160
        .size:           4
        .value_kind:     by_value
      - .offset:         164
        .size:           4
        .value_kind:     by_value
      - .offset:         168
        .size:           8
        .value_kind:     by_value
      - .offset:         176
        .size:           4
        .value_kind:     by_value
      - .offset:         180
        .size:           4
        .value_kind:     by_value
      - .offset:         184
        .size:           4
        .value_kind:     by_value
      - .offset:         188
        .size:           4
        .value_kind:     by_value
      - .offset:         192
        .size:           4
        .value_kind:     by_value
      - .offset:         200
        .size:           8
        .value_kind:     by_value
      - .offset:         208
        .size:           4
        .value_kind:     hidden_block_count_x
      - .offset:         212
        .size:           4
        .value_kind:     hidden_block_count_y
      - .offset:         216
        .size:           4
        .value_kind:     hidden_block_count_z
      - .offset:         220
        .size:           2
        .value_kind:     hidden_group_size_x
      - .offset:         222
        .size:           2
        .value_kind:     hidden_group_size_y
      - .offset:         224
        .size:           2
        .value_kind:     hidden_group_size_z
      - .offset:         226
        .size:           2
        .value_kind:     hidden_remainder_x
      - .offset:         228
        .size:           2
        .value_kind:     hidden_remainder_y
      - .offset:         230
        .size:           2
        .value_kind:     hidden_remainder_z
      - .offset:         248
        .size:           8
        .value_kind:     hidden_global_offset_x
      - .offset:         256
        .size:           8
        .value_kind:     hidden_global_offset_y
      - .offset:         264
        .size:           8
        .value_kind:     hidden_global_offset_z
      - .offset:         272
        .size:           2
        .value_kind:     hidden_grid_dims
    .group_segment_fixed_size: 27648
    .kernarg_segment_align: 8
    .kernarg_segment_size: 464
    .language:       OpenCL C
    .language_version:
      - 2
      - 0
    .max_flat_workgroup_size: 256
    .name:           _ZL15flash_attn_tileILi512ELi512ELi4ELi4ELb0EEvPKcS1_S1_S1_S1_PKiPfP15HIP_vector_typeIfLj2EEffffjfiS5_IjLj3EEiiiiiiiiiiiliiliiiiil
    .private_segment_fixed_size: 0
    .sgpr_count:     44
    .sgpr_spill_count: 0
    .symbol:         _ZL15flash_attn_tileILi512ELi512ELi4ELi4ELb0EEvPKcS1_S1_S1_S1_PKiPfP15HIP_vector_typeIfLj2EEffffjfiS5_IjLj3EEiiiiiiiiiiiliiliiiiil.kd
    .uniform_work_group_size: 1
    .uses_dynamic_stack: false
    .vgpr_count:     191
    .vgpr_spill_count: 0
    .wavefront_size: 32
    .workgroup_processor_mode: 1
  - .args:
      - .address_space:  global
        .offset:         0
        .size:           8
        .value_kind:     global_buffer
      - .address_space:  global
        .offset:         8
        .size:           8
        .value_kind:     global_buffer
      - .offset:         16
        .size:           4
        .value_kind:     by_value
      - .offset:         20
        .size:           4
        .value_kind:     by_value
      - .offset:         24
        .size:           4
        .value_kind:     by_value
      - .offset:         28
        .size:           4
        .value_kind:     by_value
      - .offset:         32
        .size:           4
        .value_kind:     by_value
      - .offset:         36
        .size:           4
        .value_kind:     by_value
      - .offset:         40
        .size:           12
        .value_kind:     by_value
      - .offset:         52
        .size:           12
        .value_kind:     by_value
      - .offset:         64
        .size:           12
        .value_kind:     by_value
    .group_segment_fixed_size: 0
    .kernarg_segment_align: 8
    .kernarg_segment_size: 76
    .language:       OpenCL C
    .language_version:
      - 2
      - 0
    .max_flat_workgroup_size: 512
    .name:           _ZL33flash_attn_stream_k_fixup_uniformILi512ELi4ELi4EEvPfPK15HIP_vector_typeIfLj2EEiiiiiiS1_IjLj3EES5_S5_
    .private_segment_fixed_size: 0
    .sgpr_count:     22
    .sgpr_spill_count: 0
    .symbol:         _ZL33flash_attn_stream_k_fixup_uniformILi512ELi4ELi4EEvPfPK15HIP_vector_typeIfLj2EEiiiiiiS1_IjLj3EES5_S5_.kd
    .uniform_work_group_size: 1
    .uses_dynamic_stack: false
    .vgpr_count:     15
    .vgpr_spill_count: 0
    .wavefront_size: 32
    .workgroup_processor_mode: 1
  - .args:
      - .address_space:  global
        .offset:         0
        .size:           8
        .value_kind:     global_buffer
      - .address_space:  global
        .offset:         8
        .size:           8
        .value_kind:     global_buffer
      - .offset:         16
        .size:           4
        .value_kind:     by_value
      - .offset:         20
        .size:           4
        .value_kind:     by_value
      - .offset:         24
        .size:           4
        .value_kind:     by_value
      - .offset:         28
        .size:           4
        .value_kind:     by_value
      - .offset:         32
        .size:           12
        .value_kind:     by_value
      - .offset:         44
        .size:           12
        .value_kind:     by_value
      - .offset:         56
        .size:           12
        .value_kind:     by_value
      - .offset:         68
        .size:           12
        .value_kind:     by_value
      - .offset:         80
        .size:           4
        .value_kind:     hidden_block_count_x
      - .offset:         84
        .size:           4
        .value_kind:     hidden_block_count_y
      - .offset:         88
        .size:           4
        .value_kind:     hidden_block_count_z
      - .offset:         92
        .size:           2
        .value_kind:     hidden_group_size_x
      - .offset:         94
        .size:           2
        .value_kind:     hidden_group_size_y
      - .offset:         96
        .size:           2
        .value_kind:     hidden_group_size_z
      - .offset:         98
        .size:           2
        .value_kind:     hidden_remainder_x
      - .offset:         100
        .size:           2
        .value_kind:     hidden_remainder_y
      - .offset:         102
        .size:           2
        .value_kind:     hidden_remainder_z
      - .offset:         120
        .size:           8
        .value_kind:     hidden_global_offset_x
      - .offset:         128
        .size:           8
        .value_kind:     hidden_global_offset_y
      - .offset:         136
        .size:           8
        .value_kind:     hidden_global_offset_z
      - .offset:         144
        .size:           2
        .value_kind:     hidden_grid_dims
    .group_segment_fixed_size: 0
    .kernarg_segment_align: 8
    .kernarg_segment_size: 336
    .language:       OpenCL C
    .language_version:
      - 2
      - 0
    .max_flat_workgroup_size: 512
    .name:           _ZL33flash_attn_stream_k_fixup_generalILi512ELi4ELi4EEvPfPK15HIP_vector_typeIfLj2EEiiiiS1_IjLj3EES5_S5_S5_
    .private_segment_fixed_size: 0
    .sgpr_count:     34
    .sgpr_spill_count: 0
    .symbol:         _ZL33flash_attn_stream_k_fixup_generalILi512ELi4ELi4EEvPfPK15HIP_vector_typeIfLj2EEiiiiS1_IjLj3EES5_S5_S5_.kd
    .uniform_work_group_size: 1
    .uses_dynamic_stack: false
    .vgpr_count:     19
    .vgpr_spill_count: 0
    .wavefront_size: 32
    .workgroup_processor_mode: 1
  - .args:
      - .address_space:  global
        .offset:         0
        .size:           8
        .value_kind:     global_buffer
      - .address_space:  global
        .offset:         8
        .size:           8
        .value_kind:     global_buffer
      - .address_space:  global
        .offset:         16
        .size:           8
        .value_kind:     global_buffer
      - .address_space:  global
        .offset:         24
        .size:           8
        .value_kind:     global_buffer
      - .address_space:  global
        .offset:         32
        .size:           8
        .value_kind:     global_buffer
      - .address_space:  global
        .offset:         40
        .size:           8
        .value_kind:     global_buffer
      - .address_space:  global
        .offset:         48
        .size:           8
        .value_kind:     global_buffer
      - .address_space:  global
        .offset:         56
        .size:           8
        .value_kind:     global_buffer
      - .offset:         64
        .size:           4
        .value_kind:     by_value
      - .offset:         68
        .size:           4
        .value_kind:     by_value
      - .offset:         72
        .size:           4
        .value_kind:     by_value
      - .offset:         76
        .size:           4
        .value_kind:     by_value
      - .offset:         80
        .size:           4
        .value_kind:     by_value
      - .offset:         84
        .size:           4
        .value_kind:     by_value
      - .offset:         88
        .size:           4
        .value_kind:     by_value
      - .offset:         92
        .size:           12
        .value_kind:     by_value
      - .offset:         104
        .size:           4
        .value_kind:     by_value
      - .offset:         108
        .size:           4
        .value_kind:     by_value
      - .offset:         112
        .size:           4
        .value_kind:     by_value
      - .offset:         116
        .size:           4
        .value_kind:     by_value
      - .offset:         120
        .size:           4
        .value_kind:     by_value
      - .offset:         124
        .size:           4
        .value_kind:     by_value
      - .offset:         128
        .size:           4
        .value_kind:     by_value
      - .offset:         132
        .size:           4
        .value_kind:     by_value
      - .offset:         136
        .size:           4
        .value_kind:     by_value
      - .offset:         140
        .size:           4
        .value_kind:     by_value
      - .offset:         144
        .size:           4
        .value_kind:     by_value
      - .offset:         152
        .size:           8
        .value_kind:     by_value
      - .offset:         160
        .size:           4
        .value_kind:     by_value
      - .offset:         164
        .size:           4
        .value_kind:     by_value
      - .offset:         168
        .size:           8
        .value_kind:     by_value
      - .offset:         176
        .size:           4
        .value_kind:     by_value
      - .offset:         180
        .size:           4
        .value_kind:     by_value
      - .offset:         184
        .size:           4
        .value_kind:     by_value
      - .offset:         188
        .size:           4
        .value_kind:     by_value
      - .offset:         192
        .size:           4
        .value_kind:     by_value
      - .offset:         200
        .size:           8
        .value_kind:     by_value
      - .offset:         208
        .size:           4
        .value_kind:     hidden_block_count_x
      - .offset:         212
        .size:           4
        .value_kind:     hidden_block_count_y
      - .offset:         216
        .size:           4
        .value_kind:     hidden_block_count_z
      - .offset:         220
        .size:           2
        .value_kind:     hidden_group_size_x
      - .offset:         222
        .size:           2
        .value_kind:     hidden_group_size_y
      - .offset:         224
        .size:           2
        .value_kind:     hidden_group_size_z
      - .offset:         226
        .size:           2
        .value_kind:     hidden_remainder_x
      - .offset:         228
        .size:           2
        .value_kind:     hidden_remainder_y
      - .offset:         230
        .size:           2
        .value_kind:     hidden_remainder_z
      - .offset:         248
        .size:           8
        .value_kind:     hidden_global_offset_x
      - .offset:         256
        .size:           8
        .value_kind:     hidden_global_offset_y
      - .offset:         264
        .size:           8
        .value_kind:     hidden_global_offset_z
      - .offset:         272
        .size:           2
        .value_kind:     hidden_grid_dims
    .group_segment_fixed_size: 18432
    .kernarg_segment_align: 8
    .kernarg_segment_size: 464
    .language:       OpenCL C
    .language_version:
      - 2
      - 0
    .max_flat_workgroup_size: 256
    .name:           _ZL15flash_attn_tileILi512ELi512ELi2ELi4ELb0EEvPKcS1_S1_S1_S1_PKiPfP15HIP_vector_typeIfLj2EEffffjfiS5_IjLj3EEiiiiiiiiiiiliiliiiiil
    .private_segment_fixed_size: 0
    .sgpr_count:     42
    .sgpr_spill_count: 0
    .symbol:         _ZL15flash_attn_tileILi512ELi512ELi2ELi4ELb0EEvPKcS1_S1_S1_S1_PKiPfP15HIP_vector_typeIfLj2EEffffjfiS5_IjLj3EEiiiiiiiiiiiliiliiiiil.kd
    .uniform_work_group_size: 1
    .uses_dynamic_stack: false
    .vgpr_count:     96
    .vgpr_spill_count: 0
    .wavefront_size: 32
    .workgroup_processor_mode: 1
  - .args:
      - .address_space:  global
        .offset:         0
        .size:           8
        .value_kind:     global_buffer
      - .address_space:  global
        .offset:         8
        .size:           8
        .value_kind:     global_buffer
      - .offset:         16
        .size:           4
        .value_kind:     by_value
      - .offset:         20
        .size:           4
        .value_kind:     by_value
      - .offset:         24
        .size:           4
        .value_kind:     by_value
      - .offset:         28
        .size:           4
        .value_kind:     by_value
      - .offset:         32
        .size:           4
        .value_kind:     by_value
      - .offset:         36
        .size:           4
        .value_kind:     by_value
      - .offset:         40
        .size:           12
        .value_kind:     by_value
      - .offset:         52
        .size:           12
        .value_kind:     by_value
      - .offset:         64
        .size:           12
        .value_kind:     by_value
    .group_segment_fixed_size: 0
    .kernarg_segment_align: 8
    .kernarg_segment_size: 76
    .language:       OpenCL C
    .language_version:
      - 2
      - 0
    .max_flat_workgroup_size: 512
    .name:           _ZL33flash_attn_stream_k_fixup_uniformILi512ELi2ELi4EEvPfPK15HIP_vector_typeIfLj2EEiiiiiiS1_IjLj3EES5_S5_
    .private_segment_fixed_size: 0
    .sgpr_count:     22
    .sgpr_spill_count: 0
    .symbol:         _ZL33flash_attn_stream_k_fixup_uniformILi512ELi2ELi4EEvPfPK15HIP_vector_typeIfLj2EEiiiiiiS1_IjLj3EES5_S5_.kd
    .uniform_work_group_size: 1
    .uses_dynamic_stack: false
    .vgpr_count:     15
    .vgpr_spill_count: 0
    .wavefront_size: 32
    .workgroup_processor_mode: 1
  - .args:
      - .address_space:  global
        .offset:         0
        .size:           8
        .value_kind:     global_buffer
      - .address_space:  global
        .offset:         8
        .size:           8
        .value_kind:     global_buffer
      - .offset:         16
        .size:           4
        .value_kind:     by_value
      - .offset:         20
        .size:           4
        .value_kind:     by_value
      - .offset:         24
        .size:           4
        .value_kind:     by_value
      - .offset:         28
        .size:           4
        .value_kind:     by_value
      - .offset:         32
        .size:           12
        .value_kind:     by_value
      - .offset:         44
        .size:           12
        .value_kind:     by_value
      - .offset:         56
        .size:           12
        .value_kind:     by_value
      - .offset:         68
        .size:           12
        .value_kind:     by_value
      - .offset:         80
        .size:           4
        .value_kind:     hidden_block_count_x
      - .offset:         84
        .size:           4
        .value_kind:     hidden_block_count_y
      - .offset:         88
        .size:           4
        .value_kind:     hidden_block_count_z
      - .offset:         92
        .size:           2
        .value_kind:     hidden_group_size_x
      - .offset:         94
        .size:           2
        .value_kind:     hidden_group_size_y
      - .offset:         96
        .size:           2
        .value_kind:     hidden_group_size_z
      - .offset:         98
        .size:           2
        .value_kind:     hidden_remainder_x
      - .offset:         100
        .size:           2
        .value_kind:     hidden_remainder_y
      - .offset:         102
        .size:           2
        .value_kind:     hidden_remainder_z
      - .offset:         120
        .size:           8
        .value_kind:     hidden_global_offset_x
      - .offset:         128
        .size:           8
        .value_kind:     hidden_global_offset_y
      - .offset:         136
        .size:           8
        .value_kind:     hidden_global_offset_z
      - .offset:         144
        .size:           2
        .value_kind:     hidden_grid_dims
    .group_segment_fixed_size: 0
    .kernarg_segment_align: 8
    .kernarg_segment_size: 336
    .language:       OpenCL C
    .language_version:
      - 2
      - 0
    .max_flat_workgroup_size: 512
    .name:           _ZL33flash_attn_stream_k_fixup_generalILi512ELi2ELi4EEvPfPK15HIP_vector_typeIfLj2EEiiiiS1_IjLj3EES5_S5_S5_
    .private_segment_fixed_size: 0
    .sgpr_count:     34
    .sgpr_spill_count: 0
    .symbol:         _ZL33flash_attn_stream_k_fixup_generalILi512ELi2ELi4EEvPfPK15HIP_vector_typeIfLj2EEiiiiS1_IjLj3EES5_S5_S5_.kd
    .uniform_work_group_size: 1
    .uses_dynamic_stack: false
    .vgpr_count:     19
    .vgpr_spill_count: 0
    .wavefront_size: 32
    .workgroup_processor_mode: 1
  - .args:
      - .address_space:  global
        .offset:         0
        .size:           8
        .value_kind:     global_buffer
      - .address_space:  global
        .offset:         8
        .size:           8
        .value_kind:     global_buffer
      - .address_space:  global
        .offset:         16
        .size:           8
        .value_kind:     global_buffer
      - .address_space:  global
        .offset:         24
        .size:           8
        .value_kind:     global_buffer
      - .address_space:  global
        .offset:         32
        .size:           8
        .value_kind:     global_buffer
      - .address_space:  global
        .offset:         40
        .size:           8
        .value_kind:     global_buffer
      - .address_space:  global
        .offset:         48
        .size:           8
        .value_kind:     global_buffer
      - .address_space:  global
        .offset:         56
        .size:           8
        .value_kind:     global_buffer
      - .offset:         64
        .size:           4
        .value_kind:     by_value
      - .offset:         68
        .size:           4
        .value_kind:     by_value
      - .offset:         72
        .size:           4
        .value_kind:     by_value
      - .offset:         76
        .size:           4
        .value_kind:     by_value
      - .offset:         80
        .size:           4
        .value_kind:     by_value
      - .offset:         84
        .size:           4
        .value_kind:     by_value
      - .offset:         88
        .size:           4
        .value_kind:     by_value
      - .offset:         92
        .size:           12
        .value_kind:     by_value
      - .offset:         104
        .size:           4
        .value_kind:     by_value
      - .offset:         108
        .size:           4
        .value_kind:     by_value
      - .offset:         112
        .size:           4
        .value_kind:     by_value
      - .offset:         116
        .size:           4
        .value_kind:     by_value
      - .offset:         120
        .size:           4
        .value_kind:     by_value
      - .offset:         124
        .size:           4
        .value_kind:     by_value
      - .offset:         128
        .size:           4
        .value_kind:     by_value
      - .offset:         132
        .size:           4
        .value_kind:     by_value
      - .offset:         136
        .size:           4
        .value_kind:     by_value
      - .offset:         140
        .size:           4
        .value_kind:     by_value
      - .offset:         144
        .size:           4
        .value_kind:     by_value
      - .offset:         152
        .size:           8
        .value_kind:     by_value
      - .offset:         160
        .size:           4
        .value_kind:     by_value
      - .offset:         164
        .size:           4
        .value_kind:     by_value
      - .offset:         168
        .size:           8
        .value_kind:     by_value
      - .offset:         176
        .size:           4
        .value_kind:     by_value
      - .offset:         180
        .size:           4
        .value_kind:     by_value
      - .offset:         184
        .size:           4
        .value_kind:     by_value
      - .offset:         188
        .size:           4
        .value_kind:     by_value
      - .offset:         192
        .size:           4
        .value_kind:     by_value
      - .offset:         200
        .size:           8
        .value_kind:     by_value
      - .offset:         208
        .size:           4
        .value_kind:     hidden_block_count_x
      - .offset:         212
        .size:           4
        .value_kind:     hidden_block_count_y
      - .offset:         216
        .size:           4
        .value_kind:     hidden_block_count_z
      - .offset:         220
        .size:           2
        .value_kind:     hidden_group_size_x
      - .offset:         222
        .size:           2
        .value_kind:     hidden_group_size_y
      - .offset:         224
        .size:           2
        .value_kind:     hidden_group_size_z
      - .offset:         226
        .size:           2
        .value_kind:     hidden_remainder_x
      - .offset:         228
        .size:           2
        .value_kind:     hidden_remainder_y
      - .offset:         230
        .size:           2
        .value_kind:     hidden_remainder_z
      - .offset:         248
        .size:           8
        .value_kind:     hidden_global_offset_x
      - .offset:         256
        .size:           8
        .value_kind:     hidden_global_offset_y
      - .offset:         264
        .size:           8
        .value_kind:     hidden_global_offset_z
      - .offset:         272
        .size:           2
        .value_kind:     hidden_grid_dims
    .group_segment_fixed_size: 13824
    .kernarg_segment_align: 8
    .kernarg_segment_size: 464
    .language:       OpenCL C
    .language_version:
      - 2
      - 0
    .max_flat_workgroup_size: 128
    .name:           _ZL15flash_attn_tileILi512ELi512ELi1ELi4ELb0EEvPKcS1_S1_S1_S1_PKiPfP15HIP_vector_typeIfLj2EEffffjfiS5_IjLj3EEiiiiiiiiiiiliiliiiiil
    .private_segment_fixed_size: 0
    .sgpr_count:     43
    .sgpr_spill_count: 0
    .symbol:         _ZL15flash_attn_tileILi512ELi512ELi1ELi4ELb0EEvPKcS1_S1_S1_S1_PKiPfP15HIP_vector_typeIfLj2EEffffjfiS5_IjLj3EEiiiiiiiiiiiliiliiiiil.kd
    .uniform_work_group_size: 1
    .uses_dynamic_stack: false
    .vgpr_count:     172
    .vgpr_spill_count: 0
    .wavefront_size: 32
    .workgroup_processor_mode: 1
  - .args:
      - .address_space:  global
        .offset:         0
        .size:           8
        .value_kind:     global_buffer
      - .address_space:  global
        .offset:         8
        .size:           8
        .value_kind:     global_buffer
      - .offset:         16
        .size:           4
        .value_kind:     by_value
      - .offset:         20
        .size:           4
        .value_kind:     by_value
      - .offset:         24
        .size:           4
        .value_kind:     by_value
      - .offset:         28
        .size:           4
        .value_kind:     by_value
      - .offset:         32
        .size:           4
        .value_kind:     by_value
      - .offset:         36
        .size:           4
        .value_kind:     by_value
      - .offset:         40
        .size:           12
        .value_kind:     by_value
      - .offset:         52
        .size:           12
        .value_kind:     by_value
      - .offset:         64
        .size:           12
        .value_kind:     by_value
    .group_segment_fixed_size: 0
    .kernarg_segment_align: 8
    .kernarg_segment_size: 76
    .language:       OpenCL C
    .language_version:
      - 2
      - 0
    .max_flat_workgroup_size: 512
    .name:           _ZL33flash_attn_stream_k_fixup_uniformILi512ELi1ELi4EEvPfPK15HIP_vector_typeIfLj2EEiiiiiiS1_IjLj3EES5_S5_
    .private_segment_fixed_size: 0
    .sgpr_count:     22
    .sgpr_spill_count: 0
    .symbol:         _ZL33flash_attn_stream_k_fixup_uniformILi512ELi1ELi4EEvPfPK15HIP_vector_typeIfLj2EEiiiiiiS1_IjLj3EES5_S5_.kd
    .uniform_work_group_size: 1
    .uses_dynamic_stack: false
    .vgpr_count:     15
    .vgpr_spill_count: 0
    .wavefront_size: 32
    .workgroup_processor_mode: 1
  - .args:
      - .address_space:  global
        .offset:         0
        .size:           8
        .value_kind:     global_buffer
      - .address_space:  global
        .offset:         8
        .size:           8
        .value_kind:     global_buffer
      - .offset:         16
        .size:           4
        .value_kind:     by_value
      - .offset:         20
        .size:           4
        .value_kind:     by_value
      - .offset:         24
        .size:           4
        .value_kind:     by_value
      - .offset:         28
        .size:           4
        .value_kind:     by_value
      - .offset:         32
        .size:           12
        .value_kind:     by_value
      - .offset:         44
        .size:           12
        .value_kind:     by_value
      - .offset:         56
        .size:           12
        .value_kind:     by_value
      - .offset:         68
        .size:           12
        .value_kind:     by_value
      - .offset:         80
        .size:           4
        .value_kind:     hidden_block_count_x
      - .offset:         84
        .size:           4
        .value_kind:     hidden_block_count_y
      - .offset:         88
        .size:           4
        .value_kind:     hidden_block_count_z
      - .offset:         92
        .size:           2
        .value_kind:     hidden_group_size_x
      - .offset:         94
        .size:           2
        .value_kind:     hidden_group_size_y
      - .offset:         96
        .size:           2
        .value_kind:     hidden_group_size_z
      - .offset:         98
        .size:           2
        .value_kind:     hidden_remainder_x
      - .offset:         100
        .size:           2
        .value_kind:     hidden_remainder_y
      - .offset:         102
        .size:           2
        .value_kind:     hidden_remainder_z
      - .offset:         120
        .size:           8
        .value_kind:     hidden_global_offset_x
      - .offset:         128
        .size:           8
        .value_kind:     hidden_global_offset_y
      - .offset:         136
        .size:           8
        .value_kind:     hidden_global_offset_z
      - .offset:         144
        .size:           2
        .value_kind:     hidden_grid_dims
    .group_segment_fixed_size: 0
    .kernarg_segment_align: 8
    .kernarg_segment_size: 336
    .language:       OpenCL C
    .language_version:
      - 2
      - 0
    .max_flat_workgroup_size: 512
    .name:           _ZL33flash_attn_stream_k_fixup_generalILi512ELi1ELi4EEvPfPK15HIP_vector_typeIfLj2EEiiiiS1_IjLj3EES5_S5_S5_
    .private_segment_fixed_size: 0
    .sgpr_count:     34
    .sgpr_spill_count: 0
    .symbol:         _ZL33flash_attn_stream_k_fixup_generalILi512ELi1ELi4EEvPfPK15HIP_vector_typeIfLj2EEiiiiS1_IjLj3EES5_S5_S5_.kd
    .uniform_work_group_size: 1
    .uses_dynamic_stack: false
    .vgpr_count:     19
    .vgpr_spill_count: 0
    .wavefront_size: 32
    .workgroup_processor_mode: 1
  - .args:
      - .address_space:  global
        .offset:         0
        .size:           8
        .value_kind:     global_buffer
      - .address_space:  global
        .offset:         8
        .size:           8
        .value_kind:     global_buffer
      - .address_space:  global
        .offset:         16
        .size:           8
        .value_kind:     global_buffer
      - .address_space:  global
        .offset:         24
        .size:           8
        .value_kind:     global_buffer
      - .address_space:  global
        .offset:         32
        .size:           8
        .value_kind:     global_buffer
      - .address_space:  global
        .offset:         40
        .size:           8
        .value_kind:     global_buffer
      - .address_space:  global
        .offset:         48
        .size:           8
        .value_kind:     global_buffer
      - .address_space:  global
        .offset:         56
        .size:           8
        .value_kind:     global_buffer
      - .offset:         64
        .size:           4
        .value_kind:     by_value
      - .offset:         68
        .size:           4
        .value_kind:     by_value
      - .offset:         72
        .size:           4
        .value_kind:     by_value
      - .offset:         76
        .size:           4
        .value_kind:     by_value
      - .offset:         80
        .size:           4
        .value_kind:     by_value
      - .offset:         84
        .size:           4
        .value_kind:     by_value
      - .offset:         88
        .size:           4
        .value_kind:     by_value
      - .offset:         92
        .size:           12
        .value_kind:     by_value
      - .offset:         104
        .size:           4
        .value_kind:     by_value
      - .offset:         108
        .size:           4
        .value_kind:     by_value
      - .offset:         112
        .size:           4
        .value_kind:     by_value
      - .offset:         116
        .size:           4
        .value_kind:     by_value
      - .offset:         120
        .size:           4
        .value_kind:     by_value
      - .offset:         124
        .size:           4
        .value_kind:     by_value
      - .offset:         128
        .size:           4
        .value_kind:     by_value
      - .offset:         132
        .size:           4
        .value_kind:     by_value
      - .offset:         136
        .size:           4
        .value_kind:     by_value
      - .offset:         140
        .size:           4
        .value_kind:     by_value
      - .offset:         144
        .size:           4
        .value_kind:     by_value
      - .offset:         152
        .size:           8
        .value_kind:     by_value
      - .offset:         160
        .size:           4
        .value_kind:     by_value
      - .offset:         164
        .size:           4
        .value_kind:     by_value
      - .offset:         168
        .size:           8
        .value_kind:     by_value
      - .offset:         176
        .size:           4
        .value_kind:     by_value
      - .offset:         180
        .size:           4
        .value_kind:     by_value
      - .offset:         184
        .size:           4
        .value_kind:     by_value
      - .offset:         188
        .size:           4
        .value_kind:     by_value
      - .offset:         192
        .size:           4
        .value_kind:     by_value
      - .offset:         200
        .size:           8
        .value_kind:     by_value
      - .offset:         208
        .size:           4
        .value_kind:     hidden_block_count_x
      - .offset:         212
        .size:           4
        .value_kind:     hidden_block_count_y
      - .offset:         216
        .size:           4
        .value_kind:     hidden_block_count_z
      - .offset:         220
        .size:           2
        .value_kind:     hidden_group_size_x
      - .offset:         222
        .size:           2
        .value_kind:     hidden_group_size_y
      - .offset:         224
        .size:           2
        .value_kind:     hidden_group_size_z
      - .offset:         226
        .size:           2
        .value_kind:     hidden_remainder_x
      - .offset:         228
        .size:           2
        .value_kind:     hidden_remainder_y
      - .offset:         230
        .size:           2
        .value_kind:     hidden_remainder_z
      - .offset:         248
        .size:           8
        .value_kind:     hidden_global_offset_x
      - .offset:         256
        .size:           8
        .value_kind:     hidden_global_offset_y
      - .offset:         264
        .size:           8
        .value_kind:     hidden_global_offset_z
      - .offset:         272
        .size:           2
        .value_kind:     hidden_grid_dims
    .group_segment_fixed_size: 59392
    .kernarg_segment_align: 8
    .kernarg_segment_size: 464
    .language:       OpenCL C
    .language_version:
      - 2
      - 0
    .max_flat_workgroup_size: 256
    .name:           _ZL15flash_attn_tileILi512ELi512ELi4ELi8ELb1EEvPKcS1_S1_S1_S1_PKiPfP15HIP_vector_typeIfLj2EEffffjfiS5_IjLj3EEiiiiiiiiiiiliiliiiiil
    .private_segment_fixed_size: 0
    .sgpr_count:     42
    .sgpr_spill_count: 0
    .symbol:         _ZL15flash_attn_tileILi512ELi512ELi4ELi8ELb1EEvPKcS1_S1_S1_S1_PKiPfP15HIP_vector_typeIfLj2EEffffjfiS5_IjLj3EEiiiiiiiiiiiliiliiiiil.kd
    .uniform_work_group_size: 1
    .uses_dynamic_stack: false
    .vgpr_count:     209
    .vgpr_spill_count: 0
    .wavefront_size: 32
    .workgroup_processor_mode: 1
  - .args:
      - .address_space:  global
        .offset:         0
        .size:           8
        .value_kind:     global_buffer
      - .address_space:  global
        .offset:         8
        .size:           8
        .value_kind:     global_buffer
      - .address_space:  global
        .offset:         16
        .size:           8
        .value_kind:     global_buffer
      - .address_space:  global
        .offset:         24
        .size:           8
        .value_kind:     global_buffer
      - .address_space:  global
        .offset:         32
        .size:           8
        .value_kind:     global_buffer
      - .address_space:  global
        .offset:         40
        .size:           8
        .value_kind:     global_buffer
      - .address_space:  global
        .offset:         48
        .size:           8
        .value_kind:     global_buffer
      - .address_space:  global
        .offset:         56
        .size:           8
        .value_kind:     global_buffer
      - .offset:         64
        .size:           4
        .value_kind:     by_value
      - .offset:         68
        .size:           4
        .value_kind:     by_value
      - .offset:         72
        .size:           4
        .value_kind:     by_value
      - .offset:         76
        .size:           4
        .value_kind:     by_value
      - .offset:         80
        .size:           4
        .value_kind:     by_value
      - .offset:         84
        .size:           4
        .value_kind:     by_value
      - .offset:         88
        .size:           4
        .value_kind:     by_value
      - .offset:         92
        .size:           12
        .value_kind:     by_value
      - .offset:         104
        .size:           4
        .value_kind:     by_value
      - .offset:         108
        .size:           4
        .value_kind:     by_value
      - .offset:         112
        .size:           4
        .value_kind:     by_value
      - .offset:         116
        .size:           4
        .value_kind:     by_value
      - .offset:         120
        .size:           4
        .value_kind:     by_value
      - .offset:         124
        .size:           4
        .value_kind:     by_value
      - .offset:         128
        .size:           4
        .value_kind:     by_value
      - .offset:         132
        .size:           4
        .value_kind:     by_value
      - .offset:         136
        .size:           4
        .value_kind:     by_value
      - .offset:         140
        .size:           4
        .value_kind:     by_value
      - .offset:         144
        .size:           4
        .value_kind:     by_value
      - .offset:         152
        .size:           8
        .value_kind:     by_value
      - .offset:         160
        .size:           4
        .value_kind:     by_value
      - .offset:         164
        .size:           4
        .value_kind:     by_value
      - .offset:         168
        .size:           8
        .value_kind:     by_value
      - .offset:         176
        .size:           4
        .value_kind:     by_value
      - .offset:         180
        .size:           4
        .value_kind:     by_value
      - .offset:         184
        .size:           4
        .value_kind:     by_value
      - .offset:         188
        .size:           4
        .value_kind:     by_value
      - .offset:         192
        .size:           4
        .value_kind:     by_value
      - .offset:         200
        .size:           8
        .value_kind:     by_value
      - .offset:         208
        .size:           4
        .value_kind:     hidden_block_count_x
      - .offset:         212
        .size:           4
        .value_kind:     hidden_block_count_y
      - .offset:         216
        .size:           4
        .value_kind:     hidden_block_count_z
      - .offset:         220
        .size:           2
        .value_kind:     hidden_group_size_x
      - .offset:         222
        .size:           2
        .value_kind:     hidden_group_size_y
      - .offset:         224
        .size:           2
        .value_kind:     hidden_group_size_z
      - .offset:         226
        .size:           2
        .value_kind:     hidden_remainder_x
      - .offset:         228
        .size:           2
        .value_kind:     hidden_remainder_y
      - .offset:         230
        .size:           2
        .value_kind:     hidden_remainder_z
      - .offset:         248
        .size:           8
        .value_kind:     hidden_global_offset_x
      - .offset:         256
        .size:           8
        .value_kind:     hidden_global_offset_y
      - .offset:         264
        .size:           8
        .value_kind:     hidden_global_offset_z
      - .offset:         272
        .size:           2
        .value_kind:     hidden_grid_dims
    .group_segment_fixed_size: 27648
    .kernarg_segment_align: 8
    .kernarg_segment_size: 464
    .language:       OpenCL C
    .language_version:
      - 2
      - 0
    .max_flat_workgroup_size: 256
    .name:           _ZL15flash_attn_tileILi512ELi512ELi2ELi8ELb1EEvPKcS1_S1_S1_S1_PKiPfP15HIP_vector_typeIfLj2EEffffjfiS5_IjLj3EEiiiiiiiiiiiliiliiiiil
    .private_segment_fixed_size: 0
    .sgpr_count:     42
    .sgpr_spill_count: 0
    .symbol:         _ZL15flash_attn_tileILi512ELi512ELi2ELi8ELb1EEvPKcS1_S1_S1_S1_PKiPfP15HIP_vector_typeIfLj2EEffffjfiS5_IjLj3EEiiiiiiiiiiiliiliiiiil.kd
    .uniform_work_group_size: 1
    .uses_dynamic_stack: false
    .vgpr_count:     241
    .vgpr_spill_count: 0
    .wavefront_size: 32
    .workgroup_processor_mode: 1
  - .args:
      - .address_space:  global
        .offset:         0
        .size:           8
        .value_kind:     global_buffer
      - .address_space:  global
        .offset:         8
        .size:           8
        .value_kind:     global_buffer
      - .address_space:  global
        .offset:         16
        .size:           8
        .value_kind:     global_buffer
      - .address_space:  global
        .offset:         24
        .size:           8
        .value_kind:     global_buffer
      - .address_space:  global
        .offset:         32
        .size:           8
        .value_kind:     global_buffer
      - .address_space:  global
        .offset:         40
        .size:           8
        .value_kind:     global_buffer
      - .address_space:  global
        .offset:         48
        .size:           8
        .value_kind:     global_buffer
      - .address_space:  global
        .offset:         56
        .size:           8
        .value_kind:     global_buffer
      - .offset:         64
        .size:           4
        .value_kind:     by_value
      - .offset:         68
        .size:           4
        .value_kind:     by_value
      - .offset:         72
        .size:           4
        .value_kind:     by_value
      - .offset:         76
        .size:           4
        .value_kind:     by_value
      - .offset:         80
        .size:           4
        .value_kind:     by_value
      - .offset:         84
        .size:           4
        .value_kind:     by_value
      - .offset:         88
        .size:           4
        .value_kind:     by_value
      - .offset:         92
        .size:           12
        .value_kind:     by_value
      - .offset:         104
        .size:           4
        .value_kind:     by_value
      - .offset:         108
        .size:           4
        .value_kind:     by_value
      - .offset:         112
        .size:           4
        .value_kind:     by_value
      - .offset:         116
        .size:           4
        .value_kind:     by_value
      - .offset:         120
        .size:           4
        .value_kind:     by_value
      - .offset:         124
        .size:           4
        .value_kind:     by_value
      - .offset:         128
        .size:           4
        .value_kind:     by_value
      - .offset:         132
        .size:           4
        .value_kind:     by_value
      - .offset:         136
        .size:           4
        .value_kind:     by_value
      - .offset:         140
        .size:           4
        .value_kind:     by_value
      - .offset:         144
        .size:           4
        .value_kind:     by_value
      - .offset:         152
        .size:           8
        .value_kind:     by_value
      - .offset:         160
        .size:           4
        .value_kind:     by_value
      - .offset:         164
        .size:           4
        .value_kind:     by_value
      - .offset:         168
        .size:           8
        .value_kind:     by_value
      - .offset:         176
        .size:           4
        .value_kind:     by_value
      - .offset:         180
        .size:           4
        .value_kind:     by_value
      - .offset:         184
        .size:           4
        .value_kind:     by_value
      - .offset:         188
        .size:           4
        .value_kind:     by_value
      - .offset:         192
        .size:           4
        .value_kind:     by_value
      - .offset:         200
        .size:           8
        .value_kind:     by_value
      - .offset:         208
        .size:           4
        .value_kind:     hidden_block_count_x
      - .offset:         212
        .size:           4
        .value_kind:     hidden_block_count_y
      - .offset:         216
        .size:           4
        .value_kind:     hidden_block_count_z
      - .offset:         220
        .size:           2
        .value_kind:     hidden_group_size_x
      - .offset:         222
        .size:           2
        .value_kind:     hidden_group_size_y
      - .offset:         224
        .size:           2
        .value_kind:     hidden_group_size_z
      - .offset:         226
        .size:           2
        .value_kind:     hidden_remainder_x
      - .offset:         228
        .size:           2
        .value_kind:     hidden_remainder_y
      - .offset:         230
        .size:           2
        .value_kind:     hidden_remainder_z
      - .offset:         248
        .size:           8
        .value_kind:     hidden_global_offset_x
      - .offset:         256
        .size:           8
        .value_kind:     hidden_global_offset_y
      - .offset:         264
        .size:           8
        .value_kind:     hidden_global_offset_z
      - .offset:         272
        .size:           2
        .value_kind:     hidden_grid_dims
    .group_segment_fixed_size: 18432
    .kernarg_segment_align: 8
    .kernarg_segment_size: 464
    .language:       OpenCL C
    .language_version:
      - 2
      - 0
    .max_flat_workgroup_size: 256
    .name:           _ZL15flash_attn_tileILi512ELi512ELi1ELi8ELb1EEvPKcS1_S1_S1_S1_PKiPfP15HIP_vector_typeIfLj2EEffffjfiS5_IjLj3EEiiiiiiiiiiiliiliiiiil
    .private_segment_fixed_size: 0
    .sgpr_count:     42
    .sgpr_spill_count: 0
    .symbol:         _ZL15flash_attn_tileILi512ELi512ELi1ELi8ELb1EEvPKcS1_S1_S1_S1_PKiPfP15HIP_vector_typeIfLj2EEffffjfiS5_IjLj3EEiiiiiiiiiiiliiliiiiil.kd
    .uniform_work_group_size: 1
    .uses_dynamic_stack: false
    .vgpr_count:     127
    .vgpr_spill_count: 0
    .wavefront_size: 32
    .workgroup_processor_mode: 1
  - .args:
      - .address_space:  global
        .offset:         0
        .size:           8
        .value_kind:     global_buffer
      - .address_space:  global
        .offset:         8
        .size:           8
        .value_kind:     global_buffer
      - .address_space:  global
        .offset:         16
        .size:           8
        .value_kind:     global_buffer
      - .address_space:  global
        .offset:         24
        .size:           8
        .value_kind:     global_buffer
      - .address_space:  global
        .offset:         32
        .size:           8
        .value_kind:     global_buffer
      - .address_space:  global
        .offset:         40
        .size:           8
        .value_kind:     global_buffer
      - .address_space:  global
        .offset:         48
        .size:           8
        .value_kind:     global_buffer
      - .address_space:  global
        .offset:         56
        .size:           8
        .value_kind:     global_buffer
      - .offset:         64
        .size:           4
        .value_kind:     by_value
      - .offset:         68
        .size:           4
        .value_kind:     by_value
      - .offset:         72
        .size:           4
        .value_kind:     by_value
      - .offset:         76
        .size:           4
        .value_kind:     by_value
      - .offset:         80
        .size:           4
        .value_kind:     by_value
      - .offset:         84
        .size:           4
        .value_kind:     by_value
      - .offset:         88
        .size:           4
        .value_kind:     by_value
      - .offset:         92
        .size:           12
        .value_kind:     by_value
      - .offset:         104
        .size:           4
        .value_kind:     by_value
      - .offset:         108
        .size:           4
        .value_kind:     by_value
      - .offset:         112
        .size:           4
        .value_kind:     by_value
      - .offset:         116
        .size:           4
        .value_kind:     by_value
      - .offset:         120
        .size:           4
        .value_kind:     by_value
      - .offset:         124
        .size:           4
        .value_kind:     by_value
      - .offset:         128
        .size:           4
        .value_kind:     by_value
      - .offset:         132
        .size:           4
        .value_kind:     by_value
      - .offset:         136
        .size:           4
        .value_kind:     by_value
      - .offset:         140
        .size:           4
        .value_kind:     by_value
      - .offset:         144
        .size:           4
        .value_kind:     by_value
      - .offset:         152
        .size:           8
        .value_kind:     by_value
      - .offset:         160
        .size:           4
        .value_kind:     by_value
      - .offset:         164
        .size:           4
        .value_kind:     by_value
      - .offset:         168
        .size:           8
        .value_kind:     by_value
      - .offset:         176
        .size:           4
        .value_kind:     by_value
      - .offset:         180
        .size:           4
        .value_kind:     by_value
      - .offset:         184
        .size:           4
        .value_kind:     by_value
      - .offset:         188
        .size:           4
        .value_kind:     by_value
      - .offset:         192
        .size:           4
        .value_kind:     by_value
      - .offset:         200
        .size:           8
        .value_kind:     by_value
      - .offset:         208
        .size:           4
        .value_kind:     hidden_block_count_x
      - .offset:         212
        .size:           4
        .value_kind:     hidden_block_count_y
      - .offset:         216
        .size:           4
        .value_kind:     hidden_block_count_z
      - .offset:         220
        .size:           2
        .value_kind:     hidden_group_size_x
      - .offset:         222
        .size:           2
        .value_kind:     hidden_group_size_y
      - .offset:         224
        .size:           2
        .value_kind:     hidden_group_size_z
      - .offset:         226
        .size:           2
        .value_kind:     hidden_remainder_x
      - .offset:         228
        .size:           2
        .value_kind:     hidden_remainder_y
      - .offset:         230
        .size:           2
        .value_kind:     hidden_remainder_z
      - .offset:         248
        .size:           8
        .value_kind:     hidden_global_offset_x
      - .offset:         256
        .size:           8
        .value_kind:     hidden_global_offset_y
      - .offset:         264
        .size:           8
        .value_kind:     hidden_global_offset_z
      - .offset:         272
        .size:           2
        .value_kind:     hidden_grid_dims
    .group_segment_fixed_size: 59392
    .kernarg_segment_align: 8
    .kernarg_segment_size: 464
    .language:       OpenCL C
    .language_version:
      - 2
      - 0
    .max_flat_workgroup_size: 256
    .name:           _ZL15flash_attn_tileILi512ELi512ELi8ELi4ELb1EEvPKcS1_S1_S1_S1_PKiPfP15HIP_vector_typeIfLj2EEffffjfiS5_IjLj3EEiiiiiiiiiiiliiliiiiil
    .private_segment_fixed_size: 0
    .sgpr_count:     42
    .sgpr_spill_count: 0
    .symbol:         _ZL15flash_attn_tileILi512ELi512ELi8ELi4ELb1EEvPKcS1_S1_S1_S1_PKiPfP15HIP_vector_typeIfLj2EEffffjfiS5_IjLj3EEiiiiiiiiiiiliiliiiiil.kd
    .uniform_work_group_size: 1
    .uses_dynamic_stack: false
    .vgpr_count:     208
    .vgpr_spill_count: 0
    .wavefront_size: 32
    .workgroup_processor_mode: 1
  - .args:
      - .address_space:  global
        .offset:         0
        .size:           8
        .value_kind:     global_buffer
      - .address_space:  global
        .offset:         8
        .size:           8
        .value_kind:     global_buffer
      - .address_space:  global
        .offset:         16
        .size:           8
        .value_kind:     global_buffer
      - .address_space:  global
        .offset:         24
        .size:           8
        .value_kind:     global_buffer
      - .address_space:  global
        .offset:         32
        .size:           8
        .value_kind:     global_buffer
      - .address_space:  global
        .offset:         40
        .size:           8
        .value_kind:     global_buffer
      - .address_space:  global
        .offset:         48
        .size:           8
        .value_kind:     global_buffer
      - .address_space:  global
        .offset:         56
        .size:           8
        .value_kind:     global_buffer
      - .offset:         64
        .size:           4
        .value_kind:     by_value
      - .offset:         68
        .size:           4
        .value_kind:     by_value
      - .offset:         72
        .size:           4
        .value_kind:     by_value
      - .offset:         76
        .size:           4
        .value_kind:     by_value
      - .offset:         80
        .size:           4
        .value_kind:     by_value
      - .offset:         84
        .size:           4
        .value_kind:     by_value
      - .offset:         88
        .size:           4
        .value_kind:     by_value
      - .offset:         92
        .size:           12
        .value_kind:     by_value
      - .offset:         104
        .size:           4
        .value_kind:     by_value
      - .offset:         108
        .size:           4
        .value_kind:     by_value
      - .offset:         112
        .size:           4
        .value_kind:     by_value
      - .offset:         116
        .size:           4
        .value_kind:     by_value
      - .offset:         120
        .size:           4
        .value_kind:     by_value
      - .offset:         124
        .size:           4
        .value_kind:     by_value
      - .offset:         128
        .size:           4
        .value_kind:     by_value
      - .offset:         132
        .size:           4
        .value_kind:     by_value
      - .offset:         136
        .size:           4
        .value_kind:     by_value
      - .offset:         140
        .size:           4
        .value_kind:     by_value
      - .offset:         144
        .size:           4
        .value_kind:     by_value
      - .offset:         152
        .size:           8
        .value_kind:     by_value
      - .offset:         160
        .size:           4
        .value_kind:     by_value
      - .offset:         164
        .size:           4
        .value_kind:     by_value
      - .offset:         168
        .size:           8
        .value_kind:     by_value
      - .offset:         176
        .size:           4
        .value_kind:     by_value
      - .offset:         180
        .size:           4
        .value_kind:     by_value
      - .offset:         184
        .size:           4
        .value_kind:     by_value
      - .offset:         188
        .size:           4
        .value_kind:     by_value
      - .offset:         192
        .size:           4
        .value_kind:     by_value
      - .offset:         200
        .size:           8
        .value_kind:     by_value
      - .offset:         208
        .size:           4
        .value_kind:     hidden_block_count_x
      - .offset:         212
        .size:           4
        .value_kind:     hidden_block_count_y
      - .offset:         216
        .size:           4
        .value_kind:     hidden_block_count_z
      - .offset:         220
        .size:           2
        .value_kind:     hidden_group_size_x
      - .offset:         222
        .size:           2
        .value_kind:     hidden_group_size_y
      - .offset:         224
        .size:           2
        .value_kind:     hidden_group_size_z
      - .offset:         226
        .size:           2
        .value_kind:     hidden_remainder_x
      - .offset:         228
        .size:           2
        .value_kind:     hidden_remainder_y
      - .offset:         230
        .size:           2
        .value_kind:     hidden_remainder_z
      - .offset:         248
        .size:           8
        .value_kind:     hidden_global_offset_x
      - .offset:         256
        .size:           8
        .value_kind:     hidden_global_offset_y
      - .offset:         264
        .size:           8
        .value_kind:     hidden_global_offset_z
      - .offset:         272
        .size:           2
        .value_kind:     hidden_grid_dims
    .group_segment_fixed_size: 27648
    .kernarg_segment_align: 8
    .kernarg_segment_size: 464
    .language:       OpenCL C
    .language_version:
      - 2
      - 0
    .max_flat_workgroup_size: 256
    .name:           _ZL15flash_attn_tileILi512ELi512ELi4ELi4ELb1EEvPKcS1_S1_S1_S1_PKiPfP15HIP_vector_typeIfLj2EEffffjfiS5_IjLj3EEiiiiiiiiiiiliiliiiiil
    .private_segment_fixed_size: 0
    .sgpr_count:     42
    .sgpr_spill_count: 0
    .symbol:         _ZL15flash_attn_tileILi512ELi512ELi4ELi4ELb1EEvPKcS1_S1_S1_S1_PKiPfP15HIP_vector_typeIfLj2EEffffjfiS5_IjLj3EEiiiiiiiiiiiliiliiiiil.kd
    .uniform_work_group_size: 1
    .uses_dynamic_stack: false
    .vgpr_count:     241
    .vgpr_spill_count: 0
    .wavefront_size: 32
    .workgroup_processor_mode: 1
  - .args:
      - .address_space:  global
        .offset:         0
        .size:           8
        .value_kind:     global_buffer
      - .address_space:  global
        .offset:         8
        .size:           8
        .value_kind:     global_buffer
      - .address_space:  global
        .offset:         16
        .size:           8
        .value_kind:     global_buffer
      - .address_space:  global
        .offset:         24
        .size:           8
        .value_kind:     global_buffer
      - .address_space:  global
        .offset:         32
        .size:           8
        .value_kind:     global_buffer
      - .address_space:  global
        .offset:         40
        .size:           8
        .value_kind:     global_buffer
      - .address_space:  global
        .offset:         48
        .size:           8
        .value_kind:     global_buffer
      - .address_space:  global
        .offset:         56
        .size:           8
        .value_kind:     global_buffer
      - .offset:         64
        .size:           4
        .value_kind:     by_value
      - .offset:         68
        .size:           4
        .value_kind:     by_value
      - .offset:         72
        .size:           4
        .value_kind:     by_value
      - .offset:         76
        .size:           4
        .value_kind:     by_value
      - .offset:         80
        .size:           4
        .value_kind:     by_value
      - .offset:         84
        .size:           4
        .value_kind:     by_value
      - .offset:         88
        .size:           4
        .value_kind:     by_value
      - .offset:         92
        .size:           12
        .value_kind:     by_value
      - .offset:         104
        .size:           4
        .value_kind:     by_value
      - .offset:         108
        .size:           4
        .value_kind:     by_value
      - .offset:         112
        .size:           4
        .value_kind:     by_value
      - .offset:         116
        .size:           4
        .value_kind:     by_value
      - .offset:         120
        .size:           4
        .value_kind:     by_value
      - .offset:         124
        .size:           4
        .value_kind:     by_value
      - .offset:         128
        .size:           4
        .value_kind:     by_value
      - .offset:         132
        .size:           4
        .value_kind:     by_value
      - .offset:         136
        .size:           4
        .value_kind:     by_value
      - .offset:         140
        .size:           4
        .value_kind:     by_value
      - .offset:         144
        .size:           4
        .value_kind:     by_value
      - .offset:         152
        .size:           8
        .value_kind:     by_value
      - .offset:         160
        .size:           4
        .value_kind:     by_value
      - .offset:         164
        .size:           4
        .value_kind:     by_value
      - .offset:         168
        .size:           8
        .value_kind:     by_value
      - .offset:         176
        .size:           4
        .value_kind:     by_value
      - .offset:         180
        .size:           4
        .value_kind:     by_value
      - .offset:         184
        .size:           4
        .value_kind:     by_value
      - .offset:         188
        .size:           4
        .value_kind:     by_value
      - .offset:         192
        .size:           4
        .value_kind:     by_value
      - .offset:         200
        .size:           8
        .value_kind:     by_value
      - .offset:         208
        .size:           4
        .value_kind:     hidden_block_count_x
      - .offset:         212
        .size:           4
        .value_kind:     hidden_block_count_y
      - .offset:         216
        .size:           4
        .value_kind:     hidden_block_count_z
      - .offset:         220
        .size:           2
        .value_kind:     hidden_group_size_x
      - .offset:         222
        .size:           2
        .value_kind:     hidden_group_size_y
      - .offset:         224
        .size:           2
        .value_kind:     hidden_group_size_z
      - .offset:         226
        .size:           2
        .value_kind:     hidden_remainder_x
      - .offset:         228
        .size:           2
        .value_kind:     hidden_remainder_y
      - .offset:         230
        .size:           2
        .value_kind:     hidden_remainder_z
      - .offset:         248
        .size:           8
        .value_kind:     hidden_global_offset_x
      - .offset:         256
        .size:           8
        .value_kind:     hidden_global_offset_y
      - .offset:         264
        .size:           8
        .value_kind:     hidden_global_offset_z
      - .offset:         272
        .size:           2
        .value_kind:     hidden_grid_dims
    .group_segment_fixed_size: 18432
    .kernarg_segment_align: 8
    .kernarg_segment_size: 464
    .language:       OpenCL C
    .language_version:
      - 2
      - 0
    .max_flat_workgroup_size: 256
    .name:           _ZL15flash_attn_tileILi512ELi512ELi2ELi4ELb1EEvPKcS1_S1_S1_S1_PKiPfP15HIP_vector_typeIfLj2EEffffjfiS5_IjLj3EEiiiiiiiiiiiliiliiiiil
    .private_segment_fixed_size: 0
    .sgpr_count:     42
    .sgpr_spill_count: 0
    .symbol:         _ZL15flash_attn_tileILi512ELi512ELi2ELi4ELb1EEvPKcS1_S1_S1_S1_PKiPfP15HIP_vector_typeIfLj2EEffffjfiS5_IjLj3EEiiiiiiiiiiiliiliiiiil.kd
    .uniform_work_group_size: 1
    .uses_dynamic_stack: false
    .vgpr_count:     127
    .vgpr_spill_count: 0
    .wavefront_size: 32
    .workgroup_processor_mode: 1
  - .args:
      - .address_space:  global
        .offset:         0
        .size:           8
        .value_kind:     global_buffer
      - .address_space:  global
        .offset:         8
        .size:           8
        .value_kind:     global_buffer
      - .address_space:  global
        .offset:         16
        .size:           8
        .value_kind:     global_buffer
      - .address_space:  global
        .offset:         24
        .size:           8
        .value_kind:     global_buffer
      - .address_space:  global
        .offset:         32
        .size:           8
        .value_kind:     global_buffer
      - .address_space:  global
        .offset:         40
        .size:           8
        .value_kind:     global_buffer
      - .address_space:  global
        .offset:         48
        .size:           8
        .value_kind:     global_buffer
      - .address_space:  global
        .offset:         56
        .size:           8
        .value_kind:     global_buffer
      - .offset:         64
        .size:           4
        .value_kind:     by_value
      - .offset:         68
        .size:           4
        .value_kind:     by_value
      - .offset:         72
        .size:           4
        .value_kind:     by_value
      - .offset:         76
        .size:           4
        .value_kind:     by_value
      - .offset:         80
        .size:           4
        .value_kind:     by_value
      - .offset:         84
        .size:           4
        .value_kind:     by_value
      - .offset:         88
        .size:           4
        .value_kind:     by_value
      - .offset:         92
        .size:           12
        .value_kind:     by_value
      - .offset:         104
        .size:           4
        .value_kind:     by_value
      - .offset:         108
        .size:           4
        .value_kind:     by_value
      - .offset:         112
        .size:           4
        .value_kind:     by_value
      - .offset:         116
        .size:           4
        .value_kind:     by_value
      - .offset:         120
        .size:           4
        .value_kind:     by_value
      - .offset:         124
        .size:           4
        .value_kind:     by_value
      - .offset:         128
        .size:           4
        .value_kind:     by_value
      - .offset:         132
        .size:           4
        .value_kind:     by_value
      - .offset:         136
        .size:           4
        .value_kind:     by_value
      - .offset:         140
        .size:           4
        .value_kind:     by_value
      - .offset:         144
        .size:           4
        .value_kind:     by_value
      - .offset:         152
        .size:           8
        .value_kind:     by_value
      - .offset:         160
        .size:           4
        .value_kind:     by_value
      - .offset:         164
        .size:           4
        .value_kind:     by_value
      - .offset:         168
        .size:           8
        .value_kind:     by_value
      - .offset:         176
        .size:           4
        .value_kind:     by_value
      - .offset:         180
        .size:           4
        .value_kind:     by_value
      - .offset:         184
        .size:           4
        .value_kind:     by_value
      - .offset:         188
        .size:           4
        .value_kind:     by_value
      - .offset:         192
        .size:           4
        .value_kind:     by_value
      - .offset:         200
        .size:           8
        .value_kind:     by_value
      - .offset:         208
        .size:           4
        .value_kind:     hidden_block_count_x
      - .offset:         212
        .size:           4
        .value_kind:     hidden_block_count_y
      - .offset:         216
        .size:           4
        .value_kind:     hidden_block_count_z
      - .offset:         220
        .size:           2
        .value_kind:     hidden_group_size_x
      - .offset:         222
        .size:           2
        .value_kind:     hidden_group_size_y
      - .offset:         224
        .size:           2
        .value_kind:     hidden_group_size_z
      - .offset:         226
        .size:           2
        .value_kind:     hidden_remainder_x
      - .offset:         228
        .size:           2
        .value_kind:     hidden_remainder_y
      - .offset:         230
        .size:           2
        .value_kind:     hidden_remainder_z
      - .offset:         248
        .size:           8
        .value_kind:     hidden_global_offset_x
      - .offset:         256
        .size:           8
        .value_kind:     hidden_global_offset_y
      - .offset:         264
        .size:           8
        .value_kind:     hidden_global_offset_z
      - .offset:         272
        .size:           2
        .value_kind:     hidden_grid_dims
    .group_segment_fixed_size: 13824
    .kernarg_segment_align: 8
    .kernarg_segment_size: 464
    .language:       OpenCL C
    .language_version:
      - 2
      - 0
    .max_flat_workgroup_size: 128
    .name:           _ZL15flash_attn_tileILi512ELi512ELi1ELi4ELb1EEvPKcS1_S1_S1_S1_PKiPfP15HIP_vector_typeIfLj2EEffffjfiS5_IjLj3EEiiiiiiiiiiiliiliiiiil
    .private_segment_fixed_size: 0
    .sgpr_count:     43
    .sgpr_spill_count: 0
    .symbol:         _ZL15flash_attn_tileILi512ELi512ELi1ELi4ELb1EEvPKcS1_S1_S1_S1_PKiPfP15HIP_vector_typeIfLj2EEffffjfiS5_IjLj3EEiiiiiiiiiiiliiliiiiil.kd
    .uniform_work_group_size: 1
    .uses_dynamic_stack: false
    .vgpr_count:     209
    .vgpr_spill_count: 0
    .wavefront_size: 32
    .workgroup_processor_mode: 1
amdhsa.target:   amdgcn-amd-amdhsa--gfx1100
amdhsa.version:
  - 1
  - 2
...

	.end_amdgpu_metadata
